;; amdgpu-corpus repo=ROCm/rocSOLVER kind=compiled arch=gfx1201 opt=O3
	.amdgcn_target "amdgcn-amd-amdhsa--gfx1201"
	.amdhsa_code_object_version 6
	.section	.text._ZN9rocsolver6v33100L19stedc_update_splitsEiiiPi,"axG",@progbits,_ZN9rocsolver6v33100L19stedc_update_splitsEiiiPi,comdat
	.globl	_ZN9rocsolver6v33100L19stedc_update_splitsEiiiPi ; -- Begin function _ZN9rocsolver6v33100L19stedc_update_splitsEiiiPi
	.p2align	8
	.type	_ZN9rocsolver6v33100L19stedc_update_splitsEiiiPi,@function
_ZN9rocsolver6v33100L19stedc_update_splitsEiiiPi: ; @_ZN9rocsolver6v33100L19stedc_update_splitsEiiiPi
; %bb.0:
	s_clause 0x1
	s_load_b96 s[4:6], s[0:1], 0x0
	s_load_b64 s[2:3], s[0:1], 0x10
	s_mov_b32 s7, 0
	s_wait_kmcnt 0x0
	s_mul_i32 s9, ttmp7, s6
	s_lshl_b32 s8, s6, 2
	s_mul_i32 s10, s9, 13
	s_lshl_b32 s20, 1, s4
	s_ashr_i32 s11, s10, 31
	s_ashr_i32 s9, s8, 31
	s_lshl_b64 s[16:17], s[10:11], 2
	s_ashr_i32 s15, s6, 31
	v_cmp_gt_i32_e32 vcc_lo, s20, v0
	s_lshl_b64 s[18:19], s[8:9], 2
	s_mov_b32 s14, s6
	s_add_nc_u64 s[10:11], s[2:3], s[16:17]
	s_cmp_eq_u32 s5, 0
	s_mul_u64 s[12:13], s[14:15], -12
	s_add_nc_u64 s[8:9], s[10:11], s[18:19]
	s_cselect_b32 s21, -1, 0
	s_add_nc_u64 s[12:13], s[8:9], s[12:13]
	s_wait_alu 0xfffe
	s_and_b32 s22, s21, vcc_lo
	s_delay_alu instid0(SALU_CYCLE_1)
	s_and_saveexec_b32 s21, s22
	s_cbranch_execz .LBB0_6
; %bb.1:
	s_load_b32 s22, s[0:1], 0x24
	v_mov_b32_e32 v1, v0
	s_add_nc_u64 s[16:17], s[16:17], s[18:19]
	s_delay_alu instid0(SALU_CYCLE_1)
	s_add_nc_u64 s[16:17], s[2:3], s[16:17]
	s_wait_kmcnt 0x0
	s_and_b32 s18, s22, 0xffff
	s_branch .LBB0_3
.LBB0_2:                                ;   in Loop: Header=BB0_3 Depth=1
	s_wait_alu 0xfffe
	s_or_b32 exec_lo, exec_lo, s3
	v_add_nc_u32_e32 v1, s18, v1
	s_delay_alu instid0(VALU_DEP_1) | instskip(SKIP_1) | instid1(SALU_CYCLE_1)
	v_cmp_le_i32_e32 vcc_lo, s20, v1
	s_or_b32 s7, vcc_lo, s7
	s_and_not1_b32 exec_lo, exec_lo, s7
	s_cbranch_execz .LBB0_6
.LBB0_3:                                ; =>This Loop Header: Depth=1
                                        ;     Child Loop BB0_5 Depth 2
	v_ashrrev_i32_e32 v2, 31, v1
	s_mov_b32 s3, exec_lo
	s_delay_alu instid0(VALU_DEP_1) | instskip(NEXT) | instid1(VALU_DEP_1)
	v_lshlrev_b64_e32 v[2:3], 2, v[1:2]
	v_add_co_u32 v4, vcc_lo, s10, v2
	s_wait_alu 0xfffd
	s_delay_alu instid0(VALU_DEP_2)
	v_add_co_ci_u32_e64 v5, null, s11, v3, vcc_lo
	global_load_b32 v4, v[4:5], off
	s_wait_loadcnt 0x0
	v_cmpx_lt_i32_e32 0, v4
	s_cbranch_execz .LBB0_2
; %bb.4:                                ;   in Loop: Header=BB0_3 Depth=1
	v_add_co_u32 v2, vcc_lo, s12, v2
	s_wait_alu 0xfffd
	v_add_co_ci_u32_e64 v3, null, s13, v3, vcc_lo
	s_mov_b32 s19, 0
	global_load_b32 v2, v[2:3], off
	s_wait_loadcnt 0x0
	v_ashrrev_i32_e32 v3, 31, v2
	s_delay_alu instid0(VALU_DEP_1) | instskip(NEXT) | instid1(VALU_DEP_1)
	v_lshlrev_b64_e32 v[2:3], 2, v[2:3]
	v_add_co_u32 v2, vcc_lo, s16, v2
	s_wait_alu 0xfffd
	s_delay_alu instid0(VALU_DEP_2)
	v_add_co_ci_u32_e64 v3, null, s17, v3, vcc_lo
.LBB0_5:                                ;   Parent Loop BB0_3 Depth=1
                                        ; =>  This Inner Loop Header: Depth=2
	v_add_nc_u32_e32 v4, -1, v4
	global_store_b32 v[2:3], v1, off
	v_add_co_u32 v2, s2, v2, 4
	s_wait_alu 0xf1ff
	v_add_co_ci_u32_e64 v3, null, 0, v3, s2
	v_cmp_eq_u32_e32 vcc_lo, 0, v4
	s_wait_alu 0xfffe
	s_or_b32 s19, vcc_lo, s19
	s_wait_alu 0xfffe
	s_and_not1_b32 exec_lo, exec_lo, s19
	s_cbranch_execnz .LBB0_5
	s_branch .LBB0_2
.LBB0_6:
	s_wait_alu 0xfffe
	s_or_b32 exec_lo, exec_lo, s21
	s_lshl_b64 s[20:21], s[14:15], 4
	s_not_b32 s2, s5
	s_wait_alu 0xfffe
	s_add_nc_u64 s[16:17], s[12:13], s[20:21]
	s_lshl_b64 s[18:19], s[14:15], 2
	s_add_co_i32 s3, s4, s2
	s_wait_alu 0xfffe
	s_add_nc_u64 s[4:5], s[16:17], s[18:19]
	s_sub_nc_u64 s[20:21], 0, s[20:21]
	s_lshl_b32 s7, 2, s3
	s_wait_alu 0xfffe
	s_add_nc_u64 s[22:23], s[4:5], s[20:21]
	s_mov_b32 s24, exec_lo
	s_add_nc_u64 s[20:21], s[22:23], s[18:19]
	v_cmpx_gt_i32_e64 s7, v0
	s_cbranch_execz .LBB0_9
; %bb.7:
	s_load_b32 s2, s[0:1], 0x24
	v_mov_b32_e32 v1, v0
	s_mov_b32 s26, 0
	s_wait_kmcnt 0x0
	s_and_b32 s25, s2, 0xffff
.LBB0_8:                                ; =>This Inner Loop Header: Depth=1
	s_delay_alu instid0(VALU_DEP_1) | instskip(NEXT) | instid1(VALU_DEP_1)
	v_ashrrev_i32_e32 v2, 31, v1
	v_lshlrev_b64_e32 v[2:3], 2, v[1:2]
	v_add_nc_u32_e32 v1, s25, v1
	s_delay_alu instid0(VALU_DEP_2) | instskip(SKIP_1) | instid1(VALU_DEP_3)
	v_add_co_u32 v4, vcc_lo, s10, v2
	s_wait_alu 0xfffd
	v_add_co_ci_u32_e64 v5, null, s11, v3, vcc_lo
	global_load_b32 v8, v[4:5], off
	v_add_co_u32 v4, vcc_lo, s22, v2
	s_wait_alu 0xfffd
	v_add_co_ci_u32_e64 v5, null, s23, v3, vcc_lo
	v_add_co_u32 v6, vcc_lo, s12, v2
	s_wait_alu 0xfffd
	v_add_co_ci_u32_e64 v7, null, s13, v3, vcc_lo
	v_cmp_le_i32_e32 vcc_lo, s7, v1
	v_add_co_u32 v2, s2, s20, v2
	s_wait_alu 0xf1ff
	v_add_co_ci_u32_e64 v3, null, s21, v3, s2
	s_or_b32 s26, vcc_lo, s26
	s_wait_loadcnt 0x0
	global_store_b32 v[4:5], v8, off
	global_load_b32 v4, v[6:7], off
	s_wait_loadcnt 0x0
	global_store_b32 v[2:3], v4, off
	s_and_not1_b32 exec_lo, exec_lo, s26
	s_cbranch_execnz .LBB0_8
.LBB0_9:
	s_or_b32 exec_lo, exec_lo, s24
	s_lshl_b32 s3, 1, s3
	s_mov_b32 s7, exec_lo
	s_wait_storecnt 0x0
	s_barrier_signal -1
	s_barrier_wait -1
	global_inv scope:SCOPE_SE
	s_wait_alu 0xfffe
	v_cmpx_gt_i32_e64 s3, v0
	s_cbranch_execz .LBB0_12
; %bb.10:
	s_load_b32 s2, s[0:1], 0x24
	v_lshlrev_b32_e32 v1, 1, v0
	v_mov_b32_e32 v3, v0
	s_mov_b32 s26, 0
	s_wait_kmcnt 0x0
	s_and_b32 s24, s2, 0xffff
	s_wait_alu 0xfffe
	s_lshl_b32 s25, s24, 1
.LBB0_11:                               ; =>This Inner Loop Header: Depth=1
	v_ashrrev_i32_e32 v2, 31, v1
	s_delay_alu instid0(VALU_DEP_1) | instskip(SKIP_2) | instid1(VALU_DEP_2)
	v_lshlrev_b64_e32 v[4:5], 2, v[1:2]
	s_wait_alu 0xfffe
	v_add_nc_u32_e32 v1, s25, v1
	v_add_co_u32 v6, vcc_lo, s22, v4
	s_wait_alu 0xfffd
	s_delay_alu instid0(VALU_DEP_3)
	v_add_co_ci_u32_e64 v7, null, s23, v5, vcc_lo
	v_add_co_u32 v4, vcc_lo, s20, v4
	s_wait_alu 0xfffd
	v_add_co_ci_u32_e64 v5, null, s21, v5, vcc_lo
	s_clause 0x1
	global_load_b64 v[6:7], v[6:7], off
	global_load_b32 v2, v[4:5], off
	v_ashrrev_i32_e32 v4, 31, v3
	s_delay_alu instid0(VALU_DEP_1) | instskip(SKIP_1) | instid1(VALU_DEP_1)
	v_lshlrev_b64_e32 v[4:5], 2, v[3:4]
	v_add_nc_u32_e32 v3, s24, v3
	v_cmp_le_i32_e32 vcc_lo, s3, v3
	s_delay_alu instid0(VALU_DEP_3) | instskip(SKIP_1) | instid1(VALU_DEP_4)
	v_add_co_u32 v8, s2, s10, v4
	s_wait_alu 0xf1ff
	v_add_co_ci_u32_e64 v9, null, s11, v5, s2
	v_add_co_u32 v4, s2, s12, v4
	s_wait_alu 0xf1ff
	v_add_co_ci_u32_e64 v5, null, s13, v5, s2
	s_or_b32 s26, vcc_lo, s26
	s_wait_loadcnt 0x1
	v_add_nc_u32_e32 v6, v7, v6
	global_store_b32 v[8:9], v6, off
	s_wait_loadcnt 0x0
	global_store_b32 v[4:5], v2, off
	s_and_not1_b32 exec_lo, exec_lo, s26
	s_cbranch_execnz .LBB0_11
.LBB0_12:
	s_or_b32 exec_lo, exec_lo, s7
	v_cmp_gt_i32_e32 vcc_lo, s6, v0
	s_wait_loadcnt 0x0
	s_wait_storecnt 0x0
	s_barrier_signal -1
	s_barrier_wait -1
	global_inv scope:SCOPE_SE
	s_and_saveexec_b32 s7, vcc_lo
	s_cbranch_execz .LBB0_15
; %bb.13:
	s_load_b32 s22, s[0:1], 0x24
	s_mul_u64 s[2:3], s[14:15], 28
	v_mov_b32_e32 v3, 0
	v_mov_b32_e32 v1, v0
	s_sub_nc_u64 s[18:19], 0, s[18:19]
	s_wait_alu 0xfffe
	s_add_nc_u64 s[14:15], s[20:21], s[2:3]
	s_mov_b32 s21, 0
	s_add_nc_u64 s[18:19], s[14:15], s[18:19]
	s_wait_kmcnt 0x0
	s_and_b32 s20, s22, 0xffff
.LBB0_14:                               ; =>This Inner Loop Header: Depth=1
	v_ashrrev_i32_e32 v2, 31, v1
	s_delay_alu instid0(VALU_DEP_1) | instskip(SKIP_2) | instid1(VALU_DEP_2)
	v_lshlrev_b64_e32 v[4:5], 2, v[1:2]
	s_wait_alu 0xfffe
	v_add_nc_u32_e32 v1, s20, v1
	v_add_co_u32 v6, s2, s8, v4
	s_wait_alu 0xf1ff
	s_delay_alu instid0(VALU_DEP_3) | instskip(SKIP_3) | instid1(VALU_DEP_1)
	v_add_co_ci_u32_e64 v7, null, s9, v5, s2
	global_load_b32 v2, v[6:7], off
	s_wait_loadcnt 0x0
	v_lshrrev_b32_e32 v6, 31, v2
	v_add_nc_u32_e32 v2, v2, v6
	s_delay_alu instid0(VALU_DEP_1) | instskip(NEXT) | instid1(VALU_DEP_1)
	v_ashrrev_i32_e32 v6, 1, v2
	v_ashrrev_i32_e32 v7, 31, v6
	s_delay_alu instid0(VALU_DEP_1) | instskip(NEXT) | instid1(VALU_DEP_1)
	v_lshlrev_b64_e32 v[6:7], 2, v[6:7]
	v_add_co_u32 v8, s2, s10, v6
	s_wait_alu 0xf1ff
	s_delay_alu instid0(VALU_DEP_2)
	v_add_co_ci_u32_e64 v9, null, s11, v7, s2
	global_load_b32 v2, v[8:9], off
	v_add_co_u32 v8, s2, s16, v4
	s_wait_alu 0xf1ff
	v_add_co_ci_u32_e64 v9, null, s17, v5, s2
	v_add_co_u32 v6, s2, s12, v6
	s_wait_alu 0xf1ff
	v_add_co_ci_u32_e64 v7, null, s13, v7, s2
	v_cmp_le_i32_e64 s2, s6, v1
	s_or_b32 s21, s2, s21
	s_wait_loadcnt 0x0
	global_store_b32 v[8:9], v2, off
	global_load_b32 v2, v[6:7], off
	v_add_co_u32 v6, s3, s4, v4
	s_wait_alu 0xf1ff
	v_add_co_ci_u32_e64 v7, null, s5, v5, s3
	v_add_co_u32 v8, s3, s14, v4
	s_wait_alu 0xf1ff
	v_add_co_ci_u32_e64 v9, null, s15, v5, s3
	;; [unrolled: 3-line block ×3, first 2 shown]
	s_wait_loadcnt 0x0
	s_clause 0x2
	global_store_b32 v[6:7], v2, off
	global_store_b32 v[8:9], v3, off
	;; [unrolled: 1-line block ×3, first 2 shown]
	s_wait_alu 0xfffe
	s_and_not1_b32 exec_lo, exec_lo, s21
	s_cbranch_execnz .LBB0_14
.LBB0_15:
	s_wait_alu 0xfffe
	s_or_b32 exec_lo, exec_lo, s7
	s_wait_loadcnt 0x0
	s_wait_storecnt 0x0
	s_barrier_signal -1
	s_barrier_wait -1
	global_inv scope:SCOPE_SE
	s_and_saveexec_b32 s2, vcc_lo
	s_cbranch_execz .LBB0_18
; %bb.16:
	s_load_b32 s0, s[0:1], 0x24
	s_mov_b32 s1, 0
	s_wait_kmcnt 0x0
	s_and_b32 s0, s0, 0xffff
.LBB0_17:                               ; =>This Inner Loop Header: Depth=1
	v_ashrrev_i32_e32 v1, 31, v0
	s_delay_alu instid0(VALU_DEP_1) | instskip(SKIP_1) | instid1(VALU_DEP_2)
	v_lshlrev_b64_e32 v[1:2], 2, v[0:1]
	v_add_nc_u32_e32 v0, s0, v0
	v_add_co_u32 v1, vcc_lo, s8, v1
	s_wait_alu 0xfffd
	s_delay_alu instid0(VALU_DEP_3) | instskip(NEXT) | instid1(VALU_DEP_3)
	v_add_co_ci_u32_e64 v2, null, s9, v2, vcc_lo
	v_cmp_le_i32_e32 vcc_lo, s6, v0
	global_load_b32 v3, v[1:2], off
	s_or_b32 s1, vcc_lo, s1
	s_wait_loadcnt 0x0
	v_lshrrev_b32_e32 v4, 31, v3
	s_delay_alu instid0(VALU_DEP_1) | instskip(NEXT) | instid1(VALU_DEP_1)
	v_add_nc_u32_e32 v3, v3, v4
	v_ashrrev_i32_e32 v3, 1, v3
	global_store_b32 v[1:2], v3, off
	s_wait_alu 0xfffe
	s_and_not1_b32 exec_lo, exec_lo, s1
	s_cbranch_execnz .LBB0_17
.LBB0_18:
	s_endpgm
	.section	.rodata,"a",@progbits
	.p2align	6, 0x0
	.amdhsa_kernel _ZN9rocsolver6v33100L19stedc_update_splitsEiiiPi
		.amdhsa_group_segment_fixed_size 0
		.amdhsa_private_segment_fixed_size 0
		.amdhsa_kernarg_size 280
		.amdhsa_user_sgpr_count 2
		.amdhsa_user_sgpr_dispatch_ptr 0
		.amdhsa_user_sgpr_queue_ptr 0
		.amdhsa_user_sgpr_kernarg_segment_ptr 1
		.amdhsa_user_sgpr_dispatch_id 0
		.amdhsa_user_sgpr_private_segment_size 0
		.amdhsa_wavefront_size32 1
		.amdhsa_uses_dynamic_stack 0
		.amdhsa_enable_private_segment 0
		.amdhsa_system_sgpr_workgroup_id_x 1
		.amdhsa_system_sgpr_workgroup_id_y 1
		.amdhsa_system_sgpr_workgroup_id_z 0
		.amdhsa_system_sgpr_workgroup_info 0
		.amdhsa_system_vgpr_workitem_id 0
		.amdhsa_next_free_vgpr 10
		.amdhsa_next_free_sgpr 27
		.amdhsa_reserve_vcc 1
		.amdhsa_float_round_mode_32 0
		.amdhsa_float_round_mode_16_64 0
		.amdhsa_float_denorm_mode_32 3
		.amdhsa_float_denorm_mode_16_64 3
		.amdhsa_fp16_overflow 0
		.amdhsa_workgroup_processor_mode 1
		.amdhsa_memory_ordered 1
		.amdhsa_forward_progress 1
		.amdhsa_inst_pref_size 13
		.amdhsa_round_robin_scheduling 0
		.amdhsa_exception_fp_ieee_invalid_op 0
		.amdhsa_exception_fp_denorm_src 0
		.amdhsa_exception_fp_ieee_div_zero 0
		.amdhsa_exception_fp_ieee_overflow 0
		.amdhsa_exception_fp_ieee_underflow 0
		.amdhsa_exception_fp_ieee_inexact 0
		.amdhsa_exception_int_div_zero 0
	.end_amdhsa_kernel
	.section	.text._ZN9rocsolver6v33100L19stedc_update_splitsEiiiPi,"axG",@progbits,_ZN9rocsolver6v33100L19stedc_update_splitsEiiiPi,comdat
.Lfunc_end0:
	.size	_ZN9rocsolver6v33100L19stedc_update_splitsEiiiPi, .Lfunc_end0-_ZN9rocsolver6v33100L19stedc_update_splitsEiiiPi
                                        ; -- End function
	.set _ZN9rocsolver6v33100L19stedc_update_splitsEiiiPi.num_vgpr, 10
	.set _ZN9rocsolver6v33100L19stedc_update_splitsEiiiPi.num_agpr, 0
	.set _ZN9rocsolver6v33100L19stedc_update_splitsEiiiPi.numbered_sgpr, 27
	.set _ZN9rocsolver6v33100L19stedc_update_splitsEiiiPi.num_named_barrier, 0
	.set _ZN9rocsolver6v33100L19stedc_update_splitsEiiiPi.private_seg_size, 0
	.set _ZN9rocsolver6v33100L19stedc_update_splitsEiiiPi.uses_vcc, 1
	.set _ZN9rocsolver6v33100L19stedc_update_splitsEiiiPi.uses_flat_scratch, 0
	.set _ZN9rocsolver6v33100L19stedc_update_splitsEiiiPi.has_dyn_sized_stack, 0
	.set _ZN9rocsolver6v33100L19stedc_update_splitsEiiiPi.has_recursion, 0
	.set _ZN9rocsolver6v33100L19stedc_update_splitsEiiiPi.has_indirect_call, 0
	.section	.AMDGPU.csdata,"",@progbits
; Kernel info:
; codeLenInByte = 1556
; TotalNumSgprs: 29
; NumVgprs: 10
; ScratchSize: 0
; MemoryBound: 0
; FloatMode: 240
; IeeeMode: 1
; LDSByteSize: 0 bytes/workgroup (compile time only)
; SGPRBlocks: 0
; VGPRBlocks: 1
; NumSGPRsForWavesPerEU: 29
; NumVGPRsForWavesPerEU: 10
; Occupancy: 16
; WaveLimiterHint : 1
; COMPUTE_PGM_RSRC2:SCRATCH_EN: 0
; COMPUTE_PGM_RSRC2:USER_SGPR: 2
; COMPUTE_PGM_RSRC2:TRAP_HANDLER: 0
; COMPUTE_PGM_RSRC2:TGID_X_EN: 1
; COMPUTE_PGM_RSRC2:TGID_Y_EN: 1
; COMPUTE_PGM_RSRC2:TGID_Z_EN: 0
; COMPUTE_PGM_RSRC2:TIDIG_COMP_CNT: 0
	.section	.text._ZN9rocsolver6v33100L10reset_infoIiiiEEvPT_T0_T1_S4_,"axG",@progbits,_ZN9rocsolver6v33100L10reset_infoIiiiEEvPT_T0_T1_S4_,comdat
	.globl	_ZN9rocsolver6v33100L10reset_infoIiiiEEvPT_T0_T1_S4_ ; -- Begin function _ZN9rocsolver6v33100L10reset_infoIiiiEEvPT_T0_T1_S4_
	.p2align	8
	.type	_ZN9rocsolver6v33100L10reset_infoIiiiEEvPT_T0_T1_S4_,@function
_ZN9rocsolver6v33100L10reset_infoIiiiEEvPT_T0_T1_S4_: ; @_ZN9rocsolver6v33100L10reset_infoIiiiEEvPT_T0_T1_S4_
; %bb.0:
	s_clause 0x1
	s_load_b32 s2, s[0:1], 0x24
	s_load_b96 s[4:6], s[0:1], 0x8
	s_wait_kmcnt 0x0
	s_and_b32 s2, s2, 0xffff
	s_delay_alu instid0(SALU_CYCLE_1)
	v_mad_co_u64_u32 v[0:1], null, ttmp9, s2, v[0:1]
	s_mov_b32 s2, exec_lo
	v_cmpx_gt_i32_e64 s4, v0
	s_cbranch_execz .LBB1_2
; %bb.1:
	s_load_b64 s[0:1], s[0:1], 0x0
	v_ashrrev_i32_e32 v1, 31, v0
	s_mov_b32 s2, s5
	s_wait_alu 0xfffe
	v_mad_co_u64_u32 v[3:4], null, v0, s6, s[2:3]
	s_delay_alu instid0(VALU_DEP_2) | instskip(SKIP_1) | instid1(VALU_DEP_1)
	v_lshlrev_b64_e32 v[1:2], 2, v[0:1]
	s_wait_kmcnt 0x0
	v_add_co_u32 v0, vcc_lo, s0, v1
	s_delay_alu instid0(VALU_DEP_1)
	v_add_co_ci_u32_e64 v1, null, s1, v2, vcc_lo
	global_store_b32 v[0:1], v3, off
.LBB1_2:
	s_endpgm
	.section	.rodata,"a",@progbits
	.p2align	6, 0x0
	.amdhsa_kernel _ZN9rocsolver6v33100L10reset_infoIiiiEEvPT_T0_T1_S4_
		.amdhsa_group_segment_fixed_size 0
		.amdhsa_private_segment_fixed_size 0
		.amdhsa_kernarg_size 280
		.amdhsa_user_sgpr_count 2
		.amdhsa_user_sgpr_dispatch_ptr 0
		.amdhsa_user_sgpr_queue_ptr 0
		.amdhsa_user_sgpr_kernarg_segment_ptr 1
		.amdhsa_user_sgpr_dispatch_id 0
		.amdhsa_user_sgpr_private_segment_size 0
		.amdhsa_wavefront_size32 1
		.amdhsa_uses_dynamic_stack 0
		.amdhsa_enable_private_segment 0
		.amdhsa_system_sgpr_workgroup_id_x 1
		.amdhsa_system_sgpr_workgroup_id_y 0
		.amdhsa_system_sgpr_workgroup_id_z 0
		.amdhsa_system_sgpr_workgroup_info 0
		.amdhsa_system_vgpr_workitem_id 0
		.amdhsa_next_free_vgpr 5
		.amdhsa_next_free_sgpr 7
		.amdhsa_reserve_vcc 1
		.amdhsa_float_round_mode_32 0
		.amdhsa_float_round_mode_16_64 0
		.amdhsa_float_denorm_mode_32 3
		.amdhsa_float_denorm_mode_16_64 3
		.amdhsa_fp16_overflow 0
		.amdhsa_workgroup_processor_mode 1
		.amdhsa_memory_ordered 1
		.amdhsa_forward_progress 1
		.amdhsa_inst_pref_size 2
		.amdhsa_round_robin_scheduling 0
		.amdhsa_exception_fp_ieee_invalid_op 0
		.amdhsa_exception_fp_denorm_src 0
		.amdhsa_exception_fp_ieee_div_zero 0
		.amdhsa_exception_fp_ieee_overflow 0
		.amdhsa_exception_fp_ieee_underflow 0
		.amdhsa_exception_fp_ieee_inexact 0
		.amdhsa_exception_int_div_zero 0
	.end_amdhsa_kernel
	.section	.text._ZN9rocsolver6v33100L10reset_infoIiiiEEvPT_T0_T1_S4_,"axG",@progbits,_ZN9rocsolver6v33100L10reset_infoIiiiEEvPT_T0_T1_S4_,comdat
.Lfunc_end1:
	.size	_ZN9rocsolver6v33100L10reset_infoIiiiEEvPT_T0_T1_S4_, .Lfunc_end1-_ZN9rocsolver6v33100L10reset_infoIiiiEEvPT_T0_T1_S4_
                                        ; -- End function
	.set _ZN9rocsolver6v33100L10reset_infoIiiiEEvPT_T0_T1_S4_.num_vgpr, 5
	.set _ZN9rocsolver6v33100L10reset_infoIiiiEEvPT_T0_T1_S4_.num_agpr, 0
	.set _ZN9rocsolver6v33100L10reset_infoIiiiEEvPT_T0_T1_S4_.numbered_sgpr, 7
	.set _ZN9rocsolver6v33100L10reset_infoIiiiEEvPT_T0_T1_S4_.num_named_barrier, 0
	.set _ZN9rocsolver6v33100L10reset_infoIiiiEEvPT_T0_T1_S4_.private_seg_size, 0
	.set _ZN9rocsolver6v33100L10reset_infoIiiiEEvPT_T0_T1_S4_.uses_vcc, 1
	.set _ZN9rocsolver6v33100L10reset_infoIiiiEEvPT_T0_T1_S4_.uses_flat_scratch, 0
	.set _ZN9rocsolver6v33100L10reset_infoIiiiEEvPT_T0_T1_S4_.has_dyn_sized_stack, 0
	.set _ZN9rocsolver6v33100L10reset_infoIiiiEEvPT_T0_T1_S4_.has_recursion, 0
	.set _ZN9rocsolver6v33100L10reset_infoIiiiEEvPT_T0_T1_S4_.has_indirect_call, 0
	.section	.AMDGPU.csdata,"",@progbits
; Kernel info:
; codeLenInByte = 136
; TotalNumSgprs: 9
; NumVgprs: 5
; ScratchSize: 0
; MemoryBound: 0
; FloatMode: 240
; IeeeMode: 1
; LDSByteSize: 0 bytes/workgroup (compile time only)
; SGPRBlocks: 0
; VGPRBlocks: 0
; NumSGPRsForWavesPerEU: 9
; NumVGPRsForWavesPerEU: 5
; Occupancy: 16
; WaveLimiterHint : 0
; COMPUTE_PGM_RSRC2:SCRATCH_EN: 0
; COMPUTE_PGM_RSRC2:USER_SGPR: 2
; COMPUTE_PGM_RSRC2:TRAP_HANDLER: 0
; COMPUTE_PGM_RSRC2:TGID_X_EN: 1
; COMPUTE_PGM_RSRC2:TGID_Y_EN: 0
; COMPUTE_PGM_RSRC2:TGID_Z_EN: 0
; COMPUTE_PGM_RSRC2:TIDIG_COMP_CNT: 0
	.section	.text._ZN9rocsolver6v33100L16reset_batch_infoIfiiPfEEvT2_lT0_T1_,"axG",@progbits,_ZN9rocsolver6v33100L16reset_batch_infoIfiiPfEEvT2_lT0_T1_,comdat
	.globl	_ZN9rocsolver6v33100L16reset_batch_infoIfiiPfEEvT2_lT0_T1_ ; -- Begin function _ZN9rocsolver6v33100L16reset_batch_infoIfiiPfEEvT2_lT0_T1_
	.p2align	8
	.type	_ZN9rocsolver6v33100L16reset_batch_infoIfiiPfEEvT2_lT0_T1_,@function
_ZN9rocsolver6v33100L16reset_batch_infoIfiiPfEEvT2_lT0_T1_: ; @_ZN9rocsolver6v33100L16reset_batch_infoIfiiPfEEvT2_lT0_T1_
; %bb.0:
	s_clause 0x1
	s_load_b32 s4, s[0:1], 0x24
	s_load_b64 s[2:3], s[0:1], 0x10
	s_wait_kmcnt 0x0
	s_and_b32 s4, s4, 0xffff
	s_delay_alu instid0(SALU_CYCLE_1) | instskip(NEXT) | instid1(VALU_DEP_1)
	v_mad_co_u64_u32 v[0:1], null, ttmp9, s4, v[0:1]
	v_cmp_gt_i32_e32 vcc_lo, s2, v0
	s_and_saveexec_b32 s2, vcc_lo
	s_cbranch_execz .LBB2_2
; %bb.1:
	s_load_b128 s[4:7], s[0:1], 0x0
	v_ashrrev_i32_e32 v1, 31, v0
	s_mov_b32 s8, ttmp7
	s_ashr_i32 s9, ttmp7, 31
	s_cvt_f32_i32 s2, s3
	s_delay_alu instid0(VALU_DEP_1) | instskip(SKIP_1) | instid1(SALU_CYCLE_1)
	v_lshlrev_b64_e32 v[0:1], 2, v[0:1]
	s_wait_alu 0xfffe
	v_mov_b32_e32 v2, s2
	s_wait_kmcnt 0x0
	s_mul_u64 s[0:1], s[6:7], s[8:9]
	s_wait_alu 0xfffe
	s_lshl_b64 s[0:1], s[0:1], 2
	s_wait_alu 0xfffe
	s_add_nc_u64 s[0:1], s[4:5], s[0:1]
	s_wait_alu 0xfffe
	v_add_co_u32 v0, vcc_lo, s0, v0
	s_delay_alu instid0(VALU_DEP_1)
	v_add_co_ci_u32_e64 v1, null, s1, v1, vcc_lo
	global_store_b32 v[0:1], v2, off
.LBB2_2:
	s_endpgm
	.section	.rodata,"a",@progbits
	.p2align	6, 0x0
	.amdhsa_kernel _ZN9rocsolver6v33100L16reset_batch_infoIfiiPfEEvT2_lT0_T1_
		.amdhsa_group_segment_fixed_size 0
		.amdhsa_private_segment_fixed_size 0
		.amdhsa_kernarg_size 280
		.amdhsa_user_sgpr_count 2
		.amdhsa_user_sgpr_dispatch_ptr 0
		.amdhsa_user_sgpr_queue_ptr 0
		.amdhsa_user_sgpr_kernarg_segment_ptr 1
		.amdhsa_user_sgpr_dispatch_id 0
		.amdhsa_user_sgpr_private_segment_size 0
		.amdhsa_wavefront_size32 1
		.amdhsa_uses_dynamic_stack 0
		.amdhsa_enable_private_segment 0
		.amdhsa_system_sgpr_workgroup_id_x 1
		.amdhsa_system_sgpr_workgroup_id_y 1
		.amdhsa_system_sgpr_workgroup_id_z 0
		.amdhsa_system_sgpr_workgroup_info 0
		.amdhsa_system_vgpr_workitem_id 0
		.amdhsa_next_free_vgpr 3
		.amdhsa_next_free_sgpr 10
		.amdhsa_reserve_vcc 1
		.amdhsa_float_round_mode_32 0
		.amdhsa_float_round_mode_16_64 0
		.amdhsa_float_denorm_mode_32 3
		.amdhsa_float_denorm_mode_16_64 3
		.amdhsa_fp16_overflow 0
		.amdhsa_workgroup_processor_mode 1
		.amdhsa_memory_ordered 1
		.amdhsa_forward_progress 1
		.amdhsa_inst_pref_size 2
		.amdhsa_round_robin_scheduling 0
		.amdhsa_exception_fp_ieee_invalid_op 0
		.amdhsa_exception_fp_denorm_src 0
		.amdhsa_exception_fp_ieee_div_zero 0
		.amdhsa_exception_fp_ieee_overflow 0
		.amdhsa_exception_fp_ieee_underflow 0
		.amdhsa_exception_fp_ieee_inexact 0
		.amdhsa_exception_int_div_zero 0
	.end_amdhsa_kernel
	.section	.text._ZN9rocsolver6v33100L16reset_batch_infoIfiiPfEEvT2_lT0_T1_,"axG",@progbits,_ZN9rocsolver6v33100L16reset_batch_infoIfiiPfEEvT2_lT0_T1_,comdat
.Lfunc_end2:
	.size	_ZN9rocsolver6v33100L16reset_batch_infoIfiiPfEEvT2_lT0_T1_, .Lfunc_end2-_ZN9rocsolver6v33100L16reset_batch_infoIfiiPfEEvT2_lT0_T1_
                                        ; -- End function
	.set _ZN9rocsolver6v33100L16reset_batch_infoIfiiPfEEvT2_lT0_T1_.num_vgpr, 3
	.set _ZN9rocsolver6v33100L16reset_batch_infoIfiiPfEEvT2_lT0_T1_.num_agpr, 0
	.set _ZN9rocsolver6v33100L16reset_batch_infoIfiiPfEEvT2_lT0_T1_.numbered_sgpr, 10
	.set _ZN9rocsolver6v33100L16reset_batch_infoIfiiPfEEvT2_lT0_T1_.num_named_barrier, 0
	.set _ZN9rocsolver6v33100L16reset_batch_infoIfiiPfEEvT2_lT0_T1_.private_seg_size, 0
	.set _ZN9rocsolver6v33100L16reset_batch_infoIfiiPfEEvT2_lT0_T1_.uses_vcc, 1
	.set _ZN9rocsolver6v33100L16reset_batch_infoIfiiPfEEvT2_lT0_T1_.uses_flat_scratch, 0
	.set _ZN9rocsolver6v33100L16reset_batch_infoIfiiPfEEvT2_lT0_T1_.has_dyn_sized_stack, 0
	.set _ZN9rocsolver6v33100L16reset_batch_infoIfiiPfEEvT2_lT0_T1_.has_recursion, 0
	.set _ZN9rocsolver6v33100L16reset_batch_infoIfiiPfEEvT2_lT0_T1_.has_indirect_call, 0
	.section	.AMDGPU.csdata,"",@progbits
; Kernel info:
; codeLenInByte = 160
; TotalNumSgprs: 12
; NumVgprs: 3
; ScratchSize: 0
; MemoryBound: 0
; FloatMode: 240
; IeeeMode: 1
; LDSByteSize: 0 bytes/workgroup (compile time only)
; SGPRBlocks: 0
; VGPRBlocks: 0
; NumSGPRsForWavesPerEU: 12
; NumVGPRsForWavesPerEU: 3
; Occupancy: 16
; WaveLimiterHint : 0
; COMPUTE_PGM_RSRC2:SCRATCH_EN: 0
; COMPUTE_PGM_RSRC2:USER_SGPR: 2
; COMPUTE_PGM_RSRC2:TRAP_HANDLER: 0
; COMPUTE_PGM_RSRC2:TGID_X_EN: 1
; COMPUTE_PGM_RSRC2:TGID_Y_EN: 1
; COMPUTE_PGM_RSRC2:TGID_Z_EN: 0
; COMPUTE_PGM_RSRC2:TIDIG_COMP_CNT: 0
	.section	.text._ZN9rocsolver6v33100L12sterf_kernelIfEEviPT_lS3_lPiS4_iS2_S2_S2_,"axG",@progbits,_ZN9rocsolver6v33100L12sterf_kernelIfEEviPT_lS3_lPiS4_iS2_S2_S2_,comdat
	.globl	_ZN9rocsolver6v33100L12sterf_kernelIfEEviPT_lS3_lPiS4_iS2_S2_S2_ ; -- Begin function _ZN9rocsolver6v33100L12sterf_kernelIfEEviPT_lS3_lPiS4_iS2_S2_S2_
	.p2align	8
	.type	_ZN9rocsolver6v33100L12sterf_kernelIfEEviPT_lS3_lPiS4_iS2_S2_S2_,@function
_ZN9rocsolver6v33100L12sterf_kernelIfEEviPT_lS3_lPiS4_iS2_S2_S2_: ; @_ZN9rocsolver6v33100L12sterf_kernelIfEEviPT_lS3_lPiS4_iS2_S2_S2_
; %bb.0:
	s_clause 0x2
	s_load_b256 s[4:11], s[0:1], 0x8
	s_load_b32 s33, s[0:1], 0x0
	s_load_b128 s[12:15], s[0:1], 0x38
	s_mov_b32 s16, ttmp9
	s_ashr_i32 s17, ttmp9, 31
	s_wait_kmcnt 0x0
	s_mul_u64 s[2:3], s[6:7], s[16:17]
	s_mul_u64 s[6:7], s[10:11], s[16:17]
	s_min_i32 s18, s33, s12
	s_lshl_b64 s[10:11], s[2:3], 2
	s_lshl_b64 s[2:3], s[6:7], 2
	s_cmp_lt_i32 s18, 1
	s_add_nc_u64 s[6:7], s[4:5], s[10:11]
	s_add_nc_u64 s[10:11], s[8:9], s[2:3]
	s_cbranch_scc1 .LBB3_147
; %bb.1:
	v_mov_b32_e32 v0, 0
	s_add_nc_u64 s[8:9], s[8:9], s[2:3]
	s_mul_f32 s55, s13, s13
	s_mov_b32 s24, 0x667f3bcd
	s_add_co_i32 s54, s33, -1
	s_add_nc_u64 s[18:19], s[8:9], -4
	s_add_nc_u64 s[20:21], s[6:7], 4
	s_add_nc_u64 s[22:23], s[8:9], 4
	s_mov_b32 s56, 0
	s_mov_b32 s25, 0x3ff6a09e
	;; [unrolled: 1-line block ×4, first 2 shown]
	s_branch .LBB3_3
.LBB3_2:                                ;   in Loop: Header=BB3_3 Depth=1
	s_wait_alu 0xfffe
	s_and_not1_b32 vcc_lo, exec_lo, s2
	s_wait_alu 0xfffe
	s_cbranch_vccz .LBB3_20
.LBB3_3:                                ; =>This Loop Header: Depth=1
                                        ;     Child Loop BB3_8 Depth 2
                                        ;     Child Loop BB3_16 Depth 2
	;; [unrolled: 1-line block ×6, first 2 shown]
                                        ;       Child Loop BB3_46 Depth 3
                                        ;       Child Loop BB3_58 Depth 3
                                        ;     Child Loop BB3_102 Depth 2
                                        ;       Child Loop BB3_105 Depth 3
                                        ;       Child Loop BB3_117 Depth 3
                                        ;     Child Loop BB3_93 Depth 2
                                        ;     Child Loop BB3_97 Depth 2
	s_wait_alu 0xfffe
	s_mov_b32 s26, s27
	s_cmp_lt_i32 s27, 1
	s_cbranch_scc1 .LBB3_5
; %bb.4:                                ;   in Loop: Header=BB3_3 Depth=1
	s_mov_b32 s27, s56
	s_wait_alu 0xfffe
	s_lshl_b64 s[2:3], s[26:27], 2
	s_wait_alu 0xfffe
	s_add_nc_u64 s[2:3], s[10:11], s[2:3]
	global_store_b32 v0, v0, s[2:3] offset:-4
.LBB3_5:                                ;   in Loop: Header=BB3_3 Depth=1
	s_wait_alu 0xfffe
	s_ashr_i32 s27, s26, 31
	s_mov_b32 s28, s26
	s_wait_alu 0xfffe
	s_lshl_b64 s[30:31], s[26:27], 2
	s_delay_alu instid0(SALU_CYCLE_1)
	s_add_nc_u64 s[2:3], s[18:19], s[30:31]
	s_add_nc_u64 s[4:5], s[20:21], s[30:31]
	s_mov_b32 s29, -1
	s_cmp_ge_i32 s28, s54
	s_mov_b32 s34, -1
                                        ; implicit-def: $sgpr27
	s_cbranch_scc1 .LBB3_8
	s_branch .LBB3_7
.LBB3_6:                                ;   in Loop: Header=BB3_8 Depth=2
	s_mov_b32 s28, s27
	s_mov_b32 s29, -1
	s_wait_alu 0xfffe
	s_cmp_ge_i32 s28, s54
	s_mov_b32 s34, -1
                                        ; implicit-def: $sgpr27
	s_cbranch_scc1 .LBB3_8
.LBB3_7:                                ;   in Loop: Header=BB3_3 Depth=1
	s_clause 0x1
	global_load_b64 v[1:2], v0, s[4:5] offset:-4
	global_load_b32 v3, v0, s[2:3] offset:4
	s_wait_alu 0xfffe
	s_add_nc_u64 s[2:3], s[2:3], 4
	s_add_nc_u64 s[4:5], s[4:5], 4
	s_wait_loadcnt 0x1
	v_readfirstlane_b32 s27, v2
	s_bitset0_b32 s27, 31
	s_wait_alu 0xfffe
	s_mul_f32 s29, s27, 0x4f800000
	s_cmp_lt_f32 s27, 0xf800000
	s_wait_alu 0xfffe
	s_delay_alu instid0(SALU_CYCLE_1) | instskip(SKIP_3) | instid1(TRANS32_DEP_1)
	s_cselect_b32 s29, s29, s27
	s_wait_alu 0xfffe
	v_s_sqrt_f32 s34, s29
	s_mov_b32 s36, s29
	s_add_co_i32 s35, s34, -1
	s_delay_alu instid0(SALU_CYCLE_1) | instskip(NEXT) | instid1(SALU_CYCLE_1)
	s_xor_b32 s37, s35, 0x80000000
	s_fmac_f32 s36, s37, s34
	s_mov_b32 s37, s29
	s_delay_alu instid0(SALU_CYCLE_2) | instskip(SKIP_2) | instid1(SALU_CYCLE_1)
	s_cmp_le_f32 s36, 0
	s_cselect_b32 s35, s35, s34
	s_add_co_i32 s36, s34, 1
	s_xor_b32 s38, s36, 0x80000000
	s_wait_alu 0xfffe
	s_fmac_f32 s37, s38, s34
	v_readfirstlane_b32 s34, v1
	s_wait_loadcnt 0x0
	v_and_b32_e32 v1, 0x7fffffff, v3
	s_cmp_gt_f32 s37, 0
	s_cselect_b32 s35, s36, s35
	s_cmp_lt_f32 s27, 0xf800000
	s_mul_f32 s27, s35, 0x37800000
	s_wait_alu 0xfffe
	s_delay_alu instid0(SALU_CYCLE_2) | instskip(SKIP_1) | instid1(SALU_CYCLE_1)
	s_cselect_b32 s35, s27, s35
	s_bitset0_b32 s34, 31
	s_mul_f32 s27, s34, 0x4f800000
	s_cmp_lt_f32 s34, 0xf800000
	s_wait_alu 0xfffe
	s_delay_alu instid0(SALU_CYCLE_1) | instskip(SKIP_3) | instid1(TRANS32_DEP_1)
	s_cselect_b32 s27, s27, s34
	s_wait_alu 0xfffe
	v_s_sqrt_f32 s36, s27
	s_mov_b32 s38, s27
	s_add_co_i32 s37, s36, -1
	s_delay_alu instid0(SALU_CYCLE_1) | instskip(SKIP_4) | instid1(SALU_CYCLE_1)
	s_xor_b32 s39, s37, 0x80000000
	s_wait_alu 0xfffe
	s_fmac_f32 s38, s39, s36
	s_mov_b32 s39, s27
	s_wait_alu 0xfffe
	s_cmp_le_f32 s38, 0
	s_cselect_b32 s37, s37, s36
	s_add_co_i32 s38, s36, 1
	s_wait_alu 0xfffe
	s_xor_b32 s40, s38, 0x80000000
	s_wait_alu 0xfffe
	s_fmac_f32 s39, s40, s36
	v_cmp_class_f32_e64 s36, s27, 0x260
	s_wait_alu 0xfffe
	s_delay_alu instid0(SALU_CYCLE_1) | instskip(SKIP_4) | instid1(SALU_CYCLE_2)
	s_cmp_gt_f32 s39, 0
	s_cselect_b32 s37, s38, s37
	s_cmp_lt_f32 s34, 0xf800000
	s_mul_f32 s34, s37, 0x37800000
	v_cmp_class_f32_e64 s38, s29, 0x260
	s_cselect_b32 s34, s34, s37
	s_and_b32 s36, s36, exec_lo
	s_cselect_b32 s34, s27, s34
	s_add_co_i32 s27, s28, 1
	s_and_b32 s36, s38, exec_lo
	s_cselect_b32 s29, s29, s35
	s_wait_alu 0xfffe
	s_mul_f32 s29, s34, s29
	s_wait_alu 0xfffe
	s_delay_alu instid0(SALU_CYCLE_2) | instskip(SKIP_1) | instid1(SALU_CYCLE_2)
	s_mul_f32 s29, s13, s29
	s_wait_alu 0xfffe
	v_cmp_ge_f32_e64 s34, s29, v1
	s_mov_b32 s29, 0
.LBB3_8:                                ;   Parent Loop BB3_3 Depth=1
                                        ; =>  This Inner Loop Header: Depth=2
	s_and_not1_b32 vcc_lo, exec_lo, s34
	s_wait_alu 0xfffe
	s_cbranch_vccnz .LBB3_6
; %bb.9:                                ;   in Loop: Header=BB3_3 Depth=1
	s_and_not1_b32 vcc_lo, exec_lo, s29
	s_mov_b32 s4, -1
	s_wait_alu 0xfffe
	s_cbranch_vccz .LBB3_11
; %bb.10:                               ;   in Loop: Header=BB3_3 Depth=1
	global_store_b32 v0, v0, s[2:3]
	s_cbranch_execnz .LBB3_13
	s_branch .LBB3_12
.LBB3_11:                               ;   in Loop: Header=BB3_3 Depth=1
	s_and_not1_b32 vcc_lo, exec_lo, s4
	s_wait_alu 0xfffe
	s_cbranch_vccnz .LBB3_13
.LBB3_12:                               ;   in Loop: Header=BB3_3 Depth=1
	s_max_i32 s28, s26, s54
	s_wait_alu 0xfffe
	s_add_co_i32 s27, s28, 1
.LBB3_13:                               ;   in Loop: Header=BB3_3 Depth=1
	s_mov_b32 s36, -1
	s_cmp_lg_u32 s28, s26
	s_mov_b32 s2, -1
                                        ; implicit-def: $sgpr34_sgpr35
                                        ; implicit-def: $vgpr1
                                        ; implicit-def: $sgpr38
                                        ; implicit-def: $sgpr29
	s_cbranch_scc0 .LBB3_18
; %bb.14:                               ;   in Loop: Header=BB3_3 Depth=1
	s_ashr_i32 s29, s28, 31
	s_wait_alu 0xfffe
	s_lshl_b64 s[2:3], s[28:29], 2
	s_wait_alu 0xfffe
	s_add_nc_u64 s[34:35], s[6:7], s[2:3]
	global_load_b32 v1, v0, s[34:35]
	s_wait_loadcnt 0x0
	v_readfirstlane_b32 s2, v1
	s_and_b32 s29, s2, 0x7fffffff
	s_cmp_lt_i32 s26, s28
	s_cselect_b32 s38, -1, 0
	s_cmp_ge_i32 s26, s28
	s_cbranch_scc1 .LBB3_17
; %bb.15:                               ;   in Loop: Header=BB3_3 Depth=1
	s_add_nc_u64 s[2:3], s[6:7], s[30:31]
	s_add_nc_u64 s[4:5], s[8:9], s[30:31]
	s_mov_b32 s37, s26
.LBB3_16:                               ;   Parent Loop BB3_3 Depth=1
                                        ; =>  This Inner Loop Header: Depth=2
	s_clause 0x1
	global_load_b32 v2, v0, s[2:3]
	global_load_b32 v3, v0, s[4:5]
	s_add_co_i32 s37, s37, 1
	s_wait_alu 0xfffe
	s_add_nc_u64 s[2:3], s[2:3], 4
	s_cmp_lt_i32 s37, s28
	s_add_nc_u64 s[4:5], s[4:5], 4
	s_wait_loadcnt 0x0
	v_max3_num_f32 v2, s29, |v2|, |v3|
	s_delay_alu instid0(VALU_DEP_1)
	v_readfirstlane_b32 s29, v2
	s_cbranch_scc1 .LBB3_16
.LBB3_17:                               ;   in Loop: Header=BB3_3 Depth=1
	s_wait_alu 0xfffe
	s_cmp_eq_f32 s29, 0
	s_cselect_b32 s2, -1, 0
	s_wait_alu 0xfffe
	s_and_b32 vcc_lo, exec_lo, s2
	s_mov_b32 s2, -1
	s_wait_alu 0xfffe
	s_cbranch_vccz .LBB3_2
	s_branch .LBB3_19
.LBB3_18:                               ;   in Loop: Header=BB3_3 Depth=1
	s_wait_alu 0xfffe
	s_and_b32 vcc_lo, exec_lo, s2
	s_mov_b32 s2, -1
	s_wait_alu 0xfffe
	s_cbranch_vccz .LBB3_2
.LBB3_19:                               ;   in Loop: Header=BB3_3 Depth=1
	s_wait_alu 0xfffe
	s_cmp_ge_i32 s27, s33
	s_mov_b32 s36, 0
	s_cselect_b32 s2, -1, 0
	s_branch .LBB3_2
.LBB3_20:                               ;   in Loop: Header=BB3_3 Depth=1
	s_and_b32 vcc_lo, exec_lo, s36
	s_mov_b32 s2, -1
                                        ; implicit-def: $sgpr60
	s_wait_alu 0xfffe
	s_cbranch_vccz .LBB3_99
; %bb.21:                               ;   in Loop: Header=BB3_3 Depth=1
	s_cmp_gt_f32 s29, s15
	s_add_nc_u64 s[36:37], s[6:7], s[30:31]
	s_cselect_b32 s58, -1, 0
	s_cmp_ngt_f32 s29, s15
	s_cbranch_scc0 .LBB3_27
; %bb.22:                               ;   in Loop: Header=BB3_3 Depth=1
	s_cmp_lt_f32 s29, s14
	s_cbranch_scc0 .LBB3_28
; %bb.23:                               ;   in Loop: Header=BB3_3 Depth=1
	v_div_scale_f32 v2, null, s14, s14, s29
	v_div_scale_f32 v5, vcc_lo, s29, s14, s29
	s_mov_b32 s2, 0
	v_rcp_f32_e32 v3, v2
	v_xor_b32_e32 v2, 0x80000000, v2
	s_delay_alu instid0(TRANS32_DEP_1) | instid1(VALU_DEP_1)
	v_fma_f32 v4, v2, v3, 1.0
	s_delay_alu instid0(VALU_DEP_1) | instskip(NEXT) | instid1(VALU_DEP_1)
	v_fmac_f32_e32 v3, v4, v3
	v_mul_f32_e32 v4, v5, v3
	s_delay_alu instid0(VALU_DEP_1) | instskip(NEXT) | instid1(VALU_DEP_1)
	v_fma_f32 v6, v2, v4, v5
	v_fmac_f32_e32 v4, v6, v3
	s_delay_alu instid0(VALU_DEP_1) | instskip(SKIP_1) | instid1(VALU_DEP_1)
	v_fmac_f32_e32 v5, v2, v4
	s_wait_alu 0xfffd
	v_div_fmas_f32 v2, v5, v3, v4
	s_and_b32 vcc_lo, exec_lo, s38
	s_delay_alu instid0(VALU_DEP_1) | instskip(NEXT) | instid1(VALU_DEP_1)
	v_div_fixup_f32 v2, v2, s14, s29
	v_mul_f32_e32 v3, v1, v2
	global_store_b32 v0, v3, s[34:35]
	s_wait_alu 0xfffe
	s_cbranch_vccz .LBB3_28
; %bb.24:                               ;   in Loop: Header=BB3_3 Depth=1
	s_add_nc_u64 s[2:3], s[6:7], s[30:31]
	s_add_nc_u64 s[4:5], s[8:9], s[30:31]
	s_mov_b32 s39, s26
.LBB3_25:                               ;   Parent Loop BB3_3 Depth=1
                                        ; =>  This Inner Loop Header: Depth=2
	global_load_b32 v3, v0, s[2:3]
	s_wait_alu 0xfffe
	s_add_co_i32 s39, s39, 1
	s_wait_alu 0xfffe
	s_cmp_lt_i32 s39, s28
	s_wait_loadcnt 0x0
	v_mul_f32_e32 v3, v2, v3
	global_store_b32 v0, v3, s[2:3]
	global_load_b32 v3, v0, s[4:5]
	s_add_nc_u64 s[2:3], s[2:3], 4
	s_wait_loadcnt 0x0
	v_mul_f32_e32 v3, v2, v3
	global_store_b32 v0, v3, s[4:5]
	s_add_nc_u64 s[4:5], s[4:5], 4
	s_cbranch_scc1 .LBB3_25
; %bb.26:                               ;   in Loop: Header=BB3_3 Depth=1
	s_mov_b32 s2, -1
	s_branch .LBB3_33
.LBB3_27:                               ;   in Loop: Header=BB3_3 Depth=1
	s_mov_b32 s2, 0
	s_cbranch_execnz .LBB3_29
	s_branch .LBB3_33
.LBB3_28:                               ;   in Loop: Header=BB3_3 Depth=1
	s_branch .LBB3_33
.LBB3_29:                               ;   in Loop: Header=BB3_3 Depth=1
	v_div_scale_f32 v2, null, s15, s15, s29
	v_div_scale_f32 v5, vcc_lo, s29, s15, s29
	s_delay_alu instid0(VALU_DEP_2)
	v_rcp_f32_e32 v3, v2
	v_xor_b32_e32 v2, 0x80000000, v2
	s_delay_alu instid0(TRANS32_DEP_1) | instid1(VALU_DEP_1)
	v_fma_f32 v4, v2, v3, 1.0
	s_delay_alu instid0(VALU_DEP_1) | instskip(NEXT) | instid1(VALU_DEP_1)
	v_fmac_f32_e32 v3, v4, v3
	v_mul_f32_e32 v4, v5, v3
	s_delay_alu instid0(VALU_DEP_1) | instskip(NEXT) | instid1(VALU_DEP_1)
	v_fma_f32 v6, v2, v4, v5
	v_fmac_f32_e32 v4, v6, v3
	s_delay_alu instid0(VALU_DEP_1) | instskip(SKIP_1) | instid1(VALU_DEP_1)
	v_fmac_f32_e32 v5, v2, v4
	s_wait_alu 0xfffd
	v_div_fmas_f32 v2, v5, v3, v4
	s_and_b32 vcc_lo, exec_lo, s38
	s_delay_alu instid0(VALU_DEP_1) | instskip(NEXT) | instid1(VALU_DEP_1)
	v_div_fixup_f32 v2, v2, s15, s29
	v_mul_f32_e32 v1, v1, v2
	global_store_b32 v0, v1, s[34:35]
	s_wait_alu 0xfffe
	s_cbranch_vccz .LBB3_33
; %bb.30:                               ;   in Loop: Header=BB3_3 Depth=1
	s_add_nc_u64 s[2:3], s[6:7], s[30:31]
	s_add_nc_u64 s[4:5], s[8:9], s[30:31]
	s_mov_b32 s39, s26
.LBB3_31:                               ;   Parent Loop BB3_3 Depth=1
                                        ; =>  This Inner Loop Header: Depth=2
	global_load_b32 v1, v0, s[2:3]
	s_wait_alu 0xfffe
	s_add_co_i32 s39, s39, 1
	s_wait_alu 0xfffe
	s_cmp_ge_i32 s39, s28
	s_wait_loadcnt 0x0
	v_mul_f32_e32 v1, v2, v1
	global_store_b32 v0, v1, s[2:3]
	global_load_b32 v1, v0, s[4:5]
	s_add_nc_u64 s[2:3], s[2:3], 4
	s_wait_loadcnt 0x0
	v_mul_f32_e32 v1, v2, v1
	global_store_b32 v0, v1, s[4:5]
	s_add_nc_u64 s[4:5], s[4:5], 4
	s_cbranch_scc0 .LBB3_31
; %bb.32:                               ;   in Loop: Header=BB3_3 Depth=1
	s_mov_b32 s2, -1
.LBB3_33:                               ;   in Loop: Header=BB3_3 Depth=1
	v_cndmask_b32_e64 v1, 0, 1, s38
	s_wait_alu 0xfffe
	s_and_b32 vcc_lo, exec_lo, s2
	s_delay_alu instid0(VALU_DEP_1)
	v_cmp_ne_u32_e64 s2, 1, v1
	s_wait_alu 0xfffe
	s_cbranch_vccz .LBB3_37
; %bb.34:                               ;   in Loop: Header=BB3_3 Depth=1
	s_and_b32 vcc_lo, exec_lo, s2
	s_wait_alu 0xfffe
	s_cbranch_vccnz .LBB3_37
; %bb.35:                               ;   in Loop: Header=BB3_3 Depth=1
	s_add_nc_u64 s[4:5], s[8:9], s[30:31]
	s_mov_b32 s3, s26
.LBB3_36:                               ;   Parent Loop BB3_3 Depth=1
                                        ; =>  This Inner Loop Header: Depth=2
	global_load_b32 v1, v0, s[4:5]
	s_wait_alu 0xfffe
	s_add_co_i32 s3, s3, 1
	s_wait_alu 0xfffe
	s_cmp_lt_i32 s3, s28
	s_wait_loadcnt 0x0
	v_mul_f32_e32 v1, v1, v1
	global_store_b32 v0, v1, s[4:5]
	s_add_nc_u64 s[4:5], s[4:5], 4
	s_cbranch_scc1 .LBB3_36
.LBB3_37:                               ;   in Loop: Header=BB3_3 Depth=1
	s_clause 0x1
	global_load_b32 v1, v0, s[34:35]
	global_load_b32 v2, v0, s[36:37]
                                        ; implicit-def: $sgpr60
	s_wait_loadcnt 0x1
	v_readfirstlane_b32 s3, v1
	s_wait_loadcnt 0x0
	v_readfirstlane_b32 s4, v2
	s_bitset0_b32 s3, 31
	s_wait_alu 0xfffe
	s_bitset0_b32 s4, 31
	s_wait_alu 0xfffe
	s_cmp_lt_f32 s3, s4
	s_mov_b32 s4, -1
	s_cselect_b32 s59, s26, s28
	s_cselect_b32 s38, s28, s26
	s_cmp_lt_i32 s57, s12
	s_cselect_b32 s3, -1, 0
	s_wait_alu 0xfffe
	s_cmp_lt_i32 s59, s38
	v_cndmask_b32_e64 v1, 0, 1, s3
	s_delay_alu instid0(VALU_DEP_1)
	v_cmp_ne_u32_e64 s3, 1, v1
	s_cbranch_scc1 .LBB3_88
; %bb.38:                               ;   in Loop: Header=BB3_3 Depth=1
	s_and_b32 vcc_lo, exec_lo, s3
	s_mov_b32 s60, s57
	s_mov_b32 s40, s38
	s_wait_alu 0xfffe
	s_cbranch_vccz .LBB3_43
.LBB3_39:                               ;   in Loop: Header=BB3_3 Depth=1
	s_cbranch_execz .LBB3_89
.LBB3_40:                               ;   in Loop: Header=BB3_3 Depth=1
	s_and_not1_b32 vcc_lo, exec_lo, s58
	s_wait_alu 0xfffe
	s_cbranch_vccz .LBB3_91
	s_branch .LBB3_94
.LBB3_41:                               ;   in Loop: Header=BB3_43 Depth=2
	s_wait_alu 0xfffe
	s_cmp_gt_i32 s40, s59
	s_cselect_b32 s4, -1, 0
	s_cmp_ge_i32 s60, s12
	s_cselect_b32 s5, -1, 0
	s_wait_alu 0xfffe
	s_or_b32 s39, s4, s5
.LBB3_42:                               ;   in Loop: Header=BB3_43 Depth=2
	s_wait_alu 0xfffe
	s_and_not1_b32 vcc_lo, exec_lo, s39
	s_wait_alu 0xfffe
	s_cbranch_vccz .LBB3_39
.LBB3_43:                               ;   Parent Loop BB3_3 Depth=1
                                        ; =>  This Loop Header: Depth=2
                                        ;       Child Loop BB3_46 Depth 3
                                        ;       Child Loop BB3_58 Depth 3
	s_ashr_i32 s41, s40, 31
	s_max_i32 s44, s59, s40
	s_wait_alu 0xfffe
	s_lshl_b64 s[46:47], s[40:41], 2
	s_mov_b32 s39, s40
	s_wait_alu 0xfffe
	s_add_nc_u64 s[4:5], s[18:19], s[46:47]
	s_add_nc_u64 s[42:43], s[20:21], s[46:47]
	s_mov_b32 s41, -1
	s_cmp_ge_i32 s39, s59
	s_mov_b32 s48, -1
                                        ; implicit-def: $sgpr45
	s_cbranch_scc1 .LBB3_46
	s_branch .LBB3_45
.LBB3_44:                               ;   in Loop: Header=BB3_46 Depth=3
	s_mov_b32 s39, s45
	s_mov_b32 s41, -1
	s_wait_alu 0xfffe
	s_cmp_ge_i32 s39, s59
	s_mov_b32 s48, -1
                                        ; implicit-def: $sgpr45
	s_cbranch_scc1 .LBB3_46
.LBB3_45:                               ;   in Loop: Header=BB3_43 Depth=2
	s_clause 0x1
	global_load_b64 v[1:2], v0, s[42:43] offset:-4
	global_load_b32 v3, v0, s[4:5] offset:4
	s_wait_alu 0xfffe
	s_add_nc_u64 s[4:5], s[4:5], 4
	s_add_co_i32 s45, s39, 1
	s_add_nc_u64 s[42:43], s[42:43], 4
	s_mov_b32 s41, 0
	s_wait_loadcnt 0x0
	v_dual_mul_f32 v1, v1, v2 :: v_dual_and_b32 v2, 0x7fffffff, v3
	s_delay_alu instid0(VALU_DEP_1) | instskip(NEXT) | instid1(VALU_DEP_1)
	v_and_b32_e32 v1, 0x7fffffff, v1
	v_mul_f32_e32 v1, s55, v1
	s_delay_alu instid0(VALU_DEP_1)
	v_cmp_le_f32_e64 s48, v2, v1
.LBB3_46:                               ;   Parent Loop BB3_3 Depth=1
                                        ;     Parent Loop BB3_43 Depth=2
                                        ; =>    This Inner Loop Header: Depth=3
	s_wait_alu 0xfffe
	s_delay_alu instid0(VALU_DEP_1)
	s_and_not1_b32 vcc_lo, exec_lo, s48
	s_wait_alu 0xfffe
	s_cbranch_vccnz .LBB3_44
; %bb.47:                               ;   in Loop: Header=BB3_43 Depth=2
	s_and_not1_b32 vcc_lo, exec_lo, s41
	s_wait_alu 0xfffe
	s_cbranch_vccz .LBB3_49
; %bb.48:                               ;   in Loop: Header=BB3_43 Depth=2
	s_mov_b32 s44, s39
	global_store_b32 v0, v0, s[4:5]
.LBB3_49:                               ;   in Loop: Header=BB3_43 Depth=2
	s_add_co_i32 s4, s40, 1
	s_wait_alu 0xfffe
	s_cmp_eq_u32 s44, s40
	s_mov_b32 s39, -1
	s_cbranch_scc1 .LBB3_64
; %bb.50:                               ;   in Loop: Header=BB3_43 Depth=2
	s_add_nc_u64 s[42:43], s[6:7], s[46:47]
	s_cmp_lg_u32 s44, s4
	global_load_b32 v1, v0, s[42:43]
	s_wait_loadcnt 0x0
	v_readfirstlane_b32 s41, v1
	s_cbranch_scc0 .LBB3_65
; %bb.51:                               ;   in Loop: Header=BB3_43 Depth=2
	s_mov_b32 s61, 0
	s_cmp_lg_u32 s60, s12
	s_mov_b32 s5, s12
	s_mov_b32 s4, 0
	s_cbranch_scc0 .LBB3_66
; %bb.52:                               ;   in Loop: Header=BB3_43 Depth=2
	s_add_nc_u64 s[48:49], s[10:11], s[46:47]
	s_clause 0x1
	global_load_b32 v1, v0, s[48:49]
	global_load_b32 v2, v0, s[42:43] offset:4
	s_wait_loadcnt 0x1
	v_readfirstlane_b32 s4, v1
	v_cmp_gt_f32_e32 vcc_lo, 0xf800000, v1
	s_wait_loadcnt 0x0
	v_subrev_f32_e32 v2, s41, v2
	s_wait_alu 0xfffe
	s_mul_f32 s5, s4, 0x4f800000
	s_cmp_lt_f32 s4, 0xf800000
	s_wait_alu 0xfffe
	s_delay_alu instid0(SALU_CYCLE_1) | instskip(SKIP_3) | instid1(TRANS32_DEP_1)
	s_cselect_b32 s4, s5, s4
	s_wait_alu 0xfffe
	v_s_sqrt_f32 s5, s4
	s_mov_b32 s50, s4
	s_add_co_i32 s45, s5, -1
	s_wait_alu 0xfffe
	s_xor_b32 s51, s45, 0x80000000
	s_wait_alu 0xfffe
	s_fmac_f32 s50, s51, s5
	s_mov_b32 s51, s4
	s_wait_alu 0xfffe
	s_delay_alu instid0(SALU_CYCLE_1)
	s_cmp_le_f32 s50, 0
	s_cselect_b32 s45, s45, s5
	s_add_co_i32 s50, s5, 1
	s_wait_alu 0xfffe
	s_xor_b32 s52, s50, 0x80000000
	s_wait_alu 0xfffe
	s_fmac_f32 s51, s52, s5
	s_wait_alu 0xfffe
	s_delay_alu instid0(SALU_CYCLE_2) | instskip(SKIP_4) | instid1(SALU_CYCLE_2)
	s_cmp_gt_f32 s51, 0
	s_cselect_b32 s5, s50, s45
	s_wait_alu 0xfffe
	s_mul_f32 s45, s5, 0x37800000
	s_wait_alu 0xfffe
	v_mov_b32_e32 v3, s45
	s_wait_alu 0xfffd
	s_delay_alu instid0(VALU_DEP_1) | instskip(SKIP_2) | instid1(VALU_DEP_1)
	v_cndmask_b32_e32 v1, s5, v3, vcc_lo
	v_cmp_class_f32_e64 s5, s4, 0x260
	s_wait_alu 0xf1ff
	v_cndmask_b32_e64 v1, v1, s4, s5
	s_delay_alu instid0(VALU_DEP_1) | instskip(NEXT) | instid1(VALU_DEP_1)
	v_add_f32_e32 v3, v1, v1
	v_div_scale_f32 v4, null, v3, v3, v2
	v_div_scale_f32 v7, vcc_lo, v2, v3, v2
	s_delay_alu instid0(VALU_DEP_2)
	v_rcp_f32_e32 v5, v4
	v_xor_b32_e32 v4, 0x80000000, v4
	s_delay_alu instid0(TRANS32_DEP_1) | instid1(VALU_DEP_1)
	v_fma_f32 v6, v4, v5, 1.0
	s_delay_alu instid0(VALU_DEP_1) | instskip(NEXT) | instid1(VALU_DEP_1)
	v_fmac_f32_e32 v5, v6, v5
	v_mul_f32_e32 v6, v7, v5
	s_delay_alu instid0(VALU_DEP_1) | instskip(NEXT) | instid1(VALU_DEP_1)
	v_fma_f32 v8, v4, v6, v7
	v_fmac_f32_e32 v6, v8, v5
	s_delay_alu instid0(VALU_DEP_1) | instskip(SKIP_1) | instid1(VALU_DEP_1)
	v_fmac_f32_e32 v7, v4, v6
	s_wait_alu 0xfffd
	v_div_fmas_f32 v4, v7, v5, v6
	s_delay_alu instid0(VALU_DEP_1) | instskip(NEXT) | instid1(VALU_DEP_1)
	v_div_fixup_f32 v2, v4, v3, v2
	v_readfirstlane_b32 s4, v2
	v_cmp_nle_f32_e32 vcc_lo, 0, v2
	s_fmaak_f32 s4, s4, s4, 0x3f800000
	s_wait_alu 0xfffe
	s_delay_alu instid0(SALU_CYCLE_2) | instskip(SKIP_2) | instid1(SALU_CYCLE_1)
	s_mul_f32 s5, s4, 0x4f800000
	s_cmp_lt_f32 s4, 0xf800000
	s_wait_alu 0xfffe
	s_cselect_b32 s5, s5, s4
	s_wait_alu 0xfffe
	v_s_sqrt_f32 s45, s5
	s_mov_b32 s51, s5
	s_delay_alu instid0(TRANS32_DEP_1)
	s_add_co_i32 s50, s45, -1
	s_wait_alu 0xfffe
	s_xor_b32 s52, s50, 0x80000000
	s_wait_alu 0xfffe
	s_fmac_f32 s51, s52, s45
	s_mov_b32 s52, s5
	s_wait_alu 0xfffe
	s_delay_alu instid0(SALU_CYCLE_1)
	s_cmp_le_f32 s51, 0
	s_cselect_b32 s50, s50, s45
	s_add_co_i32 s51, s45, 1
	s_wait_alu 0xfffe
	s_xor_b32 s53, s51, 0x80000000
	s_wait_alu 0xfffe
	s_fmac_f32 s52, s53, s45
	v_cmp_class_f32_e64 s45, s5, 0x260
	s_wait_alu 0xfffe
	s_delay_alu instid0(SALU_CYCLE_1)
	s_cmp_gt_f32 s52, 0
	s_cselect_b32 s50, s51, s50
	s_cmp_lt_f32 s4, 0xf800000
	s_wait_alu 0xfffe
	s_mul_f32 s4, s50, 0x37800000
	s_wait_alu 0xfffe
	s_delay_alu instid0(SALU_CYCLE_2)
	s_cselect_b32 s4, s4, s50
	s_and_b32 s45, s45, exec_lo
	s_wait_alu 0xfffe
	s_cselect_b32 s52, s5, s4
	s_ashr_i32 s45, s44, 31
	s_wait_alu 0xfffe
	s_lshl_b64 s[4:5], s[44:45], 2
	s_or_b32 s45, s52, 0x80000000
	s_wait_alu 0xfffe
	s_add_nc_u64 s[50:51], s[6:7], s[4:5]
	v_mov_b32_e32 v4, s45
	global_load_b32 v3, v0, s[50:51]
	s_bitset0_b32 s52, 31
	s_cmp_le_i32 s44, s40
	s_wait_alu 0xfffc
	v_cndmask_b32_e32 v4, s52, v4, vcc_lo
	s_delay_alu instid0(VALU_DEP_1) | instskip(NEXT) | instid1(VALU_DEP_1)
	v_add_f32_e32 v2, v2, v4
	v_div_scale_f32 v4, null, v2, v2, v1
	v_div_scale_f32 v7, vcc_lo, v1, v2, v1
	s_delay_alu instid0(VALU_DEP_2)
	v_rcp_f32_e32 v5, v4
	v_xor_b32_e32 v4, 0x80000000, v4
	s_delay_alu instid0(TRANS32_DEP_1) | instid1(VALU_DEP_1)
	v_fma_f32 v6, v4, v5, 1.0
	s_delay_alu instid0(VALU_DEP_1) | instskip(NEXT) | instid1(VALU_DEP_1)
	v_fmac_f32_e32 v5, v6, v5
	v_mul_f32_e32 v6, v7, v5
	s_delay_alu instid0(VALU_DEP_1) | instskip(NEXT) | instid1(VALU_DEP_1)
	v_fma_f32 v8, v4, v6, v7
	v_fmac_f32_e32 v6, v8, v5
	s_delay_alu instid0(VALU_DEP_1) | instskip(SKIP_1) | instid1(VALU_DEP_1)
	v_fmac_f32_e32 v7, v4, v6
	s_wait_alu 0xfffd
	v_div_fmas_f32 v4, v7, v5, v6
	s_delay_alu instid0(VALU_DEP_1) | instskip(NEXT) | instid1(VALU_DEP_1)
	v_div_fixup_f32 v1, v4, v2, v1
	v_sub_f32_e32 v1, s41, v1
	s_wait_loadcnt 0x0
	s_delay_alu instid0(VALU_DEP_1) | instskip(NEXT) | instid1(VALU_DEP_1)
	v_dual_sub_f32 v4, v3, v1 :: v_dual_mov_b32 v3, 0
	v_mul_f32_e32 v5, v4, v4
	s_cbranch_scc1 .LBB3_86
; %bb.53:                               ;   in Loop: Header=BB3_43 Depth=2
	s_add_nc_u64 s[4:5], s[10:11], s[4:5]
	s_clause 0x1
	global_load_b32 v2, v0, s[4:5] offset:-4
	global_load_b32 v7, v0, s[50:51] offset:-4
	s_wait_loadcnt 0x1
	v_add_f32_e32 v6, v5, v2
	s_delay_alu instid0(VALU_DEP_1) | instskip(NEXT) | instid1(VALU_DEP_1)
	v_div_scale_f32 v3, null, v6, v6, v5
	v_rcp_f32_e32 v9, v3
	v_xor_b32_e32 v3, 0x80000000, v3
	s_delay_alu instid0(TRANS32_DEP_1) | instid1(VALU_DEP_1)
	v_fma_f32 v11, v3, v9, 1.0
	s_delay_alu instid0(VALU_DEP_1) | instskip(SKIP_3) | instid1(VALU_DEP_3)
	v_fmac_f32_e32 v9, v11, v9
	v_div_scale_f32 v8, null, v6, v6, v2
	v_div_scale_f32 v13, vcc_lo, v5, v6, v5
	v_div_scale_f32 v11, s4, v2, v6, v2
	v_rcp_f32_e32 v10, v8
	v_xor_b32_e32 v8, 0x80000000, v8
	s_delay_alu instid0(TRANS32_DEP_1) | instid1(VALU_DEP_1)
	v_fma_f32 v12, v8, v10, 1.0
	s_delay_alu instid0(VALU_DEP_1) | instskip(SKIP_1) | instid1(VALU_DEP_1)
	v_fmac_f32_e32 v10, v12, v10
	v_mul_f32_e32 v12, v13, v9
	v_fma_f32 v15, v3, v12, v13
	s_delay_alu instid0(VALU_DEP_1) | instskip(NEXT) | instid1(VALU_DEP_1)
	v_fmac_f32_e32 v12, v15, v9
	v_fmac_f32_e32 v13, v3, v12
	v_mul_f32_e32 v14, v11, v10
	s_delay_alu instid0(VALU_DEP_1) | instskip(NEXT) | instid1(VALU_DEP_1)
	v_fma_f32 v16, v8, v14, v11
	v_fmac_f32_e32 v14, v16, v10
	s_delay_alu instid0(VALU_DEP_1)
	v_fmac_f32_e32 v11, v8, v14
	s_wait_alu 0xfffd
	v_div_fmas_f32 v8, v13, v9, v12
	s_wait_alu 0xfffe
	s_mov_b32 vcc_lo, s4
	s_wait_alu 0xfffe
	v_div_fmas_f32 v3, v11, v10, v14
	v_div_fixup_f32 v5, v8, v6, v5
	s_wait_loadcnt 0x0
	v_sub_f32_e32 v8, v7, v1
	s_delay_alu instid0(VALU_DEP_3) | instskip(NEXT) | instid1(VALU_DEP_3)
	v_div_fixup_f32 v3, v3, v6, v2
	v_cmp_eq_f32_e32 vcc_lo, 0, v5
	s_delay_alu instid0(VALU_DEP_2) | instskip(SKIP_1) | instid1(VALU_DEP_1)
	v_mul_f32_e32 v9, v4, v3
	s_and_b32 vcc_lo, exec_lo, vcc_lo
	v_xor_b32_e32 v6, 0x80000000, v9
	s_delay_alu instid0(VALU_DEP_1) | instskip(NEXT) | instid1(VALU_DEP_1)
	v_fmac_f32_e32 v6, v5, v8
	v_sub_f32_e32 v7, v7, v6
	s_delay_alu instid0(VALU_DEP_1)
	v_add_f32_e32 v4, v4, v7
	global_store_b32 v0, v4, s[50:51]
	s_wait_alu 0xfffe
	s_cbranch_vccnz .LBB3_55
; %bb.54:                               ;   in Loop: Header=BB3_43 Depth=2
	v_mul_f32_e32 v2, v6, v6
	s_delay_alu instid0(VALU_DEP_1) | instskip(NEXT) | instid1(VALU_DEP_1)
	v_div_scale_f32 v4, null, v5, v5, v2
	v_rcp_f32_e32 v7, v4
	v_xor_b32_e32 v4, 0x80000000, v4
	s_delay_alu instid0(TRANS32_DEP_1) | instid1(VALU_DEP_1)
	v_fma_f32 v8, v4, v7, 1.0
	s_delay_alu instid0(VALU_DEP_1) | instskip(SKIP_1) | instid1(VALU_DEP_1)
	v_fmac_f32_e32 v7, v8, v7
	v_div_scale_f32 v8, vcc_lo, v2, v5, v2
	v_mul_f32_e32 v9, v8, v7
	s_delay_alu instid0(VALU_DEP_1) | instskip(NEXT) | instid1(VALU_DEP_1)
	v_fma_f32 v10, v4, v9, v8
	v_fmac_f32_e32 v9, v10, v7
	s_delay_alu instid0(VALU_DEP_1) | instskip(SKIP_1) | instid1(VALU_DEP_1)
	v_fmac_f32_e32 v8, v4, v9
	s_wait_alu 0xfffd
	v_div_fmas_f32 v4, v8, v7, v9
	s_delay_alu instid0(VALU_DEP_1)
	v_div_fixup_f32 v2, v4, v5, v2
.LBB3_55:                               ;   in Loop: Header=BB3_43 Depth=2
	s_add_co_i32 s4, s44, -1
	s_wait_alu 0xfffe
	s_cmp_le_i32 s4, s40
	s_cbranch_scc1 .LBB3_84
; %bb.56:                               ;   in Loop: Header=BB3_43 Depth=2
	s_add_co_i32 s4, s44, -2
	s_wait_alu 0xfffe
	s_ashr_i32 s5, s4, 31
	s_wait_alu 0xfffe
	s_lshl_b64 s[4:5], s[4:5], 2
	s_wait_alu 0xfffe
	s_add_nc_u64 s[50:51], s[20:21], s[4:5]
	s_add_nc_u64 s[52:53], s[22:23], s[4:5]
	s_mov_b32 s5, -1
	global_load_b32 v7, v0, s[52:53] offset:-4
	s_wait_alu 0xfffe
	s_cmp_eq_u32 s5, 0
	s_wait_loadcnt 0x0
	v_add_f32_e32 v4, v2, v7
	s_cbranch_scc1 .LBB3_58
.LBB3_57:                               ;   in Loop: Header=BB3_43 Depth=2
	s_delay_alu instid0(VALU_DEP_1)
	v_mul_f32_e32 v3, v3, v4
	global_store_b32 v0, v3, s[52:53]
.LBB3_58:                               ;   Parent Loop BB3_3 Depth=1
                                        ;     Parent Loop BB3_43 Depth=2
                                        ; =>    This Inner Loop Header: Depth=3
	global_load_b32 v9, v0, s[50:51] offset:-4
	v_div_scale_f32 v3, null, v4, v4, v2
	v_div_scale_f32 v8, null, v4, v4, v7
	v_div_scale_f32 v14, vcc_lo, v2, v4, v2
	s_delay_alu instid0(VALU_DEP_3) | instskip(NEXT) | instid1(VALU_DEP_2)
	v_rcp_f32_e32 v10, v3
	v_rcp_f32_e32 v11, v8
	v_xor_b32_e32 v3, 0x80000000, v3
	v_xor_b32_e32 v8, 0x80000000, v8
	s_delay_alu instid0(TRANS32_DEP_2) | instid1(VALU_DEP_2)
	v_fma_f32 v12, v3, v10, 1.0
	s_delay_alu instid0(TRANS32_DEP_1) | instid1(VALU_DEP_2)
	v_fma_f32 v13, v8, v11, 1.0
	s_delay_alu instid0(VALU_DEP_1) | instskip(SKIP_1) | instid1(VALU_DEP_1)
	v_dual_fmac_f32 v10, v12, v10 :: v_dual_fmac_f32 v11, v13, v11
	v_div_scale_f32 v12, s4, v7, v4, v7
	v_mul_f32_e32 v15, v12, v11
	s_delay_alu instid0(VALU_DEP_1) | instskip(NEXT) | instid1(VALU_DEP_1)
	v_fma_f32 v17, v8, v15, v12
	v_fmac_f32_e32 v15, v17, v11
	s_delay_alu instid0(VALU_DEP_1) | instskip(NEXT) | instid1(VALU_DEP_1)
	v_dual_mul_f32 v13, v14, v10 :: v_dual_fmac_f32 v12, v8, v15
	v_fma_f32 v16, v3, v13, v14
	s_delay_alu instid0(VALU_DEP_1) | instskip(NEXT) | instid1(VALU_DEP_1)
	v_fmac_f32_e32 v13, v16, v10
	v_fmac_f32_e32 v14, v3, v13
	s_wait_alu 0xfffd
	s_delay_alu instid0(VALU_DEP_1) | instskip(SKIP_3) | instid1(VALU_DEP_2)
	v_div_fmas_f32 v8, v14, v10, v13
	s_mov_b32 vcc_lo, s4
	s_wait_alu 0xfffe
	v_div_fmas_f32 v3, v12, v11, v15
	v_div_fixup_f32 v8, v8, v4, v2
	s_delay_alu instid0(VALU_DEP_2) | instskip(NEXT) | instid1(VALU_DEP_2)
	v_div_fixup_f32 v3, v3, v4, v7
	v_cmp_eq_f32_e32 vcc_lo, 0, v8
	s_delay_alu instid0(VALU_DEP_2) | instskip(SKIP_1) | instid1(VALU_DEP_1)
	v_mul_f32_e32 v10, v6, v3
	s_and_b32 vcc_lo, exec_lo, vcc_lo
	v_xor_b32_e32 v4, 0x80000000, v10
	s_wait_loadcnt 0x0
	v_sub_f32_e32 v2, v9, v1
	s_delay_alu instid0(VALU_DEP_1) | instskip(NEXT) | instid1(VALU_DEP_1)
	v_fmac_f32_e32 v4, v8, v2
	v_sub_f32_e32 v2, v9, v4
	s_delay_alu instid0(VALU_DEP_1)
	v_add_f32_e32 v2, v6, v2
	global_store_b32 v0, v2, s[50:51]
	s_wait_alu 0xfffe
	s_cbranch_vccz .LBB3_63
; %bb.59:                               ;   in Loop: Header=BB3_58 Depth=3
	v_mul_f32_e32 v2, v5, v7
	s_cbranch_execnz .LBB3_61
.LBB3_60:                               ;   in Loop: Header=BB3_58 Depth=3
	v_mul_f32_e32 v2, v4, v4
	s_delay_alu instid0(VALU_DEP_1) | instskip(NEXT) | instid1(VALU_DEP_1)
	v_div_scale_f32 v5, null, v8, v8, v2
	v_rcp_f32_e32 v6, v5
	v_xor_b32_e32 v5, 0x80000000, v5
	s_delay_alu instid0(TRANS32_DEP_1) | instid1(VALU_DEP_1)
	v_fma_f32 v7, v5, v6, 1.0
	s_delay_alu instid0(VALU_DEP_1) | instskip(SKIP_1) | instid1(VALU_DEP_1)
	v_fmac_f32_e32 v6, v7, v6
	v_div_scale_f32 v7, vcc_lo, v2, v8, v2
	v_mul_f32_e32 v9, v7, v6
	s_delay_alu instid0(VALU_DEP_1) | instskip(NEXT) | instid1(VALU_DEP_1)
	v_fma_f32 v10, v5, v9, v7
	v_fmac_f32_e32 v9, v10, v6
	s_delay_alu instid0(VALU_DEP_1) | instskip(SKIP_1) | instid1(VALU_DEP_1)
	v_fmac_f32_e32 v7, v5, v9
	s_wait_alu 0xfffd
	v_div_fmas_f32 v5, v7, v6, v9
	s_delay_alu instid0(VALU_DEP_1)
	v_div_fixup_f32 v2, v5, v8, v2
.LBB3_61:                               ;   in Loop: Header=BB3_58 Depth=3
	s_add_co_i32 s5, s5, -1
	s_add_nc_u64 s[52:53], s[52:53], -4
	s_wait_alu 0xfffe
	s_add_co_i32 s4, s44, s5
	s_add_nc_u64 s[50:51], s[50:51], -4
	s_wait_alu 0xfffe
	s_cmp_le_i32 s4, s40
	s_cbranch_scc1 .LBB3_85
; %bb.62:                               ;   in Loop: Header=BB3_58 Depth=3
	v_dual_mov_b32 v5, v8 :: v_dual_mov_b32 v6, v4
	global_load_b32 v7, v0, s[52:53] offset:-4
	s_cmp_eq_u32 s5, 0
	s_wait_loadcnt 0x0
	v_add_f32_e32 v4, v2, v7
	s_cbranch_scc0 .LBB3_57
	s_branch .LBB3_58
.LBB3_63:                               ;   in Loop: Header=BB3_58 Depth=3
                                        ; implicit-def: $vgpr2
	s_branch .LBB3_60
.LBB3_64:                               ;   in Loop: Header=BB3_43 Depth=2
	s_mov_b32 s40, s4
	s_cbranch_execnz .LBB3_41
	s_branch .LBB3_42
.LBB3_65:                               ;   in Loop: Header=BB3_43 Depth=2
	s_mov_b32 s61, -1
	s_mov_b32 s4, 0
                                        ; implicit-def: $sgpr5
.LBB3_66:                               ;   in Loop: Header=BB3_43 Depth=2
	s_and_b32 vcc_lo, exec_lo, s61
	s_wait_alu 0xfffe
	s_cbranch_vccz .LBB3_87
.LBB3_67:                               ;   in Loop: Header=BB3_43 Depth=2
	s_add_nc_u64 s[46:47], s[10:11], s[46:47]
	global_load_b32 v1, v0, s[46:47]
	s_wait_loadcnt 0x0
	v_readfirstlane_b32 s4, v1
	s_mul_f32 s5, s4, 0x4f800000
	s_cmp_lt_f32 s4, 0xf800000
	s_wait_alu 0xfffe
	s_delay_alu instid0(SALU_CYCLE_1) | instskip(SKIP_3) | instid1(TRANS32_DEP_1)
	s_cselect_b32 s5, s5, s4
	s_wait_alu 0xfffe
	v_s_sqrt_f32 s45, s5
	s_mov_b32 s49, s5
	s_add_co_i32 s48, s45, -1
	s_wait_alu 0xfffe
	s_xor_b32 s50, s48, 0x80000000
	s_wait_alu 0xfffe
	s_fmac_f32 s49, s50, s45
	s_mov_b32 s50, s5
	s_wait_alu 0xfffe
	s_delay_alu instid0(SALU_CYCLE_1)
	s_cmp_le_f32 s49, 0
	s_cselect_b32 s48, s48, s45
	s_add_co_i32 s49, s45, 1
	s_wait_alu 0xfffe
	s_xor_b32 s51, s49, 0x80000000
	s_wait_alu 0xfffe
	s_fmac_f32 s50, s51, s45
	v_cmp_class_f32_e64 s45, s5, 0x260
	s_wait_alu 0xfffe
	s_delay_alu instid0(SALU_CYCLE_1)
	s_cmp_gt_f32 s50, 0
	s_cselect_b32 s48, s49, s48
	s_cmp_lt_f32 s4, 0xf800000
	s_wait_alu 0xfffe
	s_mul_f32 s4, s48, 0x37800000
	s_wait_alu 0xfffe
	s_delay_alu instid0(SALU_CYCLE_2)
	s_cselect_b32 s4, s4, s48
	s_and_b32 s45, s45, exec_lo
	s_wait_alu 0xfffe
	s_cselect_b32 s5, s5, s4
	s_ashr_i32 s45, s44, 31
	s_wait_alu 0xfffe
	s_add_f32 s50, s5, s5
	s_lshl_b64 s[44:45], s[44:45], 2
	s_wait_alu 0xfffe
	s_add_nc_u64 s[44:45], s[6:7], s[44:45]
	s_and_b32 s51, s50, 0x7fffffff
	global_load_b32 v1, v0, s[44:45]
	s_wait_loadcnt 0x0
	v_readfirstlane_b32 s4, v1
	s_sub_f32 s49, s41, s4
	s_wait_alu 0xfffe
	s_delay_alu instid0(SALU_CYCLE_2)
	s_and_b32 s48, s49, 0x7fffffff
	s_wait_alu 0xfffe
	s_cmp_ngt_f32 s48, s51
	s_cbranch_scc0 .LBB3_70
; %bb.68:                               ;   in Loop: Header=BB3_43 Depth=2
	s_cmp_nlt_f32 s48, s51
	s_cbranch_scc0 .LBB3_71
; %bb.69:                               ;   in Loop: Header=BB3_43 Depth=2
	v_cvt_f64_f32_e32 v[1:2], s51
	s_delay_alu instid0(VALU_DEP_1) | instskip(NEXT) | instid1(VALU_DEP_1)
	v_mul_f64_e32 v[1:2], s[24:25], v[1:2]
	v_cvt_f32_f64_e32 v1, v[1:2]
	s_cbranch_execz .LBB3_72
	s_branch .LBB3_73
.LBB3_70:                               ;   in Loop: Header=BB3_43 Depth=2
                                        ; implicit-def: $vgpr1
	s_branch .LBB3_74
.LBB3_71:                               ;   in Loop: Header=BB3_43 Depth=2
                                        ; implicit-def: $vgpr1
.LBB3_72:                               ;   in Loop: Header=BB3_43 Depth=2
	v_div_scale_f32 v1, null, s51, s51, s48
	v_div_scale_f32 v4, vcc_lo, s48, s51, s48
	s_delay_alu instid0(VALU_DEP_2)
	v_rcp_f32_e32 v2, v1
	v_xor_b32_e32 v1, 0x80000000, v1
	s_delay_alu instid0(TRANS32_DEP_1) | instid1(VALU_DEP_1)
	v_fma_f32 v3, v1, v2, 1.0
	s_delay_alu instid0(VALU_DEP_1) | instskip(NEXT) | instid1(VALU_DEP_1)
	v_fmac_f32_e32 v2, v3, v2
	v_mul_f32_e32 v3, v4, v2
	s_delay_alu instid0(VALU_DEP_1) | instskip(NEXT) | instid1(VALU_DEP_1)
	v_fma_f32 v5, v1, v3, v4
	v_fmac_f32_e32 v3, v5, v2
	s_delay_alu instid0(VALU_DEP_1) | instskip(SKIP_1) | instid1(VALU_DEP_1)
	v_fmac_f32_e32 v4, v1, v3
	s_wait_alu 0xfffd
	v_div_fmas_f32 v1, v4, v2, v3
	s_delay_alu instid0(VALU_DEP_1) | instskip(NEXT) | instid1(VALU_DEP_1)
	v_div_fixup_f32 v1, v1, |s50|, |s49|
	v_readfirstlane_b32 s52, v1
	s_fmaak_f32 s52, s52, s52, 0x3f800000
	s_wait_alu 0xfffe
	s_delay_alu instid0(SALU_CYCLE_2) | instskip(SKIP_2) | instid1(SALU_CYCLE_1)
	s_mul_f32 s53, s52, 0x4f800000
	s_cmp_lt_f32 s52, 0xf800000
	s_wait_alu 0xfffe
	s_cselect_b32 s53, s53, s52
	s_wait_alu 0xfffe
	v_s_sqrt_f32 s61, s53
	s_mov_b32 s63, s53
	s_delay_alu instid0(TRANS32_DEP_1) | instskip(NEXT) | instid1(SALU_CYCLE_1)
	s_add_co_i32 s62, s61, -1
	s_xor_b32 s64, s62, 0x80000000
	s_delay_alu instid0(SALU_CYCLE_1) | instskip(SKIP_1) | instid1(SALU_CYCLE_2)
	s_fmac_f32 s63, s64, s61
	s_mov_b32 s64, s53
	s_cmp_le_f32 s63, 0
	s_cselect_b32 s62, s62, s61
	s_add_co_i32 s63, s61, 1
	s_delay_alu instid0(SALU_CYCLE_1) | instskip(NEXT) | instid1(SALU_CYCLE_1)
	s_xor_b32 s65, s63, 0x80000000
	s_fmac_f32 s64, s65, s61
	s_delay_alu instid0(SALU_CYCLE_3)
	s_cmp_gt_f32 s64, 0
	s_cselect_b32 s61, s63, s62
	s_cmp_lt_f32 s52, 0xf800000
	s_mul_f32 s52, s61, 0x37800000
	v_cmp_class_f32_e64 s62, s53, 0x260
	s_wait_alu 0xfffe
	s_delay_alu instid0(SALU_CYCLE_1)
	s_cselect_b32 s52, s52, s61
	s_and_b32 s61, s62, exec_lo
	s_wait_alu 0xfffe
	s_cselect_b32 s52, s53, s52
	s_wait_alu 0xfffe
	s_mul_f32 s52, s51, s52
	s_wait_alu 0xfffe
	s_delay_alu instid0(SALU_CYCLE_2)
	v_mov_b32_e32 v1, s52
.LBB3_73:                               ;   in Loop: Header=BB3_43 Depth=2
	s_cbranch_execnz .LBB3_75
.LBB3_74:                               ;   in Loop: Header=BB3_43 Depth=2
	v_div_scale_f32 v1, null, s48, s48, s51
	v_div_scale_f32 v4, vcc_lo, s51, s48, s51
	s_delay_alu instid0(VALU_DEP_2)
	v_rcp_f32_e32 v2, v1
	v_xor_b32_e32 v1, 0x80000000, v1
	s_delay_alu instid0(TRANS32_DEP_1) | instid1(VALU_DEP_1)
	v_fma_f32 v3, v1, v2, 1.0
	s_delay_alu instid0(VALU_DEP_1) | instskip(NEXT) | instid1(VALU_DEP_1)
	v_fmac_f32_e32 v2, v3, v2
	v_mul_f32_e32 v3, v4, v2
	s_delay_alu instid0(VALU_DEP_1) | instskip(NEXT) | instid1(VALU_DEP_1)
	v_fma_f32 v5, v1, v3, v4
	v_fmac_f32_e32 v3, v5, v2
	s_delay_alu instid0(VALU_DEP_1) | instskip(SKIP_1) | instid1(VALU_DEP_1)
	v_fmac_f32_e32 v4, v1, v3
	s_wait_alu 0xfffd
	v_div_fmas_f32 v1, v4, v2, v3
	s_delay_alu instid0(VALU_DEP_1) | instskip(NEXT) | instid1(VALU_DEP_1)
	v_div_fixup_f32 v1, v1, |s49|, |s50|
	v_readfirstlane_b32 s49, v1
	s_fmaak_f32 s49, s49, s49, 0x3f800000
	s_wait_alu 0xfffe
	s_delay_alu instid0(SALU_CYCLE_2) | instskip(SKIP_2) | instid1(SALU_CYCLE_1)
	s_mul_f32 s50, s49, 0x4f800000
	s_cmp_lt_f32 s49, 0xf800000
	s_wait_alu 0xfffe
	s_cselect_b32 s50, s50, s49
	s_wait_alu 0xfffe
	v_s_sqrt_f32 s51, s50
	s_mov_b32 s53, s50
	s_delay_alu instid0(TRANS32_DEP_1) | instskip(SKIP_2) | instid1(SALU_CYCLE_1)
	s_add_co_i32 s52, s51, -1
	s_wait_alu 0xfffe
	s_xor_b32 s61, s52, 0x80000000
	s_fmac_f32 s53, s61, s51
	s_mov_b32 s61, s50
	s_wait_alu 0xfffe
	s_delay_alu instid0(SALU_CYCLE_1) | instskip(SKIP_4) | instid1(SALU_CYCLE_1)
	s_cmp_le_f32 s53, 0
	s_cselect_b32 s52, s52, s51
	s_add_co_i32 s53, s51, 1
	s_wait_alu 0xfffe
	s_xor_b32 s62, s53, 0x80000000
	s_fmac_f32 s61, s62, s51
	s_delay_alu instid0(SALU_CYCLE_3)
	s_cmp_gt_f32 s61, 0
	s_cselect_b32 s51, s53, s52
	s_cmp_lt_f32 s49, 0xf800000
	s_wait_alu 0xfffe
	s_mul_f32 s49, s51, 0x37800000
	v_cmp_class_f32_e64 s52, s50, 0x260
	s_wait_alu 0xfffe
	s_delay_alu instid0(SALU_CYCLE_1)
	s_cselect_b32 s49, s49, s51
	s_and_b32 s51, s52, exec_lo
	s_wait_alu 0xfffe
	s_cselect_b32 s49, s50, s49
	s_wait_alu 0xfffe
	s_mul_f32 s48, s48, s49
	s_wait_alu 0xfffe
	s_delay_alu instid0(SALU_CYCLE_2)
	v_mov_b32_e32 v1, s48
.LBB3_75:                               ;   in Loop: Header=BB3_43 Depth=2
	s_and_b32 s48, s41, 0x7fffffff
	s_and_b32 s49, s4, 0x7fffffff
	s_wait_alu 0xfffe
	s_cmp_gt_f32 s48, s49
	s_add_f32 s49, s41, s4
	s_cselect_b32 s48, s4, s41
	s_cselect_b32 s41, s41, s4
	s_wait_alu 0xfffe
	s_cmp_nlt_f32 s49, 0
	s_cbranch_scc0 .LBB3_78
; %bb.76:                               ;   in Loop: Header=BB3_43 Depth=2
	s_cmp_ngt_f32 s49, 0
	s_cbranch_scc0 .LBB3_79
; %bb.77:                               ;   in Loop: Header=BB3_43 Depth=2
	s_delay_alu instid0(VALU_DEP_1)
	v_mul_f32_e32 v2, 0.5, v1
	v_mul_f32_e32 v3, -0.5, v1
	s_cbranch_execz .LBB3_80
	s_branch .LBB3_81
.LBB3_78:                               ;   in Loop: Header=BB3_43 Depth=2
                                        ; implicit-def: $vgpr3
                                        ; implicit-def: $vgpr2
	s_branch .LBB3_82
.LBB3_79:                               ;   in Loop: Header=BB3_43 Depth=2
                                        ; implicit-def: $vgpr3
                                        ; implicit-def: $vgpr2
.LBB3_80:                               ;   in Loop: Header=BB3_43 Depth=2
	s_delay_alu instid0(VALU_DEP_1) | instskip(SKIP_2) | instid1(VALU_DEP_3)
	v_add_f32_e32 v2, s49, v1
	v_cvt_f64_f32_e32 v[3:4], s41
	v_cvt_f64_f32_e32 v[7:8], s5
	v_mul_f32_e32 v2, 0.5, v2
	s_delay_alu instid0(VALU_DEP_1) | instskip(NEXT) | instid1(VALU_DEP_1)
	v_cvt_f64_f32_e32 v[5:6], v2
	v_div_scale_f64 v[9:10], null, v[5:6], v[5:6], v[3:4]
	s_delay_alu instid0(VALU_DEP_4) | instskip(SKIP_1) | instid1(VALU_DEP_3)
	v_div_scale_f64 v[11:12], null, v[5:6], v[5:6], v[7:8]
	v_div_scale_f64 v[21:22], vcc_lo, v[3:4], v[5:6], v[3:4]
	v_rcp_f64_e32 v[13:14], v[9:10]
	s_delay_alu instid0(VALU_DEP_2) | instskip(NEXT) | instid1(TRANS32_DEP_2)
	v_rcp_f64_e32 v[15:16], v[11:12]
	v_fma_f64 v[17:18], -v[9:10], v[13:14], 1.0
	s_delay_alu instid0(TRANS32_DEP_1) | instskip(NEXT) | instid1(VALU_DEP_2)
	v_fma_f64 v[19:20], -v[11:12], v[15:16], 1.0
	v_fma_f64 v[13:14], v[13:14], v[17:18], v[13:14]
	s_delay_alu instid0(VALU_DEP_2) | instskip(NEXT) | instid1(VALU_DEP_2)
	v_fma_f64 v[15:16], v[15:16], v[19:20], v[15:16]
	v_fma_f64 v[17:18], -v[9:10], v[13:14], 1.0
	s_delay_alu instid0(VALU_DEP_2) | instskip(NEXT) | instid1(VALU_DEP_2)
	v_fma_f64 v[19:20], -v[11:12], v[15:16], 1.0
	v_fma_f64 v[13:14], v[13:14], v[17:18], v[13:14]
	v_div_scale_f64 v[17:18], s4, v[7:8], v[5:6], v[7:8]
	s_delay_alu instid0(VALU_DEP_3) | instskip(NEXT) | instid1(VALU_DEP_3)
	v_fma_f64 v[15:16], v[15:16], v[19:20], v[15:16]
	v_mul_f64_e32 v[19:20], v[21:22], v[13:14]
	s_delay_alu instid0(VALU_DEP_2) | instskip(NEXT) | instid1(VALU_DEP_2)
	v_mul_f64_e32 v[23:24], v[17:18], v[15:16]
	v_fma_f64 v[9:10], -v[9:10], v[19:20], v[21:22]
	s_delay_alu instid0(VALU_DEP_2) | instskip(SKIP_1) | instid1(VALU_DEP_2)
	v_fma_f64 v[11:12], -v[11:12], v[23:24], v[17:18]
	s_wait_alu 0xfffd
	v_div_fmas_f64 v[9:10], v[9:10], v[13:14], v[19:20]
	s_mov_b32 vcc_lo, s4
	s_wait_alu 0xfffe
	s_delay_alu instid0(VALU_DEP_2) | instskip(NEXT) | instid1(VALU_DEP_2)
	v_div_fmas_f64 v[11:12], v[11:12], v[15:16], v[23:24]
	v_div_fixup_f64 v[3:4], v[9:10], v[5:6], v[3:4]
	s_delay_alu instid0(VALU_DEP_2) | instskip(SKIP_1) | instid1(VALU_DEP_2)
	v_div_fixup_f64 v[11:12], v[11:12], v[5:6], v[7:8]
	v_cvt_f64_f32_e32 v[5:6], s48
	v_mul_f64_e32 v[7:8], v[11:12], v[7:8]
	s_delay_alu instid0(VALU_DEP_1) | instskip(NEXT) | instid1(VALU_DEP_1)
	v_fma_f64 v[3:4], v[3:4], v[5:6], -v[7:8]
	v_cvt_f32_f64_e32 v3, v[3:4]
.LBB3_81:                               ;   in Loop: Header=BB3_43 Depth=2
	s_cbranch_execnz .LBB3_83
.LBB3_82:                               ;   in Loop: Header=BB3_43 Depth=2
	s_delay_alu instid0(VALU_DEP_1) | instskip(SKIP_2) | instid1(VALU_DEP_3)
	v_sub_f32_e32 v1, s49, v1
	v_cvt_f64_f32_e32 v[3:4], s41
	v_cvt_f64_f32_e32 v[7:8], s5
	v_mul_f32_e32 v2, 0.5, v1
	s_delay_alu instid0(VALU_DEP_1) | instskip(NEXT) | instid1(VALU_DEP_1)
	v_cvt_f64_f32_e32 v[5:6], v2
	v_div_scale_f64 v[9:10], null, v[5:6], v[5:6], v[3:4]
	s_delay_alu instid0(VALU_DEP_4) | instskip(SKIP_1) | instid1(VALU_DEP_3)
	v_div_scale_f64 v[11:12], null, v[5:6], v[5:6], v[7:8]
	v_div_scale_f64 v[21:22], vcc_lo, v[3:4], v[5:6], v[3:4]
	v_rcp_f64_e32 v[13:14], v[9:10]
	s_delay_alu instid0(VALU_DEP_2) | instskip(NEXT) | instid1(TRANS32_DEP_2)
	v_rcp_f64_e32 v[15:16], v[11:12]
	v_fma_f64 v[17:18], -v[9:10], v[13:14], 1.0
	s_delay_alu instid0(TRANS32_DEP_1) | instskip(NEXT) | instid1(VALU_DEP_2)
	v_fma_f64 v[19:20], -v[11:12], v[15:16], 1.0
	v_fma_f64 v[13:14], v[13:14], v[17:18], v[13:14]
	s_delay_alu instid0(VALU_DEP_2) | instskip(NEXT) | instid1(VALU_DEP_2)
	v_fma_f64 v[15:16], v[15:16], v[19:20], v[15:16]
	v_fma_f64 v[17:18], -v[9:10], v[13:14], 1.0
	s_delay_alu instid0(VALU_DEP_2) | instskip(NEXT) | instid1(VALU_DEP_2)
	v_fma_f64 v[19:20], -v[11:12], v[15:16], 1.0
	v_fma_f64 v[13:14], v[13:14], v[17:18], v[13:14]
	v_div_scale_f64 v[17:18], s4, v[7:8], v[5:6], v[7:8]
	s_delay_alu instid0(VALU_DEP_3) | instskip(NEXT) | instid1(VALU_DEP_3)
	v_fma_f64 v[15:16], v[15:16], v[19:20], v[15:16]
	v_mul_f64_e32 v[19:20], v[21:22], v[13:14]
	s_delay_alu instid0(VALU_DEP_2) | instskip(NEXT) | instid1(VALU_DEP_2)
	v_mul_f64_e32 v[23:24], v[17:18], v[15:16]
	v_fma_f64 v[9:10], -v[9:10], v[19:20], v[21:22]
	s_delay_alu instid0(VALU_DEP_2) | instskip(SKIP_1) | instid1(VALU_DEP_2)
	v_fma_f64 v[11:12], -v[11:12], v[23:24], v[17:18]
	s_wait_alu 0xfffd
	v_div_fmas_f64 v[9:10], v[9:10], v[13:14], v[19:20]
	s_mov_b32 vcc_lo, s4
	s_wait_alu 0xfffe
	s_delay_alu instid0(VALU_DEP_2) | instskip(NEXT) | instid1(VALU_DEP_2)
	v_div_fmas_f64 v[11:12], v[11:12], v[15:16], v[23:24]
	v_div_fixup_f64 v[3:4], v[9:10], v[5:6], v[3:4]
	s_delay_alu instid0(VALU_DEP_2) | instskip(SKIP_1) | instid1(VALU_DEP_2)
	v_div_fixup_f64 v[11:12], v[11:12], v[5:6], v[7:8]
	v_cvt_f64_f32_e32 v[5:6], s48
	v_mul_f64_e32 v[7:8], v[11:12], v[7:8]
	s_delay_alu instid0(VALU_DEP_1) | instskip(NEXT) | instid1(VALU_DEP_1)
	v_fma_f64 v[3:4], v[3:4], v[5:6], -v[7:8]
	v_cvt_f32_f64_e32 v3, v[3:4]
.LBB3_83:                               ;   in Loop: Header=BB3_43 Depth=2
	s_clause 0x1
	global_store_b32 v0, v2, s[42:43]
	global_store_b32 v0, v3, s[44:45]
	s_add_co_i32 s40, s40, 2
	global_store_b32 v0, v0, s[46:47]
	s_cbranch_execz .LBB3_42
	s_branch .LBB3_41
.LBB3_84:                               ;   in Loop: Header=BB3_43 Depth=2
	v_mov_b32_e32 v4, v6
.LBB3_85:                               ;   in Loop: Header=BB3_43 Depth=2
	v_mov_b32_e32 v5, v2
.LBB3_86:                               ;   in Loop: Header=BB3_43 Depth=2
	s_delay_alu instid0(VALU_DEP_1)
	v_dual_mul_f32 v2, v3, v5 :: v_dual_add_f32 v1, v1, v4
	s_add_co_i32 s5, s60, 1
	s_mov_b32 s4, -1
	s_clause 0x1
	global_store_b32 v0, v2, s[48:49]
	global_store_b32 v0, v1, s[42:43]
	s_and_b32 vcc_lo, exec_lo, s61
	s_wait_alu 0xfffe
	s_cbranch_vccnz .LBB3_67
.LBB3_87:                               ;   in Loop: Header=BB3_43 Depth=2
	s_mov_b32 s60, s5
	s_and_b32 vcc_lo, exec_lo, s4
	s_wait_alu 0xfffe
	s_cbranch_vccz .LBB3_42
	s_branch .LBB3_41
.LBB3_88:                               ;   in Loop: Header=BB3_3 Depth=1
	s_and_not1_b32 vcc_lo, exec_lo, s4
	s_wait_alu 0xfffe
	s_cbranch_vccnz .LBB3_40
.LBB3_89:                               ;   in Loop: Header=BB3_3 Depth=1
	s_and_b32 vcc_lo, exec_lo, s3
	s_wait_alu 0xfffe
	s_cbranch_vccz .LBB3_102
.LBB3_90:                               ;   in Loop: Header=BB3_3 Depth=1
	s_mov_b32 s60, s57
	s_and_not1_b32 vcc_lo, exec_lo, s58
	s_wait_alu 0xfffe
	s_cbranch_vccnz .LBB3_94
.LBB3_91:                               ;   in Loop: Header=BB3_3 Depth=1
	global_load_b32 v2, v0, s[34:35]
	v_div_scale_f32 v1, null, s29, s29, s15
	s_delay_alu instid0(VALU_DEP_1)
	v_rcp_f32_e32 v3, v1
	v_xor_b32_e32 v1, 0x80000000, v1
	s_delay_alu instid0(TRANS32_DEP_1) | instid1(VALU_DEP_1)
	v_fma_f32 v4, v1, v3, 1.0
	s_delay_alu instid0(VALU_DEP_1) | instskip(SKIP_1) | instid1(VALU_DEP_1)
	v_fmac_f32_e32 v3, v4, v3
	v_div_scale_f32 v4, vcc_lo, s15, s29, s15
	v_mul_f32_e32 v5, v4, v3
	s_delay_alu instid0(VALU_DEP_1) | instskip(NEXT) | instid1(VALU_DEP_1)
	v_fma_f32 v6, v1, v5, v4
	v_fmac_f32_e32 v5, v6, v3
	s_delay_alu instid0(VALU_DEP_1) | instskip(SKIP_1) | instid1(VALU_DEP_1)
	v_fmac_f32_e32 v4, v1, v5
	s_wait_alu 0xfffd
	v_div_fmas_f32 v1, v4, v3, v5
	s_and_b32 vcc_lo, exec_lo, s2
	s_delay_alu instid0(VALU_DEP_1) | instskip(SKIP_1) | instid1(VALU_DEP_1)
	v_div_fixup_f32 v1, v1, s29, s15
	s_wait_loadcnt 0x0
	v_mul_f32_e32 v2, v1, v2
	global_store_b32 v0, v2, s[34:35]
	s_wait_alu 0xfffe
	s_cbranch_vccnz .LBB3_94
; %bb.92:                               ;   in Loop: Header=BB3_3 Depth=1
	s_add_nc_u64 s[4:5], s[6:7], s[30:31]
	s_add_nc_u64 s[38:39], s[8:9], s[30:31]
	s_mov_b32 s3, s26
.LBB3_93:                               ;   Parent Loop BB3_3 Depth=1
                                        ; =>  This Inner Loop Header: Depth=2
	global_load_b32 v2, v0, s[4:5]
	s_wait_alu 0xfffe
	s_add_co_i32 s3, s3, 1
	s_wait_alu 0xfffe
	s_cmp_lt_i32 s3, s28
	s_wait_loadcnt 0x0
	v_mul_f32_e32 v2, v1, v2
	global_store_b32 v0, v2, s[4:5]
	global_load_b32 v2, v0, s[38:39]
	s_add_nc_u64 s[4:5], s[4:5], 4
	s_wait_loadcnt 0x0
	v_mul_f32_e32 v2, v1, v2
	global_store_b32 v0, v2, s[38:39]
	s_add_nc_u64 s[38:39], s[38:39], 4
	s_cbranch_scc1 .LBB3_93
.LBB3_94:                               ;   in Loop: Header=BB3_3 Depth=1
	s_cmp_nlt_f32 s29, s14
	s_cbranch_scc1 .LBB3_98
; %bb.95:                               ;   in Loop: Header=BB3_3 Depth=1
	global_load_b32 v2, v0, s[34:35]
	v_div_scale_f32 v1, null, s29, s29, s14
	s_delay_alu instid0(VALU_DEP_1)
	v_rcp_f32_e32 v3, v1
	v_xor_b32_e32 v1, 0x80000000, v1
	s_delay_alu instid0(TRANS32_DEP_1) | instid1(VALU_DEP_1)
	v_fma_f32 v4, v1, v3, 1.0
	s_delay_alu instid0(VALU_DEP_1) | instskip(SKIP_1) | instid1(VALU_DEP_1)
	v_fmac_f32_e32 v3, v4, v3
	v_div_scale_f32 v4, vcc_lo, s14, s29, s14
	v_mul_f32_e32 v5, v4, v3
	s_delay_alu instid0(VALU_DEP_1) | instskip(NEXT) | instid1(VALU_DEP_1)
	v_fma_f32 v6, v1, v5, v4
	v_fmac_f32_e32 v5, v6, v3
	s_delay_alu instid0(VALU_DEP_1) | instskip(SKIP_1) | instid1(VALU_DEP_1)
	v_fmac_f32_e32 v4, v1, v5
	s_wait_alu 0xfffd
	v_div_fmas_f32 v1, v4, v3, v5
	s_and_b32 vcc_lo, exec_lo, s2
	s_delay_alu instid0(VALU_DEP_1) | instskip(SKIP_1) | instid1(VALU_DEP_1)
	v_div_fixup_f32 v1, v1, s29, s14
	s_wait_loadcnt 0x0
	v_mul_f32_e32 v2, v1, v2
	global_store_b32 v0, v2, s[34:35]
	s_wait_alu 0xfffe
	s_cbranch_vccnz .LBB3_98
; %bb.96:                               ;   in Loop: Header=BB3_3 Depth=1
	s_add_nc_u64 s[2:3], s[8:9], s[30:31]
.LBB3_97:                               ;   Parent Loop BB3_3 Depth=1
                                        ; =>  This Inner Loop Header: Depth=2
	global_load_b32 v2, v0, s[36:37]
	s_add_co_i32 s26, s26, 1
	s_wait_alu 0xfffe
	s_cmp_lt_i32 s26, s28
	s_wait_loadcnt 0x0
	v_mul_f32_e32 v2, v1, v2
	global_store_b32 v0, v2, s[36:37]
	global_load_b32 v2, v0, s[2:3]
	s_add_nc_u64 s[36:37], s[36:37], 4
	s_wait_loadcnt 0x0
	v_mul_f32_e32 v2, v1, v2
	global_store_b32 v0, v2, s[2:3]
	s_add_nc_u64 s[2:3], s[2:3], 4
	s_cbranch_scc1 .LBB3_97
.LBB3_98:                               ;   in Loop: Header=BB3_3 Depth=1
	s_cmp_ge_i32 s60, s12
	s_cselect_b32 s2, -1, 0
	s_cmp_ge_i32 s27, s33
	s_cselect_b32 s3, -1, 0
	s_wait_alu 0xfffe
	s_or_b32 s2, s3, s2
.LBB3_99:                               ;   in Loop: Header=BB3_3 Depth=1
	s_wait_alu 0xfffe
	s_and_b32 vcc_lo, exec_lo, s2
	s_mov_b32 s57, s60
	s_wait_alu 0xfffe
	s_cbranch_vccz .LBB3_3
	s_branch .LBB3_147
.LBB3_100:                              ;   in Loop: Header=BB3_102 Depth=2
	s_wait_alu 0xfffe
	s_cmp_lt_i32 s38, s59
	s_cselect_b32 s3, -1, 0
	s_cmp_ge_i32 s57, s12
	s_cselect_b32 s4, -1, 0
	s_wait_alu 0xfffe
	s_or_b32 s39, s3, s4
.LBB3_101:                              ;   in Loop: Header=BB3_102 Depth=2
	s_wait_alu 0xfffe
	s_and_not1_b32 vcc_lo, exec_lo, s39
	s_wait_alu 0xfffe
	s_cbranch_vccz .LBB3_90
.LBB3_102:                              ;   Parent Loop BB3_3 Depth=1
                                        ; =>  This Loop Header: Depth=2
                                        ;       Child Loop BB3_105 Depth 3
                                        ;       Child Loop BB3_117 Depth 3
	s_ashr_i32 s39, s38, 31
	s_min_i32 s40, s59, s38
	s_wait_alu 0xfffe
	s_lshl_b64 s[42:43], s[38:39], 2
	s_mov_b32 s3, s38
	s_add_nc_u64 s[44:45], s[6:7], s[42:43]
	s_add_nc_u64 s[4:5], s[22:23], s[42:43]
	s_mov_b32 s39, -1
	s_wait_alu 0xfffe
	s_cmp_le_i32 s3, s59
	s_mov_b32 s46, -1
                                        ; implicit-def: $sgpr41
	s_cbranch_scc1 .LBB3_105
	s_branch .LBB3_104
.LBB3_103:                              ;   in Loop: Header=BB3_105 Depth=3
	s_mov_b32 s3, s41
	s_mov_b32 s39, -1
	s_wait_alu 0xfffe
	s_cmp_le_i32 s3, s59
	s_mov_b32 s46, -1
                                        ; implicit-def: $sgpr41
	s_cbranch_scc1 .LBB3_105
.LBB3_104:                              ;   in Loop: Header=BB3_102 Depth=2
	s_clause 0x1
	global_load_b64 v[1:2], v0, s[44:45] offset:-4
	global_load_b32 v3, v0, s[4:5] offset:-8
	s_add_co_i32 s41, s3, -1
	s_add_nc_u64 s[44:45], s[44:45], -4
	s_add_nc_u64 s[4:5], s[4:5], -4
	s_mov_b32 s39, 0
	s_wait_loadcnt 0x0
	v_dual_mul_f32 v1, v2, v1 :: v_dual_and_b32 v2, 0x7fffffff, v3
	s_delay_alu instid0(VALU_DEP_1) | instskip(NEXT) | instid1(VALU_DEP_1)
	v_and_b32_e32 v1, 0x7fffffff, v1
	v_mul_f32_e32 v1, s55, v1
	s_delay_alu instid0(VALU_DEP_1)
	v_cmp_le_f32_e64 s46, v2, v1
.LBB3_105:                              ;   Parent Loop BB3_3 Depth=1
                                        ;     Parent Loop BB3_102 Depth=2
                                        ; =>    This Inner Loop Header: Depth=3
	s_wait_alu 0xfffe
	s_delay_alu instid0(VALU_DEP_1)
	s_and_not1_b32 vcc_lo, exec_lo, s46
	s_wait_alu 0xfffe
	s_cbranch_vccnz .LBB3_103
; %bb.106:                              ;   in Loop: Header=BB3_102 Depth=2
	s_and_not1_b32 vcc_lo, exec_lo, s39
	s_wait_alu 0xfffe
	s_cbranch_vccz .LBB3_108
; %bb.107:                              ;   in Loop: Header=BB3_102 Depth=2
	s_mov_b32 s40, s3
	global_store_b32 v0, v0, s[4:5] offset:-4
.LBB3_108:                              ;   in Loop: Header=BB3_102 Depth=2
	s_add_co_i32 s3, s38, -1
	s_wait_alu 0xfffe
	s_cmp_eq_u32 s40, s38
	s_mov_b32 s39, -1
	s_cbranch_scc1 .LBB3_123
; %bb.109:                              ;   in Loop: Header=BB3_102 Depth=2
	s_add_nc_u64 s[4:5], s[6:7], s[42:43]
	s_cmp_lg_u32 s40, s3
	global_load_b32 v1, v0, s[4:5]
	s_wait_loadcnt 0x0
	v_readfirstlane_b32 s48, v1
	s_cbranch_scc0 .LBB3_124
; %bb.110:                              ;   in Loop: Header=BB3_102 Depth=2
	s_mov_b32 s49, 0
	s_cmp_lg_u32 s57, s12
	s_mov_b32 s41, s12
	s_mov_b32 s3, 0
	s_cbranch_scc0 .LBB3_125
; %bb.111:                              ;   in Loop: Header=BB3_102 Depth=2
	s_add_nc_u64 s[42:43], s[10:11], s[42:43]
	s_clause 0x1
	global_load_b32 v1, v0, s[42:43] offset:-4
	global_load_b32 v2, v0, s[4:5] offset:-4
	s_wait_loadcnt 0x1
	v_readfirstlane_b32 s3, v1
	v_cmp_gt_f32_e32 vcc_lo, 0xf800000, v1
	s_wait_loadcnt 0x0
	s_wait_alu 0xf1ff
	v_subrev_f32_e32 v2, s48, v2
	s_wait_alu 0xfffe
	s_mul_f32 s41, s3, 0x4f800000
	s_cmp_lt_f32 s3, 0xf800000
	s_wait_alu 0xfffe
	s_delay_alu instid0(SALU_CYCLE_1) | instskip(SKIP_3) | instid1(TRANS32_DEP_1)
	s_cselect_b32 s3, s41, s3
	s_wait_alu 0xfffe
	v_s_sqrt_f32 s41, s3
	s_mov_b32 s45, s3
	s_add_co_i32 s44, s41, -1
	s_wait_alu 0xfffe
	s_xor_b32 s46, s44, 0x80000000
	s_wait_alu 0xfffe
	s_fmac_f32 s45, s46, s41
	s_mov_b32 s46, s3
	s_wait_alu 0xfffe
	s_delay_alu instid0(SALU_CYCLE_1)
	s_cmp_le_f32 s45, 0
	s_cselect_b32 s44, s44, s41
	s_add_co_i32 s45, s41, 1
	s_wait_alu 0xfffe
	s_xor_b32 s47, s45, 0x80000000
	s_wait_alu 0xfffe
	s_fmac_f32 s46, s47, s41
	s_wait_alu 0xfffe
	s_delay_alu instid0(SALU_CYCLE_2) | instskip(SKIP_4) | instid1(SALU_CYCLE_2)
	s_cmp_gt_f32 s46, 0
	s_cselect_b32 s41, s45, s44
	s_wait_alu 0xfffe
	s_mul_f32 s44, s41, 0x37800000
	s_wait_alu 0xfffe
	v_mov_b32_e32 v3, s44
	s_wait_alu 0xfffd
	s_delay_alu instid0(VALU_DEP_1) | instskip(SKIP_2) | instid1(VALU_DEP_1)
	v_cndmask_b32_e32 v1, s41, v3, vcc_lo
	v_cmp_class_f32_e64 s41, s3, 0x260
	s_wait_alu 0xf1ff
	v_cndmask_b32_e64 v1, v1, s3, s41
	s_delay_alu instid0(VALU_DEP_1) | instskip(NEXT) | instid1(VALU_DEP_1)
	v_add_f32_e32 v3, v1, v1
	v_div_scale_f32 v4, null, v3, v3, v2
	v_div_scale_f32 v7, vcc_lo, v2, v3, v2
	s_delay_alu instid0(VALU_DEP_2)
	v_rcp_f32_e32 v5, v4
	v_xor_b32_e32 v4, 0x80000000, v4
	s_delay_alu instid0(TRANS32_DEP_1) | instid1(VALU_DEP_1)
	v_fma_f32 v6, v4, v5, 1.0
	s_delay_alu instid0(VALU_DEP_1) | instskip(NEXT) | instid1(VALU_DEP_1)
	v_fmac_f32_e32 v5, v6, v5
	v_mul_f32_e32 v6, v7, v5
	s_delay_alu instid0(VALU_DEP_1) | instskip(NEXT) | instid1(VALU_DEP_1)
	v_fma_f32 v8, v4, v6, v7
	v_fmac_f32_e32 v6, v8, v5
	s_delay_alu instid0(VALU_DEP_1) | instskip(SKIP_1) | instid1(VALU_DEP_1)
	v_fmac_f32_e32 v7, v4, v6
	s_wait_alu 0xfffd
	v_div_fmas_f32 v4, v7, v5, v6
	s_delay_alu instid0(VALU_DEP_1) | instskip(NEXT) | instid1(VALU_DEP_1)
	v_div_fixup_f32 v2, v4, v3, v2
	v_readfirstlane_b32 s3, v2
	v_cmp_nle_f32_e32 vcc_lo, 0, v2
	s_fmaak_f32 s3, s3, s3, 0x3f800000
	s_wait_alu 0xfffe
	s_delay_alu instid0(SALU_CYCLE_2) | instskip(SKIP_2) | instid1(SALU_CYCLE_1)
	s_mul_f32 s41, s3, 0x4f800000
	s_cmp_lt_f32 s3, 0xf800000
	s_wait_alu 0xfffe
	s_cselect_b32 s41, s41, s3
	s_wait_alu 0xfffe
	v_s_sqrt_f32 s44, s41
	s_mov_b32 s46, s41
	s_delay_alu instid0(TRANS32_DEP_1)
	s_add_co_i32 s45, s44, -1
	s_wait_alu 0xfffe
	s_xor_b32 s47, s45, 0x80000000
	s_wait_alu 0xfffe
	s_fmac_f32 s46, s47, s44
	s_mov_b32 s47, s41
	s_wait_alu 0xfffe
	s_delay_alu instid0(SALU_CYCLE_1)
	s_cmp_le_f32 s46, 0
	s_cselect_b32 s45, s45, s44
	s_add_co_i32 s46, s44, 1
	s_wait_alu 0xfffe
	s_xor_b32 s50, s46, 0x80000000
	s_wait_alu 0xfffe
	s_fmac_f32 s47, s50, s44
	v_cmp_class_f32_e64 s44, s41, 0x260
	s_wait_alu 0xfffe
	s_delay_alu instid0(SALU_CYCLE_1)
	s_cmp_gt_f32 s47, 0
	s_cselect_b32 s45, s46, s45
	s_cmp_lt_f32 s3, 0xf800000
	s_wait_alu 0xfffe
	s_mul_f32 s3, s45, 0x37800000
	s_wait_alu 0xfffe
	s_delay_alu instid0(SALU_CYCLE_2)
	s_cselect_b32 s3, s3, s45
	s_and_b32 s44, s44, exec_lo
	s_wait_alu 0xfffe
	s_cselect_b32 s3, s41, s3
	s_ashr_i32 s41, s40, 31
	s_wait_alu 0xfffe
	s_lshl_b64 s[46:47], s[40:41], 2
	s_or_b32 s41, s3, 0x80000000
	s_wait_alu 0xfffe
	s_add_nc_u64 s[44:45], s[6:7], s[46:47]
	v_mov_b32_e32 v4, s41
	global_load_b32 v3, v0, s[44:45]
	s_bitset0_b32 s3, 31
	s_cmp_ge_i32 s40, s38
	s_wait_alu 0xfffc
	v_cndmask_b32_e32 v4, s3, v4, vcc_lo
	s_delay_alu instid0(VALU_DEP_1) | instskip(NEXT) | instid1(VALU_DEP_1)
	v_add_f32_e32 v2, v2, v4
	v_div_scale_f32 v4, null, v2, v2, v1
	v_div_scale_f32 v7, vcc_lo, v1, v2, v1
	s_delay_alu instid0(VALU_DEP_2)
	v_rcp_f32_e32 v5, v4
	v_xor_b32_e32 v4, 0x80000000, v4
	s_delay_alu instid0(TRANS32_DEP_1) | instid1(VALU_DEP_1)
	v_fma_f32 v6, v4, v5, 1.0
	s_delay_alu instid0(VALU_DEP_1) | instskip(NEXT) | instid1(VALU_DEP_1)
	v_fmac_f32_e32 v5, v6, v5
	v_mul_f32_e32 v6, v7, v5
	s_delay_alu instid0(VALU_DEP_1) | instskip(NEXT) | instid1(VALU_DEP_1)
	v_fma_f32 v8, v4, v6, v7
	v_fmac_f32_e32 v6, v8, v5
	s_delay_alu instid0(VALU_DEP_1) | instskip(SKIP_1) | instid1(VALU_DEP_1)
	v_fmac_f32_e32 v7, v4, v6
	s_wait_alu 0xfffd
	v_div_fmas_f32 v4, v7, v5, v6
	s_delay_alu instid0(VALU_DEP_1) | instskip(NEXT) | instid1(VALU_DEP_1)
	v_div_fixup_f32 v1, v4, v2, v1
	v_sub_f32_e32 v1, s48, v1
	s_wait_loadcnt 0x0
	s_delay_alu instid0(VALU_DEP_1) | instskip(NEXT) | instid1(VALU_DEP_1)
	v_dual_sub_f32 v4, v3, v1 :: v_dual_mov_b32 v3, 0
	v_mul_f32_e32 v5, v4, v4
	s_cbranch_scc1 .LBB3_145
; %bb.112:                              ;   in Loop: Header=BB3_102 Depth=2
	s_add_nc_u64 s[46:47], s[10:11], s[46:47]
	s_clause 0x1
	global_load_b32 v2, v0, s[46:47]
	global_load_b32 v7, v0, s[44:45] offset:4
	s_wait_loadcnt 0x1
	v_add_f32_e32 v6, v5, v2
	s_delay_alu instid0(VALU_DEP_1) | instskip(NEXT) | instid1(VALU_DEP_1)
	v_div_scale_f32 v3, null, v6, v6, v5
	v_rcp_f32_e32 v9, v3
	v_xor_b32_e32 v3, 0x80000000, v3
	s_delay_alu instid0(TRANS32_DEP_1) | instid1(VALU_DEP_1)
	v_fma_f32 v11, v3, v9, 1.0
	s_delay_alu instid0(VALU_DEP_1) | instskip(SKIP_3) | instid1(VALU_DEP_3)
	v_fmac_f32_e32 v9, v11, v9
	v_div_scale_f32 v8, null, v6, v6, v2
	v_div_scale_f32 v13, vcc_lo, v5, v6, v5
	v_div_scale_f32 v11, s3, v2, v6, v2
	v_rcp_f32_e32 v10, v8
	v_xor_b32_e32 v8, 0x80000000, v8
	s_delay_alu instid0(TRANS32_DEP_1) | instid1(VALU_DEP_1)
	v_fma_f32 v12, v8, v10, 1.0
	s_delay_alu instid0(VALU_DEP_1) | instskip(SKIP_1) | instid1(VALU_DEP_1)
	v_fmac_f32_e32 v10, v12, v10
	v_mul_f32_e32 v12, v13, v9
	v_fma_f32 v15, v3, v12, v13
	s_delay_alu instid0(VALU_DEP_1) | instskip(NEXT) | instid1(VALU_DEP_1)
	v_fmac_f32_e32 v12, v15, v9
	v_fmac_f32_e32 v13, v3, v12
	v_mul_f32_e32 v14, v11, v10
	s_delay_alu instid0(VALU_DEP_1) | instskip(NEXT) | instid1(VALU_DEP_1)
	v_fma_f32 v16, v8, v14, v11
	v_fmac_f32_e32 v14, v16, v10
	s_delay_alu instid0(VALU_DEP_1)
	v_fmac_f32_e32 v11, v8, v14
	s_wait_alu 0xfffd
	v_div_fmas_f32 v8, v13, v9, v12
	s_mov_b32 vcc_lo, s3
	s_wait_alu 0xfffe
	v_div_fmas_f32 v3, v11, v10, v14
	s_delay_alu instid0(VALU_DEP_2) | instskip(SKIP_2) | instid1(VALU_DEP_3)
	v_div_fixup_f32 v5, v8, v6, v5
	s_wait_loadcnt 0x0
	v_sub_f32_e32 v8, v7, v1
	v_div_fixup_f32 v3, v3, v6, v2
	s_delay_alu instid0(VALU_DEP_3) | instskip(NEXT) | instid1(VALU_DEP_2)
	v_cmp_eq_f32_e32 vcc_lo, 0, v5
	v_mul_f32_e32 v9, v4, v3
	s_and_b32 vcc_lo, exec_lo, vcc_lo
	s_delay_alu instid0(VALU_DEP_1) | instskip(NEXT) | instid1(VALU_DEP_1)
	v_xor_b32_e32 v6, 0x80000000, v9
	v_fmac_f32_e32 v6, v5, v8
	s_delay_alu instid0(VALU_DEP_1) | instskip(NEXT) | instid1(VALU_DEP_1)
	v_sub_f32_e32 v7, v7, v6
	v_add_f32_e32 v4, v4, v7
	global_store_b32 v0, v4, s[44:45]
	s_wait_alu 0xfffe
	s_cbranch_vccnz .LBB3_114
; %bb.113:                              ;   in Loop: Header=BB3_102 Depth=2
	v_mul_f32_e32 v2, v6, v6
	s_delay_alu instid0(VALU_DEP_1) | instskip(NEXT) | instid1(VALU_DEP_1)
	v_div_scale_f32 v4, null, v5, v5, v2
	v_rcp_f32_e32 v7, v4
	v_xor_b32_e32 v4, 0x80000000, v4
	s_delay_alu instid0(TRANS32_DEP_1) | instid1(VALU_DEP_1)
	v_fma_f32 v8, v4, v7, 1.0
	s_delay_alu instid0(VALU_DEP_1) | instskip(SKIP_1) | instid1(VALU_DEP_1)
	v_fmac_f32_e32 v7, v8, v7
	v_div_scale_f32 v8, vcc_lo, v2, v5, v2
	v_mul_f32_e32 v9, v8, v7
	s_delay_alu instid0(VALU_DEP_1) | instskip(NEXT) | instid1(VALU_DEP_1)
	v_fma_f32 v10, v4, v9, v8
	v_fmac_f32_e32 v9, v10, v7
	s_delay_alu instid0(VALU_DEP_1) | instskip(SKIP_1) | instid1(VALU_DEP_1)
	v_fmac_f32_e32 v8, v4, v9
	s_wait_alu 0xfffd
	v_div_fmas_f32 v4, v8, v7, v9
	s_delay_alu instid0(VALU_DEP_1)
	v_div_fixup_f32 v2, v4, v5, v2
.LBB3_114:                              ;   in Loop: Header=BB3_102 Depth=2
	s_add_co_i32 s44, s40, 1
	s_wait_alu 0xfffe
	s_cmp_ge_i32 s44, s38
	s_cbranch_scc1 .LBB3_143
; %bb.115:                              ;   in Loop: Header=BB3_102 Depth=2
	s_ashr_i32 s45, s44, 31
	s_mov_b32 s41, 1
	s_wait_alu 0xfffe
	s_lshl_b64 s[46:47], s[44:45], 2
	s_wait_alu 0xfffe
	s_add_nc_u64 s[44:45], s[8:9], s[46:47]
	s_add_nc_u64 s[46:47], s[20:21], s[46:47]
	global_load_b32 v7, v0, s[44:45]
	s_cmp_eq_u32 s41, 0
	s_wait_loadcnt 0x0
	v_add_f32_e32 v4, v2, v7
	s_cbranch_scc1 .LBB3_117
.LBB3_116:                              ;   in Loop: Header=BB3_102 Depth=2
	s_delay_alu instid0(VALU_DEP_1)
	v_mul_f32_e32 v3, v3, v4
	global_store_b32 v0, v3, s[44:45] offset:-4
.LBB3_117:                              ;   Parent Loop BB3_3 Depth=1
                                        ;     Parent Loop BB3_102 Depth=2
                                        ; =>    This Inner Loop Header: Depth=3
	global_load_b32 v9, v0, s[46:47]
	v_div_scale_f32 v3, null, v4, v4, v2
	v_div_scale_f32 v8, null, v4, v4, v7
	v_div_scale_f32 v14, vcc_lo, v2, v4, v2
	s_delay_alu instid0(VALU_DEP_3) | instskip(NEXT) | instid1(VALU_DEP_2)
	v_rcp_f32_e32 v10, v3
	v_rcp_f32_e32 v11, v8
	v_xor_b32_e32 v3, 0x80000000, v3
	v_xor_b32_e32 v8, 0x80000000, v8
	s_delay_alu instid0(TRANS32_DEP_2) | instid1(VALU_DEP_2)
	v_fma_f32 v12, v3, v10, 1.0
	s_delay_alu instid0(TRANS32_DEP_1) | instid1(VALU_DEP_2)
	v_fma_f32 v13, v8, v11, 1.0
	s_delay_alu instid0(VALU_DEP_1) | instskip(SKIP_1) | instid1(VALU_DEP_1)
	v_dual_fmac_f32 v10, v12, v10 :: v_dual_fmac_f32 v11, v13, v11
	v_div_scale_f32 v12, s3, v7, v4, v7
	v_mul_f32_e32 v15, v12, v11
	s_delay_alu instid0(VALU_DEP_1) | instskip(NEXT) | instid1(VALU_DEP_1)
	v_fma_f32 v17, v8, v15, v12
	v_fmac_f32_e32 v15, v17, v11
	s_delay_alu instid0(VALU_DEP_1) | instskip(NEXT) | instid1(VALU_DEP_1)
	v_dual_mul_f32 v13, v14, v10 :: v_dual_fmac_f32 v12, v8, v15
	v_fma_f32 v16, v3, v13, v14
	s_delay_alu instid0(VALU_DEP_1) | instskip(NEXT) | instid1(VALU_DEP_1)
	v_fmac_f32_e32 v13, v16, v10
	v_fmac_f32_e32 v14, v3, v13
	s_wait_alu 0xfffd
	s_delay_alu instid0(VALU_DEP_1) | instskip(SKIP_3) | instid1(VALU_DEP_2)
	v_div_fmas_f32 v8, v14, v10, v13
	s_mov_b32 vcc_lo, s3
	s_wait_alu 0xfffe
	v_div_fmas_f32 v3, v12, v11, v15
	v_div_fixup_f32 v8, v8, v4, v2
	s_delay_alu instid0(VALU_DEP_2) | instskip(NEXT) | instid1(VALU_DEP_2)
	v_div_fixup_f32 v3, v3, v4, v7
	v_cmp_eq_f32_e32 vcc_lo, 0, v8
	s_delay_alu instid0(VALU_DEP_2) | instskip(SKIP_1) | instid1(VALU_DEP_1)
	v_mul_f32_e32 v10, v6, v3
	s_and_b32 vcc_lo, exec_lo, vcc_lo
	v_xor_b32_e32 v4, 0x80000000, v10
	s_wait_loadcnt 0x0
	v_sub_f32_e32 v2, v9, v1
	s_delay_alu instid0(VALU_DEP_1) | instskip(NEXT) | instid1(VALU_DEP_1)
	v_fmac_f32_e32 v4, v8, v2
	v_sub_f32_e32 v2, v9, v4
	s_delay_alu instid0(VALU_DEP_1)
	v_add_f32_e32 v2, v6, v2
	global_store_b32 v0, v2, s[46:47] offset:-4
	s_wait_alu 0xfffe
	s_cbranch_vccz .LBB3_122
; %bb.118:                              ;   in Loop: Header=BB3_117 Depth=3
	v_mul_f32_e32 v2, v5, v7
	s_cbranch_execnz .LBB3_120
.LBB3_119:                              ;   in Loop: Header=BB3_117 Depth=3
	v_mul_f32_e32 v2, v4, v4
	s_delay_alu instid0(VALU_DEP_1) | instskip(NEXT) | instid1(VALU_DEP_1)
	v_div_scale_f32 v5, null, v8, v8, v2
	v_rcp_f32_e32 v6, v5
	v_xor_b32_e32 v5, 0x80000000, v5
	s_delay_alu instid0(TRANS32_DEP_1) | instid1(VALU_DEP_1)
	v_fma_f32 v7, v5, v6, 1.0
	s_delay_alu instid0(VALU_DEP_1) | instskip(SKIP_1) | instid1(VALU_DEP_1)
	v_fmac_f32_e32 v6, v7, v6
	v_div_scale_f32 v7, vcc_lo, v2, v8, v2
	v_mul_f32_e32 v9, v7, v6
	s_delay_alu instid0(VALU_DEP_1) | instskip(NEXT) | instid1(VALU_DEP_1)
	v_fma_f32 v10, v5, v9, v7
	v_fmac_f32_e32 v9, v10, v6
	s_delay_alu instid0(VALU_DEP_1) | instskip(SKIP_1) | instid1(VALU_DEP_1)
	v_fmac_f32_e32 v7, v5, v9
	s_wait_alu 0xfffd
	v_div_fmas_f32 v5, v7, v6, v9
	s_delay_alu instid0(VALU_DEP_1)
	v_div_fixup_f32 v2, v5, v8, v2
.LBB3_120:                              ;   in Loop: Header=BB3_117 Depth=3
	s_add_co_i32 s41, s41, 1
	s_add_nc_u64 s[44:45], s[44:45], 4
	s_wait_alu 0xfffe
	s_add_co_i32 s3, s40, s41
	s_add_nc_u64 s[46:47], s[46:47], 4
	s_wait_alu 0xfffe
	s_cmp_ge_i32 s3, s38
	s_cbranch_scc1 .LBB3_144
; %bb.121:                              ;   in Loop: Header=BB3_117 Depth=3
	v_dual_mov_b32 v5, v8 :: v_dual_mov_b32 v6, v4
	global_load_b32 v7, v0, s[44:45]
	s_cmp_eq_u32 s41, 0
	s_wait_loadcnt 0x0
	v_add_f32_e32 v4, v2, v7
	s_cbranch_scc0 .LBB3_116
	s_branch .LBB3_117
.LBB3_122:                              ;   in Loop: Header=BB3_117 Depth=3
                                        ; implicit-def: $vgpr2
	s_branch .LBB3_119
.LBB3_123:                              ;   in Loop: Header=BB3_102 Depth=2
	s_mov_b32 s38, s3
	s_cbranch_execnz .LBB3_100
	s_branch .LBB3_101
.LBB3_124:                              ;   in Loop: Header=BB3_102 Depth=2
	s_mov_b32 s49, -1
	s_mov_b32 s3, 0
                                        ; implicit-def: $sgpr41
.LBB3_125:                              ;   in Loop: Header=BB3_102 Depth=2
	s_wait_alu 0xfffe
	s_and_b32 vcc_lo, exec_lo, s49
	s_wait_alu 0xfffe
	s_cbranch_vccz .LBB3_146
.LBB3_126:                              ;   in Loop: Header=BB3_102 Depth=2
	s_ashr_i32 s41, s40, 31
	s_wait_alu 0xfffe
	s_lshl_b64 s[42:43], s[40:41], 2
	s_delay_alu instid0(SALU_CYCLE_1)
	s_add_nc_u64 s[40:41], s[10:11], s[42:43]
	s_add_nc_u64 s[42:43], s[6:7], s[42:43]
	s_clause 0x1
	global_load_b32 v1, v0, s[40:41]
	global_load_b32 v2, v0, s[42:43]
	s_wait_loadcnt 0x1
	v_readfirstlane_b32 s3, v1
	s_mul_f32 s44, s3, 0x4f800000
	s_cmp_lt_f32 s3, 0xf800000
	s_wait_alu 0xfffe
	s_delay_alu instid0(SALU_CYCLE_1) | instskip(SKIP_3) | instid1(TRANS32_DEP_1)
	s_cselect_b32 s44, s44, s3
	s_wait_alu 0xfffe
	v_s_sqrt_f32 s45, s44
	s_mov_b32 s47, s44
	s_add_co_i32 s46, s45, -1
	s_wait_alu 0xfffe
	s_xor_b32 s49, s46, 0x80000000
	s_wait_alu 0xfffe
	s_fmac_f32 s47, s49, s45
	s_mov_b32 s49, s44
	s_wait_alu 0xfffe
	s_delay_alu instid0(SALU_CYCLE_1)
	s_cmp_le_f32 s47, 0
	s_cselect_b32 s46, s46, s45
	s_add_co_i32 s47, s45, 1
	s_wait_alu 0xfffe
	s_xor_b32 s50, s47, 0x80000000
	s_wait_alu 0xfffe
	s_fmac_f32 s49, s50, s45
	s_wait_alu 0xfffe
	s_delay_alu instid0(SALU_CYCLE_2)
	s_cmp_gt_f32 s49, 0
	s_cselect_b32 s45, s47, s46
	s_cmp_lt_f32 s3, 0xf800000
	s_wait_alu 0xfffe
	s_mul_f32 s46, s45, 0x37800000
	v_cmp_class_f32_e64 s47, s44, 0x260
	s_wait_loadcnt 0x0
	v_readfirstlane_b32 s3, v2
	s_wait_alu 0xfffe
	s_cselect_b32 s45, s46, s45
	s_and_b32 s46, s47, exec_lo
	s_wait_alu 0xfffe
	s_cselect_b32 s44, s44, s45
	s_sub_f32 s46, s48, s3
	s_wait_alu 0xfffe
	s_add_f32 s47, s44, s44
	s_delay_alu instid0(SALU_CYCLE_1) | instskip(SKIP_1) | instid1(SALU_CYCLE_1)
	s_and_b32 s45, s46, 0x7fffffff
	s_wait_alu 0xfffe
	s_and_b32 s49, s47, 0x7fffffff
	s_wait_alu 0xfffe
	s_cmp_ngt_f32 s45, s49
	s_cbranch_scc0 .LBB3_129
; %bb.127:                              ;   in Loop: Header=BB3_102 Depth=2
	s_cmp_nlt_f32 s45, s49
	s_cbranch_scc0 .LBB3_130
; %bb.128:                              ;   in Loop: Header=BB3_102 Depth=2
	v_cvt_f64_f32_e32 v[1:2], s49
	s_delay_alu instid0(VALU_DEP_1) | instskip(NEXT) | instid1(VALU_DEP_1)
	v_mul_f64_e32 v[1:2], s[24:25], v[1:2]
	v_cvt_f32_f64_e32 v1, v[1:2]
	s_cbranch_execz .LBB3_131
	s_branch .LBB3_132
.LBB3_129:                              ;   in Loop: Header=BB3_102 Depth=2
                                        ; implicit-def: $vgpr1
	s_branch .LBB3_133
.LBB3_130:                              ;   in Loop: Header=BB3_102 Depth=2
                                        ; implicit-def: $vgpr1
.LBB3_131:                              ;   in Loop: Header=BB3_102 Depth=2
	v_div_scale_f32 v1, null, s49, s49, s45
	v_div_scale_f32 v4, vcc_lo, s45, s49, s45
	s_delay_alu instid0(VALU_DEP_2)
	v_rcp_f32_e32 v2, v1
	v_xor_b32_e32 v1, 0x80000000, v1
	s_delay_alu instid0(TRANS32_DEP_1) | instid1(VALU_DEP_1)
	v_fma_f32 v3, v1, v2, 1.0
	s_delay_alu instid0(VALU_DEP_1) | instskip(NEXT) | instid1(VALU_DEP_1)
	v_fmac_f32_e32 v2, v3, v2
	v_mul_f32_e32 v3, v4, v2
	s_delay_alu instid0(VALU_DEP_1) | instskip(NEXT) | instid1(VALU_DEP_1)
	v_fma_f32 v5, v1, v3, v4
	v_fmac_f32_e32 v3, v5, v2
	s_delay_alu instid0(VALU_DEP_1) | instskip(SKIP_1) | instid1(VALU_DEP_1)
	v_fmac_f32_e32 v4, v1, v3
	s_wait_alu 0xfffd
	v_div_fmas_f32 v1, v4, v2, v3
	s_delay_alu instid0(VALU_DEP_1) | instskip(NEXT) | instid1(VALU_DEP_1)
	v_div_fixup_f32 v1, v1, |s47|, |s46|
	v_readfirstlane_b32 s50, v1
	s_fmaak_f32 s50, s50, s50, 0x3f800000
	s_wait_alu 0xfffe
	s_delay_alu instid0(SALU_CYCLE_2) | instskip(SKIP_2) | instid1(SALU_CYCLE_1)
	s_mul_f32 s51, s50, 0x4f800000
	s_cmp_lt_f32 s50, 0xf800000
	s_wait_alu 0xfffe
	s_cselect_b32 s51, s51, s50
	s_wait_alu 0xfffe
	v_s_sqrt_f32 s52, s51
	s_mov_b32 s60, s51
	s_delay_alu instid0(TRANS32_DEP_1) | instskip(SKIP_2) | instid1(SALU_CYCLE_1)
	s_add_co_i32 s53, s52, -1
	s_wait_alu 0xfffe
	s_xor_b32 s61, s53, 0x80000000
	s_fmac_f32 s60, s61, s52
	s_mov_b32 s61, s51
	s_delay_alu instid0(SALU_CYCLE_2) | instskip(SKIP_2) | instid1(SALU_CYCLE_1)
	s_cmp_le_f32 s60, 0
	s_cselect_b32 s53, s53, s52
	s_add_co_i32 s60, s52, 1
	s_xor_b32 s62, s60, 0x80000000
	s_delay_alu instid0(SALU_CYCLE_1) | instskip(NEXT) | instid1(SALU_CYCLE_3)
	s_fmac_f32 s61, s62, s52
	s_cmp_gt_f32 s61, 0
	s_wait_alu 0xfffe
	s_cselect_b32 s52, s60, s53
	s_cmp_lt_f32 s50, 0xf800000
	s_wait_alu 0xfffe
	s_mul_f32 s50, s52, 0x37800000
	v_cmp_class_f32_e64 s53, s51, 0x260
	s_wait_alu 0xfffe
	s_delay_alu instid0(SALU_CYCLE_1)
	s_cselect_b32 s50, s50, s52
	s_and_b32 s52, s53, exec_lo
	s_wait_alu 0xfffe
	s_cselect_b32 s50, s51, s50
	s_wait_alu 0xfffe
	s_mul_f32 s50, s49, s50
	s_wait_alu 0xfffe
	s_delay_alu instid0(SALU_CYCLE_2)
	v_mov_b32_e32 v1, s50
.LBB3_132:                              ;   in Loop: Header=BB3_102 Depth=2
	s_cbranch_execnz .LBB3_134
.LBB3_133:                              ;   in Loop: Header=BB3_102 Depth=2
	v_div_scale_f32 v1, null, s45, s45, s49
	v_div_scale_f32 v4, vcc_lo, s49, s45, s49
	s_delay_alu instid0(VALU_DEP_2)
	v_rcp_f32_e32 v2, v1
	v_xor_b32_e32 v1, 0x80000000, v1
	s_delay_alu instid0(TRANS32_DEP_1) | instid1(VALU_DEP_1)
	v_fma_f32 v3, v1, v2, 1.0
	s_delay_alu instid0(VALU_DEP_1) | instskip(NEXT) | instid1(VALU_DEP_1)
	v_fmac_f32_e32 v2, v3, v2
	v_mul_f32_e32 v3, v4, v2
	s_delay_alu instid0(VALU_DEP_1) | instskip(NEXT) | instid1(VALU_DEP_1)
	v_fma_f32 v5, v1, v3, v4
	v_fmac_f32_e32 v3, v5, v2
	s_delay_alu instid0(VALU_DEP_1) | instskip(SKIP_1) | instid1(VALU_DEP_1)
	v_fmac_f32_e32 v4, v1, v3
	s_wait_alu 0xfffd
	v_div_fmas_f32 v1, v4, v2, v3
	s_delay_alu instid0(VALU_DEP_1) | instskip(NEXT) | instid1(VALU_DEP_1)
	v_div_fixup_f32 v1, v1, |s46|, |s47|
	v_readfirstlane_b32 s46, v1
	s_fmaak_f32 s46, s46, s46, 0x3f800000
	s_wait_alu 0xfffe
	s_delay_alu instid0(SALU_CYCLE_2) | instskip(SKIP_2) | instid1(SALU_CYCLE_1)
	s_mul_f32 s47, s46, 0x4f800000
	s_cmp_lt_f32 s46, 0xf800000
	s_wait_alu 0xfffe
	s_cselect_b32 s47, s47, s46
	s_wait_alu 0xfffe
	v_s_sqrt_f32 s49, s47
	s_mov_b32 s51, s47
	s_delay_alu instid0(TRANS32_DEP_1)
	s_add_co_i32 s50, s49, -1
	s_wait_alu 0xfffe
	s_xor_b32 s52, s50, 0x80000000
	s_wait_alu 0xfffe
	s_fmac_f32 s51, s52, s49
	s_mov_b32 s52, s47
	s_wait_alu 0xfffe
	s_delay_alu instid0(SALU_CYCLE_1)
	s_cmp_le_f32 s51, 0
	s_cselect_b32 s50, s50, s49
	s_add_co_i32 s51, s49, 1
	s_wait_alu 0xfffe
	s_xor_b32 s53, s51, 0x80000000
	s_wait_alu 0xfffe
	s_fmac_f32 s52, s53, s49
	s_wait_alu 0xfffe
	s_delay_alu instid0(SALU_CYCLE_2)
	s_cmp_gt_f32 s52, 0
	s_cselect_b32 s49, s51, s50
	s_cmp_lt_f32 s46, 0xf800000
	s_wait_alu 0xfffe
	s_mul_f32 s46, s49, 0x37800000
	v_cmp_class_f32_e64 s50, s47, 0x260
	s_wait_alu 0xfffe
	s_delay_alu instid0(SALU_CYCLE_1)
	s_cselect_b32 s46, s46, s49
	s_and_b32 s49, s50, exec_lo
	s_wait_alu 0xfffe
	s_cselect_b32 s46, s47, s46
	s_wait_alu 0xfffe
	s_mul_f32 s45, s45, s46
	s_wait_alu 0xfffe
	s_delay_alu instid0(SALU_CYCLE_2)
	v_mov_b32_e32 v1, s45
.LBB3_134:                              ;   in Loop: Header=BB3_102 Depth=2
	s_and_b32 s45, s48, 0x7fffffff
	s_and_b32 s46, s3, 0x7fffffff
	s_wait_alu 0xfffe
	s_cmp_gt_f32 s45, s46
	s_add_f32 s46, s48, s3
	s_cselect_b32 s45, s3, s48
	s_cselect_b32 s47, s48, s3
	s_wait_alu 0xfffe
	s_cmp_nlt_f32 s46, 0
	s_cbranch_scc0 .LBB3_137
; %bb.135:                              ;   in Loop: Header=BB3_102 Depth=2
	s_cmp_ngt_f32 s46, 0
	s_cbranch_scc0 .LBB3_138
; %bb.136:                              ;   in Loop: Header=BB3_102 Depth=2
	s_delay_alu instid0(VALU_DEP_1)
	v_mul_f32_e32 v2, 0.5, v1
	v_mul_f32_e32 v3, -0.5, v1
	s_cbranch_execz .LBB3_139
	s_branch .LBB3_140
.LBB3_137:                              ;   in Loop: Header=BB3_102 Depth=2
                                        ; implicit-def: $vgpr3
                                        ; implicit-def: $vgpr2
	s_branch .LBB3_141
.LBB3_138:                              ;   in Loop: Header=BB3_102 Depth=2
                                        ; implicit-def: $vgpr3
                                        ; implicit-def: $vgpr2
.LBB3_139:                              ;   in Loop: Header=BB3_102 Depth=2
	s_delay_alu instid0(VALU_DEP_1) | instskip(SKIP_2) | instid1(VALU_DEP_3)
	v_add_f32_e32 v2, s46, v1
	v_cvt_f64_f32_e32 v[3:4], s47
	v_cvt_f64_f32_e32 v[7:8], s44
	v_mul_f32_e32 v2, 0.5, v2
	s_delay_alu instid0(VALU_DEP_1) | instskip(NEXT) | instid1(VALU_DEP_1)
	v_cvt_f64_f32_e32 v[5:6], v2
	v_div_scale_f64 v[9:10], null, v[5:6], v[5:6], v[3:4]
	s_delay_alu instid0(VALU_DEP_4) | instskip(SKIP_1) | instid1(VALU_DEP_3)
	v_div_scale_f64 v[11:12], null, v[5:6], v[5:6], v[7:8]
	v_div_scale_f64 v[21:22], vcc_lo, v[3:4], v[5:6], v[3:4]
	v_rcp_f64_e32 v[13:14], v[9:10]
	s_delay_alu instid0(VALU_DEP_2) | instskip(NEXT) | instid1(TRANS32_DEP_2)
	v_rcp_f64_e32 v[15:16], v[11:12]
	v_fma_f64 v[17:18], -v[9:10], v[13:14], 1.0
	s_delay_alu instid0(TRANS32_DEP_1) | instskip(NEXT) | instid1(VALU_DEP_2)
	v_fma_f64 v[19:20], -v[11:12], v[15:16], 1.0
	v_fma_f64 v[13:14], v[13:14], v[17:18], v[13:14]
	s_delay_alu instid0(VALU_DEP_2) | instskip(NEXT) | instid1(VALU_DEP_2)
	v_fma_f64 v[15:16], v[15:16], v[19:20], v[15:16]
	v_fma_f64 v[17:18], -v[9:10], v[13:14], 1.0
	s_delay_alu instid0(VALU_DEP_2) | instskip(NEXT) | instid1(VALU_DEP_2)
	v_fma_f64 v[19:20], -v[11:12], v[15:16], 1.0
	v_fma_f64 v[13:14], v[13:14], v[17:18], v[13:14]
	v_div_scale_f64 v[17:18], s3, v[7:8], v[5:6], v[7:8]
	s_delay_alu instid0(VALU_DEP_3) | instskip(NEXT) | instid1(VALU_DEP_3)
	v_fma_f64 v[15:16], v[15:16], v[19:20], v[15:16]
	v_mul_f64_e32 v[19:20], v[21:22], v[13:14]
	s_delay_alu instid0(VALU_DEP_2) | instskip(NEXT) | instid1(VALU_DEP_2)
	v_mul_f64_e32 v[23:24], v[17:18], v[15:16]
	v_fma_f64 v[9:10], -v[9:10], v[19:20], v[21:22]
	s_delay_alu instid0(VALU_DEP_2) | instskip(SKIP_1) | instid1(VALU_DEP_2)
	v_fma_f64 v[11:12], -v[11:12], v[23:24], v[17:18]
	s_wait_alu 0xfffd
	v_div_fmas_f64 v[9:10], v[9:10], v[13:14], v[19:20]
	s_mov_b32 vcc_lo, s3
	s_wait_alu 0xfffe
	s_delay_alu instid0(VALU_DEP_2) | instskip(NEXT) | instid1(VALU_DEP_2)
	v_div_fmas_f64 v[11:12], v[11:12], v[15:16], v[23:24]
	v_div_fixup_f64 v[3:4], v[9:10], v[5:6], v[3:4]
	s_delay_alu instid0(VALU_DEP_2) | instskip(SKIP_1) | instid1(VALU_DEP_2)
	v_div_fixup_f64 v[11:12], v[11:12], v[5:6], v[7:8]
	v_cvt_f64_f32_e32 v[5:6], s45
	v_mul_f64_e32 v[7:8], v[11:12], v[7:8]
	s_delay_alu instid0(VALU_DEP_1) | instskip(NEXT) | instid1(VALU_DEP_1)
	v_fma_f64 v[3:4], v[3:4], v[5:6], -v[7:8]
	v_cvt_f32_f64_e32 v3, v[3:4]
.LBB3_140:                              ;   in Loop: Header=BB3_102 Depth=2
	s_cbranch_execnz .LBB3_142
.LBB3_141:                              ;   in Loop: Header=BB3_102 Depth=2
	s_delay_alu instid0(VALU_DEP_1) | instskip(SKIP_2) | instid1(VALU_DEP_3)
	v_sub_f32_e32 v1, s46, v1
	v_cvt_f64_f32_e32 v[3:4], s47
	v_cvt_f64_f32_e32 v[7:8], s44
	v_mul_f32_e32 v2, 0.5, v1
	s_delay_alu instid0(VALU_DEP_1) | instskip(NEXT) | instid1(VALU_DEP_1)
	v_cvt_f64_f32_e32 v[5:6], v2
	v_div_scale_f64 v[9:10], null, v[5:6], v[5:6], v[3:4]
	s_delay_alu instid0(VALU_DEP_4) | instskip(SKIP_1) | instid1(VALU_DEP_3)
	v_div_scale_f64 v[11:12], null, v[5:6], v[5:6], v[7:8]
	v_div_scale_f64 v[21:22], vcc_lo, v[3:4], v[5:6], v[3:4]
	v_rcp_f64_e32 v[13:14], v[9:10]
	s_delay_alu instid0(VALU_DEP_2) | instskip(NEXT) | instid1(TRANS32_DEP_2)
	v_rcp_f64_e32 v[15:16], v[11:12]
	v_fma_f64 v[17:18], -v[9:10], v[13:14], 1.0
	s_delay_alu instid0(TRANS32_DEP_1) | instskip(NEXT) | instid1(VALU_DEP_2)
	v_fma_f64 v[19:20], -v[11:12], v[15:16], 1.0
	v_fma_f64 v[13:14], v[13:14], v[17:18], v[13:14]
	s_delay_alu instid0(VALU_DEP_2) | instskip(NEXT) | instid1(VALU_DEP_2)
	v_fma_f64 v[15:16], v[15:16], v[19:20], v[15:16]
	v_fma_f64 v[17:18], -v[9:10], v[13:14], 1.0
	s_delay_alu instid0(VALU_DEP_2) | instskip(NEXT) | instid1(VALU_DEP_2)
	v_fma_f64 v[19:20], -v[11:12], v[15:16], 1.0
	v_fma_f64 v[13:14], v[13:14], v[17:18], v[13:14]
	v_div_scale_f64 v[17:18], s3, v[7:8], v[5:6], v[7:8]
	s_delay_alu instid0(VALU_DEP_3) | instskip(NEXT) | instid1(VALU_DEP_3)
	v_fma_f64 v[15:16], v[15:16], v[19:20], v[15:16]
	v_mul_f64_e32 v[19:20], v[21:22], v[13:14]
	s_delay_alu instid0(VALU_DEP_2) | instskip(NEXT) | instid1(VALU_DEP_2)
	v_mul_f64_e32 v[23:24], v[17:18], v[15:16]
	v_fma_f64 v[9:10], -v[9:10], v[19:20], v[21:22]
	s_delay_alu instid0(VALU_DEP_2) | instskip(SKIP_1) | instid1(VALU_DEP_2)
	v_fma_f64 v[11:12], -v[11:12], v[23:24], v[17:18]
	s_wait_alu 0xfffd
	v_div_fmas_f64 v[9:10], v[9:10], v[13:14], v[19:20]
	s_mov_b32 vcc_lo, s3
	s_wait_alu 0xfffe
	s_delay_alu instid0(VALU_DEP_2) | instskip(NEXT) | instid1(VALU_DEP_2)
	v_div_fmas_f64 v[11:12], v[11:12], v[15:16], v[23:24]
	v_div_fixup_f64 v[3:4], v[9:10], v[5:6], v[3:4]
	s_delay_alu instid0(VALU_DEP_2) | instskip(SKIP_1) | instid1(VALU_DEP_2)
	v_div_fixup_f64 v[11:12], v[11:12], v[5:6], v[7:8]
	v_cvt_f64_f32_e32 v[5:6], s45
	v_mul_f64_e32 v[7:8], v[11:12], v[7:8]
	s_delay_alu instid0(VALU_DEP_1) | instskip(NEXT) | instid1(VALU_DEP_1)
	v_fma_f64 v[3:4], v[3:4], v[5:6], -v[7:8]
	v_cvt_f32_f64_e32 v3, v[3:4]
.LBB3_142:                              ;   in Loop: Header=BB3_102 Depth=2
	s_clause 0x1
	global_store_b32 v0, v2, s[4:5]
	global_store_b32 v0, v3, s[42:43]
	s_add_co_i32 s38, s38, -2
	global_store_b32 v0, v0, s[40:41]
	s_cbranch_execz .LBB3_101
	s_branch .LBB3_100
.LBB3_143:                              ;   in Loop: Header=BB3_102 Depth=2
	v_mov_b32_e32 v4, v6
.LBB3_144:                              ;   in Loop: Header=BB3_102 Depth=2
	v_mov_b32_e32 v5, v2
.LBB3_145:                              ;   in Loop: Header=BB3_102 Depth=2
	s_delay_alu instid0(VALU_DEP_1) | instskip(NEXT) | instid1(VALU_DEP_3)
	v_mul_f32_e32 v2, v5, v3
	v_add_f32_e32 v1, v1, v4
	s_add_co_i32 s41, s57, 1
	s_mov_b32 s3, -1
	s_clause 0x1
	global_store_b32 v0, v2, s[42:43] offset:-4
	global_store_b32 v0, v1, s[4:5]
	s_and_b32 vcc_lo, exec_lo, s49
	s_wait_alu 0xfffe
	s_cbranch_vccnz .LBB3_126
.LBB3_146:                              ;   in Loop: Header=BB3_102 Depth=2
	s_mov_b32 s57, s41
	s_and_b32 vcc_lo, exec_lo, s3
	s_wait_alu 0xfffe
	s_cbranch_vccz .LBB3_101
	s_branch .LBB3_100
.LBB3_147:
	s_cmp_lt_i32 s33, 2
	s_cbranch_scc1 .LBB3_158
; %bb.148:
	s_load_b64 s[0:1], s[0:1], 0x28
	v_mov_b32_e32 v0, 0
	s_lshl_b64 s[2:3], s[16:17], 2
	s_wait_kmcnt 0x0
	s_wait_alu 0xfffe
	s_add_nc_u64 s[0:1], s[0:1], s[2:3]
	s_mov_b32 s2, 1
	s_branch .LBB3_150
.LBB3_149:                              ;   in Loop: Header=BB3_150 Depth=1
	s_wait_alu 0xfffe
	s_add_co_i32 s2, s2, 1
	s_add_nc_u64 s[10:11], s[10:11], 4
	s_wait_alu 0xfffe
	s_cmp_lg_u32 s33, s2
	s_cbranch_scc0 .LBB3_152
.LBB3_150:                              ; =>This Inner Loop Header: Depth=1
	global_load_b32 v1, v0, s[10:11]
	s_wait_loadcnt 0x0
	v_cmp_eq_f32_e32 vcc_lo, 0, v1
	s_cbranch_vccnz .LBB3_149
; %bb.151:                              ;   in Loop: Header=BB3_150 Depth=1
	global_load_b32 v1, v0, s[0:1]
	s_wait_loadcnt 0x0
	v_add_nc_u32_e32 v1, 1, v1
	global_store_b32 v0, v1, s[0:1]
	s_branch .LBB3_149
.LBB3_152:
	v_mov_b32_e32 v0, 0
	s_add_nc_u64 s[0:1], s[6:7], 4
	s_mov_b32 s2, 1
	s_branch .LBB3_154
.LBB3_153:                              ;   in Loop: Header=BB3_154 Depth=1
	s_add_co_i32 s2, s2, 1
	s_add_nc_u64 s[0:1], s[0:1], 4
	s_wait_alu 0xfffe
	s_cmp_lg_u32 s2, s33
	s_cbranch_scc0 .LBB3_158
.LBB3_154:                              ; =>This Loop Header: Depth=1
                                        ;     Child Loop BB3_155 Depth 2
	s_wait_alu 0xfffe
	s_ashr_i32 s3, s2, 31
	s_add_co_i32 s9, s2, -1
	s_wait_alu 0xfffe
	s_lshl_b64 s[4:5], s[2:3], 2
	s_mov_b64 s[10:11], s[0:1]
	s_wait_alu 0xfffe
	s_add_nc_u64 s[4:5], s[6:7], s[4:5]
	s_mov_b32 s13, s2
	global_load_b32 v1, v0, s[4:5] offset:-4
	s_mov_b32 s8, s9
	s_wait_loadcnt 0x0
	v_readfirstlane_b32 s3, v1
	s_mov_b32 s12, s3
.LBB3_155:                              ;   Parent Loop BB3_154 Depth=1
                                        ; =>  This Inner Loop Header: Depth=2
	global_load_b32 v1, v0, s[10:11]
	s_add_nc_u64 s[10:11], s[10:11], 4
	s_wait_loadcnt 0x0
	v_readfirstlane_b32 s14, v1
	s_wait_alu 0xfffe
	s_cmp_lt_f32 s14, s12
	s_cselect_b32 s12, s14, s12
	s_cselect_b32 s8, s13, s8
	s_add_co_i32 s13, s13, 1
	s_wait_alu 0xfffe
	s_cmp_eq_u32 s33, s13
	s_cbranch_scc0 .LBB3_155
; %bb.156:                              ;   in Loop: Header=BB3_154 Depth=1
	s_cmp_lg_u32 s8, s9
	s_cbranch_scc0 .LBB3_153
; %bb.157:                              ;   in Loop: Header=BB3_154 Depth=1
	s_ashr_i32 s9, s8, 31
	v_dual_mov_b32 v1, s3 :: v_dual_mov_b32 v2, s12
	s_lshl_b64 s[8:9], s[8:9], 2
	s_delay_alu instid0(SALU_CYCLE_1)
	s_add_nc_u64 s[8:9], s[6:7], s[8:9]
	s_clause 0x1
	global_store_b32 v0, v1, s[8:9]
	global_store_b32 v0, v2, s[4:5] offset:-4
	s_branch .LBB3_153
.LBB3_158:
	s_endpgm
	.section	.rodata,"a",@progbits
	.p2align	6, 0x0
	.amdhsa_kernel _ZN9rocsolver6v33100L12sterf_kernelIfEEviPT_lS3_lPiS4_iS2_S2_S2_
		.amdhsa_group_segment_fixed_size 0
		.amdhsa_private_segment_fixed_size 0
		.amdhsa_kernarg_size 72
		.amdhsa_user_sgpr_count 2
		.amdhsa_user_sgpr_dispatch_ptr 0
		.amdhsa_user_sgpr_queue_ptr 0
		.amdhsa_user_sgpr_kernarg_segment_ptr 1
		.amdhsa_user_sgpr_dispatch_id 0
		.amdhsa_user_sgpr_private_segment_size 0
		.amdhsa_wavefront_size32 1
		.amdhsa_uses_dynamic_stack 0
		.amdhsa_enable_private_segment 0
		.amdhsa_system_sgpr_workgroup_id_x 1
		.amdhsa_system_sgpr_workgroup_id_y 0
		.amdhsa_system_sgpr_workgroup_id_z 0
		.amdhsa_system_sgpr_workgroup_info 0
		.amdhsa_system_vgpr_workitem_id 0
		.amdhsa_next_free_vgpr 25
		.amdhsa_next_free_sgpr 66
		.amdhsa_reserve_vcc 1
		.amdhsa_float_round_mode_32 0
		.amdhsa_float_round_mode_16_64 0
		.amdhsa_float_denorm_mode_32 3
		.amdhsa_float_denorm_mode_16_64 3
		.amdhsa_fp16_overflow 0
		.amdhsa_workgroup_processor_mode 1
		.amdhsa_memory_ordered 1
		.amdhsa_forward_progress 1
		.amdhsa_inst_pref_size 82
		.amdhsa_round_robin_scheduling 0
		.amdhsa_exception_fp_ieee_invalid_op 0
		.amdhsa_exception_fp_denorm_src 0
		.amdhsa_exception_fp_ieee_div_zero 0
		.amdhsa_exception_fp_ieee_overflow 0
		.amdhsa_exception_fp_ieee_underflow 0
		.amdhsa_exception_fp_ieee_inexact 0
		.amdhsa_exception_int_div_zero 0
	.end_amdhsa_kernel
	.section	.text._ZN9rocsolver6v33100L12sterf_kernelIfEEviPT_lS3_lPiS4_iS2_S2_S2_,"axG",@progbits,_ZN9rocsolver6v33100L12sterf_kernelIfEEviPT_lS3_lPiS4_iS2_S2_S2_,comdat
.Lfunc_end3:
	.size	_ZN9rocsolver6v33100L12sterf_kernelIfEEviPT_lS3_lPiS4_iS2_S2_S2_, .Lfunc_end3-_ZN9rocsolver6v33100L12sterf_kernelIfEEviPT_lS3_lPiS4_iS2_S2_S2_
                                        ; -- End function
	.set _ZN9rocsolver6v33100L12sterf_kernelIfEEviPT_lS3_lPiS4_iS2_S2_S2_.num_vgpr, 25
	.set _ZN9rocsolver6v33100L12sterf_kernelIfEEviPT_lS3_lPiS4_iS2_S2_S2_.num_agpr, 0
	.set _ZN9rocsolver6v33100L12sterf_kernelIfEEviPT_lS3_lPiS4_iS2_S2_S2_.numbered_sgpr, 66
	.set _ZN9rocsolver6v33100L12sterf_kernelIfEEviPT_lS3_lPiS4_iS2_S2_S2_.num_named_barrier, 0
	.set _ZN9rocsolver6v33100L12sterf_kernelIfEEviPT_lS3_lPiS4_iS2_S2_S2_.private_seg_size, 0
	.set _ZN9rocsolver6v33100L12sterf_kernelIfEEviPT_lS3_lPiS4_iS2_S2_S2_.uses_vcc, 1
	.set _ZN9rocsolver6v33100L12sterf_kernelIfEEviPT_lS3_lPiS4_iS2_S2_S2_.uses_flat_scratch, 0
	.set _ZN9rocsolver6v33100L12sterf_kernelIfEEviPT_lS3_lPiS4_iS2_S2_S2_.has_dyn_sized_stack, 0
	.set _ZN9rocsolver6v33100L12sterf_kernelIfEEviPT_lS3_lPiS4_iS2_S2_S2_.has_recursion, 0
	.set _ZN9rocsolver6v33100L12sterf_kernelIfEEviPT_lS3_lPiS4_iS2_S2_S2_.has_indirect_call, 0
	.section	.AMDGPU.csdata,"",@progbits
; Kernel info:
; codeLenInByte = 10460
; TotalNumSgprs: 68
; NumVgprs: 25
; ScratchSize: 0
; MemoryBound: 0
; FloatMode: 240
; IeeeMode: 1
; LDSByteSize: 0 bytes/workgroup (compile time only)
; SGPRBlocks: 0
; VGPRBlocks: 3
; NumSGPRsForWavesPerEU: 68
; NumVGPRsForWavesPerEU: 25
; Occupancy: 16
; WaveLimiterHint : 0
; COMPUTE_PGM_RSRC2:SCRATCH_EN: 0
; COMPUTE_PGM_RSRC2:USER_SGPR: 2
; COMPUTE_PGM_RSRC2:TRAP_HANDLER: 0
; COMPUTE_PGM_RSRC2:TGID_X_EN: 1
; COMPUTE_PGM_RSRC2:TGID_Y_EN: 0
; COMPUTE_PGM_RSRC2:TGID_Z_EN: 0
; COMPUTE_PGM_RSRC2:TIDIG_COMP_CNT: 0
	.section	.text._ZN9rocsolver6v33100L11lasr_kernelIffPfiEEv13rocblas_side_14rocblas_pivot_15rocblas_direct_T2_S6_PT0_lS8_lT1_lS6_lS6_,"axG",@progbits,_ZN9rocsolver6v33100L11lasr_kernelIffPfiEEv13rocblas_side_14rocblas_pivot_15rocblas_direct_T2_S6_PT0_lS8_lT1_lS6_lS6_,comdat
	.globl	_ZN9rocsolver6v33100L11lasr_kernelIffPfiEEv13rocblas_side_14rocblas_pivot_15rocblas_direct_T2_S6_PT0_lS8_lT1_lS6_lS6_ ; -- Begin function _ZN9rocsolver6v33100L11lasr_kernelIffPfiEEv13rocblas_side_14rocblas_pivot_15rocblas_direct_T2_S6_PT0_lS8_lT1_lS6_lS6_
	.p2align	8
	.type	_ZN9rocsolver6v33100L11lasr_kernelIffPfiEEv13rocblas_side_14rocblas_pivot_15rocblas_direct_T2_S6_PT0_lS8_lT1_lS6_lS6_,@function
_ZN9rocsolver6v33100L11lasr_kernelIffPfiEEv13rocblas_side_14rocblas_pivot_15rocblas_direct_T2_S6_PT0_lS8_lT1_lS6_lS6_: ; @_ZN9rocsolver6v33100L11lasr_kernelIffPfiEEv13rocblas_side_14rocblas_pivot_15rocblas_direct_T2_S6_PT0_lS8_lT1_lS6_lS6_
; %bb.0:
	s_load_b32 s33, s[0:1], 0x58
	s_lshr_b32 s20, ttmp7, 16
	s_wait_kmcnt 0x0
	s_cmp_ge_u32 s20, s33
	s_cbranch_scc1 .LBB4_108
; %bb.1:
	s_clause 0x6
	s_load_b32 s22, s[0:1], 0x48
	s_load_b64 s[24:25], s[0:1], 0x68
	s_load_b128 s[16:19], s[0:1], 0x38
	s_load_b128 s[12:15], s[0:1], 0x0
	s_load_b32 s21, s[0:1], 0x60
	s_load_b32 s76, s[0:1], 0x10
	s_load_b256 s[4:11], s[0:1], 0x18
	v_mov_b32_e32 v34, 0
	s_wait_kmcnt 0x0
	s_ashr_i32 s23, s22, 31
	s_and_b32 s25, s25, 0xffff
	s_lshl_b64 s[2:3], s[18:19], 2
	s_cmp_eq_u32 s12, 0x8d
	v_mad_co_u64_u32 v[0:1], null, ttmp9, s25, v[0:1]
	s_cselect_b32 s28, -1, 0
	s_cmp_eq_u32 s12, 0x8e
	s_load_b64 s[18:19], s[0:1], 0x50
	s_cselect_b32 s29, -1, 0
	s_cmp_eq_u32 s13, 0x119
	s_mul_i32 s12, s21, s25
	s_cselect_b32 s30, -1, 0
	s_cmp_eq_u32 s13, 0x11b
	v_ashrrev_i32_e32 v1, 31, v0
	s_cselect_b32 s0, -1, 0
	s_cmp_eq_u32 s13, 0x11a
	v_mad_co_i64_i32 v[3:4], null, s22, v0, 0
	s_cselect_b32 s1, -1, 0
	s_cmp_eq_u32 s14, 0xab
	v_lshlrev_b64_e32 v[1:2], 2, v[0:1]
	s_cselect_b32 s13, -1, 0
	s_cmp_eq_u32 s14, 0xac
	s_add_nc_u64 s[26:27], s[16:17], s[2:3]
	s_cselect_b32 s21, -1, 0
	s_and_b32 s14, s28, s30
	s_wait_alu 0xfffe
	s_and_b32 s25, s28, s1
	s_and_b32 s28, s28, s0
	;; [unrolled: 1-line block ×5, first 2 shown]
	v_cmp_gt_i32_e64 s0, s15, v0
	s_and_b32 s31, s14, s13
	s_and_b32 s37, s28, s13
	;; [unrolled: 1-line block ×4, first 2 shown]
	s_xor_b32 s14, s31, -1
	s_and_b32 s31, s30, s13
	s_xor_b32 s80, s28, -1
	s_and_b32 s28, s30, s21
	s_wait_alu 0xfffe
	s_and_b32 s30, s1, s13
	s_and_b32 s1, s1, s21
	;; [unrolled: 1-line block ×4, first 2 shown]
	s_xor_b32 s82, s28, -1
	s_and_b32 s13, s29, s13
	s_wait_alu 0xfffe
	s_xor_b32 s84, s1, -1
	s_and_b32 s1, s21, s0
	s_add_co_i32 s28, s76, -1
	s_xor_b32 s25, s34, -1
	s_xor_b32 s77, s35, -1
	;; [unrolled: 1-line block ×7, first 2 shown]
	s_wait_alu 0xfffe
	s_and_b32 s86, s29, s1
	s_ashr_i32 s29, s28, 31
	s_add_co_i32 s38, s76, -2
	s_cmp_gt_i32 s76, 1
	s_mov_b32 s21, 0
	s_cselect_b32 s87, -1, 0
	s_ashr_i32 s35, s15, 31
	s_add_co_i32 s48, s15, -2
	s_cmp_gt_i32 s15, 1
	s_mov_b32 s39, s21
	s_cselect_b32 s88, -1, 0
	s_lshl_b64 s[40:41], s[38:39], 2
	s_mul_u64 s[38:39], s[22:23], s[38:39]
	s_mul_u64 s[30:31], s[22:23], s[28:29]
	s_lshl_b64 s[42:43], s[38:39], 2
	s_mov_b32 s29, s21
	s_add_nc_u64 s[36:37], s[4:5], s[40:41]
	s_add_nc_u64 s[38:39], s[8:9], s[40:41]
	;; [unrolled: 1-line block ×3, first 2 shown]
	s_mul_u64 s[50:51], s[22:23], s[28:29]
	s_add_nc_u64 s[40:41], s[16:17], s[40:41]
	s_lshl_b64 s[50:51], s[50:51], 2
	v_add_co_u32 v16, vcc_lo, s40, v1
	s_add_nc_u64 s[50:51], s[50:51], s[2:3]
	v_add_co_ci_u32_e64 v17, null, s41, v2, vcc_lo
	s_lshl_b64 s[44:45], s[22:23], 2
	v_add_co_u32 v18, vcc_lo, s26, v1
	s_add_nc_u64 s[50:51], s[16:17], s[50:51]
	s_wait_alu 0xfffd
	v_add_co_ci_u32_e64 v19, null, s27, v2, vcc_lo
	s_add_nc_u64 s[52:53], s[2:3], s[44:45]
	v_add_co_u32 v20, vcc_lo, s50, v1
	v_lshlrev_b64_e32 v[3:4], 2, v[3:4]
	s_wait_alu 0xfffd
	v_add_co_ci_u32_e64 v21, null, s51, v2, vcc_lo
	s_add_nc_u64 s[50:51], s[16:17], s[52:53]
	s_mov_b32 s49, s21
	s_wait_alu 0xfffe
	v_add_co_u32 v22, vcc_lo, s50, v1
	s_wait_alu 0xfffd
	v_add_co_ci_u32_e64 v23, null, s51, v2, vcc_lo
	v_add_co_u32 v1, vcc_lo, v3, s2
	s_lshl_b64 s[52:53], s[48:49], 2
	s_wait_alu 0xfffd
	v_add_co_ci_u32_e64 v2, null, s3, v4, vcc_lo
	s_add_nc_u64 s[2:3], s[16:17], s[52:53]
	s_add_co_i32 s48, s15, -1
	s_wait_alu 0xfffe
	v_add_co_u32 v24, vcc_lo, s2, v1
	s_wait_alu 0xfffd
	v_add_co_ci_u32_e64 v25, null, s3, v2, vcc_lo
	s_lshl_b64 s[54:55], s[48:49], 2
	v_add_co_u32 v26, vcc_lo, s16, v1
	s_wait_alu 0xfffd
	v_add_co_ci_u32_e64 v27, null, s17, v2, vcc_lo
	s_add_nc_u64 s[16:17], s[16:17], s[54:55]
	s_ashr_i32 s13, s12, 31
	s_wait_alu 0xfffe
	v_add_co_u32 v28, vcc_lo, s16, v1
	s_wait_alu 0xfffd
	v_add_co_ci_u32_e64 v29, null, s17, v2, vcc_lo
	v_add_co_u32 v30, vcc_lo, v26, 4
	s_wait_alu 0xfffd
	v_add_co_ci_u32_e64 v31, null, 0, v27, vcc_lo
	v_add_co_u32 v32, vcc_lo, v24, 4
	v_cmp_gt_i32_e64 s1, s76, v0
	s_wait_alu 0xfffd
	v_add_co_ci_u32_e64 v33, null, 0, v25, vcc_lo
	s_mul_u64 s[2:3], s[22:23], s[12:13]
	s_mov_b32 s34, s15
	s_lshl_b64 s[6:7], s[6:7], 2
	s_lshl_b64 s[10:11], s[10:11], 2
	s_wait_kmcnt 0x0
	s_lshl_b64 s[40:41], s[18:19], 2
	s_lshl_b64 s[42:43], s[12:13], 2
	s_sub_nc_u64 s[46:47], 0, s[44:45]
	s_add_co_i32 s29, s76, 1
	s_add_nc_u64 s[50:51], s[4:5], s[52:53]
	s_add_nc_u64 s[16:17], s[8:9], s[52:53]
	s_wait_alu 0xfffe
	s_lshl_b64 s[52:53], s[2:3], 2
	s_add_co_i32 s13, s15, 1
	s_branch .LBB4_4
.LBB4_2:                                ;   in Loop: Header=BB4_4 Depth=1
	s_wait_alu 0xfffe
	s_or_b32 exec_lo, exec_lo, s23
.LBB4_3:                                ;   in Loop: Header=BB4_4 Depth=1
	s_add_co_i32 s20, s20, s24
	s_delay_alu instid0(SALU_CYCLE_1)
	s_cmp_ge_u32 s20, s33
	s_cbranch_scc1 .LBB4_108
.LBB4_4:                                ; =>This Loop Header: Depth=1
                                        ;     Child Loop BB4_19 Depth 2
                                        ;       Child Loop BB4_20 Depth 3
                                        ;     Child Loop BB4_26 Depth 2
                                        ;       Child Loop BB4_27 Depth 3
	;; [unrolled: 2-line block ×12, first 2 shown]
	s_mul_u64 s[64:65], s[40:41], s[20:21]
	s_mul_u64 s[56:57], s[18:19], s[20:21]
	s_wait_alu 0xfffe
	v_add_co_u32 v1, vcc_lo, v30, s64
	s_wait_alu 0xfffd
	v_add_co_ci_u32_e64 v2, null, s65, v31, vcc_lo
	s_mul_u64 s[2:3], s[6:7], s[20:21]
	s_mul_u64 s[68:69], s[10:11], s[20:21]
	s_lshl_b64 s[58:59], s[56:57], 2
	s_wait_alu 0xfffe
	s_add_nc_u64 s[54:55], s[4:5], s[2:3]
	s_add_nc_u64 s[56:57], s[8:9], s[68:69]
	;; [unrolled: 1-line block ×3, first 2 shown]
	s_and_b32 vcc_lo, exec_lo, s14
	s_mov_b32 s23, -1
	s_wait_alu 0xfffe
	s_cbranch_vccnz .LBB4_6
; %bb.5:                                ;   in Loop: Header=BB4_4 Depth=1
	s_and_not1_b32 vcc_lo, exec_lo, s23
	s_wait_alu 0xfffe
	s_cbranch_vccnz .LBB4_3
	s_branch .LBB4_103
.LBB4_6:                                ;   in Loop: Header=BB4_4 Depth=1
	s_add_nc_u64 s[60:61], s[50:51], s[2:3]
	s_add_nc_u64 s[62:63], s[16:17], s[68:69]
	s_and_b32 vcc_lo, exec_lo, s25
	s_wait_alu 0xfffe
	s_cbranch_vccz .LBB4_95
; %bb.7:                                ;   in Loop: Header=BB4_4 Depth=1
	s_and_b32 vcc_lo, exec_lo, s77
	s_wait_alu 0xfffe
	s_cbranch_vccz .LBB4_87
; %bb.8:                                ;   in Loop: Header=BB4_4 Depth=1
	;; [unrolled: 4-line block ×3, first 2 shown]
	s_and_b32 vcc_lo, exec_lo, s79
	s_wait_alu 0xfffe
	s_cbranch_vccz .LBB4_71
; %bb.10:                               ;   in Loop: Header=BB4_4 Depth=1
	s_and_b32 vcc_lo, exec_lo, s80
	s_wait_alu 0xfffe
	s_cbranch_vccz .LBB4_63
; %bb.11:                               ;   in Loop: Header=BB4_4 Depth=1
	v_add_co_u32 v3, vcc_lo, v18, s64
	s_wait_alu 0xfffd
	v_add_co_ci_u32_e64 v4, null, s65, v19, vcc_lo
	s_and_b32 vcc_lo, exec_lo, s81
	s_wait_alu 0xfffe
	s_cbranch_vccz .LBB4_55
; %bb.12:                               ;   in Loop: Header=BB4_4 Depth=1
	v_add_co_u32 v5, vcc_lo, v20, s64
	s_wait_alu 0xfffd
	v_add_co_ci_u32_e64 v6, null, s65, v21, vcc_lo
	v_add_co_u32 v7, vcc_lo, v16, s64
	s_wait_alu 0xfffd
	v_add_co_ci_u32_e64 v8, null, s65, v17, vcc_lo
	s_add_nc_u64 s[66:67], s[36:37], s[2:3]
	s_add_nc_u64 s[68:69], s[38:39], s[68:69]
	s_and_b32 vcc_lo, exec_lo, s82
	s_mov_b32 s2, -1
	s_wait_alu 0xfffe
	s_cbranch_vccz .LBB4_46
; %bb.13:                               ;   in Loop: Header=BB4_4 Depth=1
	s_and_b32 vcc_lo, exec_lo, s83
	s_wait_alu 0xfffe
	s_cbranch_vccz .LBB4_38
; %bb.14:                               ;   in Loop: Header=BB4_4 Depth=1
	s_and_b32 vcc_lo, exec_lo, s84
	;; [unrolled: 4-line block ×3, first 2 shown]
	s_wait_alu 0xfffe
	s_cbranch_vccz .LBB4_22
; %bb.16:                               ;   in Loop: Header=BB4_4 Depth=1
	s_and_saveexec_b32 s23, s86
	s_cbranch_execz .LBB4_21
; %bb.17:                               ;   in Loop: Header=BB4_4 Depth=1
	v_dual_mov_b32 v10, v8 :: v_dual_mov_b32 v9, v7
	v_mov_b32_e32 v11, v0
	s_lshl_b64 s[2:3], s[30:31], 2
	s_mov_b32 s49, 0
	s_wait_alu 0xfffe
	s_add_nc_u64 s[70:71], s[58:59], s[2:3]
	s_branch .LBB4_19
.LBB4_18:                               ;   in Loop: Header=BB4_19 Depth=2
	v_add_nc_u32_e32 v11, s12, v11
	v_add_co_u32 v9, s2, v9, s42
	s_wait_alu 0xf1fe
	v_add_co_ci_u32_e64 v10, null, s43, v10, s2
	s_delay_alu instid0(VALU_DEP_3) | instskip(SKIP_3) | instid1(SALU_CYCLE_1)
	v_cmp_le_i32_e32 vcc_lo, s15, v11
	s_wait_loadcnt 0x0
	global_store_b32 v[12:13], v35, off
	s_or_b32 s49, vcc_lo, s49
	s_and_not1_b32 exec_lo, exec_lo, s49
	s_cbranch_execz .LBB4_21
.LBB4_19:                               ;   Parent Loop BB4_4 Depth=1
                                        ; =>  This Loop Header: Depth=2
                                        ;       Child Loop BB4_20 Depth 3
	v_ashrrev_i32_e32 v12, 31, v11
	v_dual_mov_b32 v15, v10 :: v_dual_mov_b32 v14, v9
	s_mov_b64 s[2:3], s[68:69]
	s_mov_b64 s[72:73], s[66:67]
	s_delay_alu instid0(VALU_DEP_2) | instskip(SKIP_2) | instid1(VALU_DEP_1)
	v_lshlrev_b64_e32 v[12:13], 2, v[11:12]
	s_mov_b32 s74, s28
	s_wait_alu 0xfffe
	v_add_co_u32 v12, vcc_lo, s70, v12
	s_wait_alu 0xfffd
	s_delay_alu instid0(VALU_DEP_2)
	v_add_co_ci_u32_e64 v13, null, s71, v13, vcc_lo
	s_and_not1_b32 vcc_lo, exec_lo, s87
	global_load_b32 v35, v[12:13], off
	s_wait_alu 0xfffe
	s_cbranch_vccnz .LBB4_18
.LBB4_20:                               ;   Parent Loop BB4_4 Depth=1
                                        ;     Parent Loop BB4_19 Depth=2
                                        ; =>    This Inner Loop Header: Depth=3
	global_load_b32 v36, v[14:15], off
	s_clause 0x1
	global_load_b32 v37, v34, s[72:73]
	global_load_b32 v38, v34, s[2:3]
	s_add_co_i32 s74, s74, -1
	s_add_nc_u64 s[72:73], s[72:73], -4
	s_cmp_eq_u32 s74, 0
	s_wait_alu 0xfffe
	s_add_nc_u64 s[2:3], s[2:3], -4
	s_wait_loadcnt 0x1
	v_mul_f32_e32 v39, v37, v36
	s_wait_loadcnt 0x0
	s_delay_alu instid0(VALU_DEP_1) | instskip(NEXT) | instid1(VALU_DEP_1)
	v_dual_mul_f32 v36, v38, v36 :: v_dual_fmac_f32 v39, v35, v38
	v_fma_f32 v35, v35, v37, -v36
	global_store_b32 v[14:15], v39, off
	v_add_co_u32 v14, vcc_lo, v14, s46
	s_wait_alu 0xfffd
	v_add_co_ci_u32_e64 v15, null, s47, v15, vcc_lo
	s_cbranch_scc0 .LBB4_20
	s_branch .LBB4_18
.LBB4_21:                               ;   in Loop: Header=BB4_4 Depth=1
	s_wait_alu 0xfffe
	s_or_b32 exec_lo, exec_lo, s23
	s_mov_b32 s2, 0
.LBB4_22:                               ;   in Loop: Header=BB4_4 Depth=1
	s_wait_alu 0xfffe
	s_and_not1_b32 vcc_lo, exec_lo, s2
	s_wait_alu 0xfffe
	s_cbranch_vccnz .LBB4_29
; %bb.23:                               ;   in Loop: Header=BB4_4 Depth=1
	s_and_saveexec_b32 s23, s0
	s_cbranch_execz .LBB4_28
; %bb.24:                               ;   in Loop: Header=BB4_4 Depth=1
	v_dual_mov_b32 v10, v4 :: v_dual_mov_b32 v9, v3
	v_mov_b32_e32 v11, v0
	s_lshl_b64 s[2:3], s[30:31], 2
	s_mov_b32 s49, 0
	s_wait_alu 0xfffe
	s_add_nc_u64 s[70:71], s[58:59], s[2:3]
	s_branch .LBB4_26
.LBB4_25:                               ;   in Loop: Header=BB4_26 Depth=2
	v_add_nc_u32_e32 v11, s12, v11
	v_add_co_u32 v9, s2, v9, s42
	s_wait_alu 0xf1fe
	v_add_co_ci_u32_e64 v10, null, s43, v10, s2
	s_delay_alu instid0(VALU_DEP_3) | instskip(SKIP_3) | instid1(SALU_CYCLE_1)
	v_cmp_le_i32_e32 vcc_lo, s15, v11
	s_wait_loadcnt 0x0
	global_store_b32 v[12:13], v35, off
	s_or_b32 s49, vcc_lo, s49
	s_and_not1_b32 exec_lo, exec_lo, s49
	s_cbranch_execz .LBB4_28
.LBB4_26:                               ;   Parent Loop BB4_4 Depth=1
                                        ; =>  This Loop Header: Depth=2
                                        ;       Child Loop BB4_27 Depth 3
	v_ashrrev_i32_e32 v12, 31, v11
	v_dual_mov_b32 v15, v10 :: v_dual_mov_b32 v14, v9
	s_mov_b64 s[2:3], s[56:57]
	s_mov_b64 s[72:73], s[54:55]
	s_delay_alu instid0(VALU_DEP_2) | instskip(SKIP_2) | instid1(VALU_DEP_1)
	v_lshlrev_b64_e32 v[12:13], 2, v[11:12]
	s_mov_b32 s74, s28
	s_wait_alu 0xfffe
	v_add_co_u32 v12, vcc_lo, s70, v12
	s_wait_alu 0xfffd
	s_delay_alu instid0(VALU_DEP_2)
	v_add_co_ci_u32_e64 v13, null, s71, v13, vcc_lo
	s_and_not1_b32 vcc_lo, exec_lo, s87
	global_load_b32 v35, v[12:13], off
	s_wait_alu 0xfffe
	s_cbranch_vccnz .LBB4_25
.LBB4_27:                               ;   Parent Loop BB4_4 Depth=1
                                        ;     Parent Loop BB4_26 Depth=2
                                        ; =>    This Inner Loop Header: Depth=3
	global_load_b32 v36, v[14:15], off
	s_clause 0x1
	global_load_b32 v37, v34, s[72:73]
	global_load_b32 v38, v34, s[2:3]
	s_add_co_i32 s74, s74, -1
	s_add_nc_u64 s[72:73], s[72:73], 4
	s_cmp_eq_u32 s74, 0
	s_wait_alu 0xfffe
	s_add_nc_u64 s[2:3], s[2:3], 4
	s_wait_loadcnt 0x1
	v_mul_f32_e32 v39, v37, v36
	s_wait_loadcnt 0x0
	s_delay_alu instid0(VALU_DEP_1) | instskip(NEXT) | instid1(VALU_DEP_1)
	v_dual_mul_f32 v36, v38, v36 :: v_dual_fmac_f32 v39, v35, v38
	v_fma_f32 v35, v35, v37, -v36
	global_store_b32 v[14:15], v39, off
	v_add_co_u32 v14, vcc_lo, v14, s44
	s_wait_alu 0xfffd
	v_add_co_ci_u32_e64 v15, null, s45, v15, vcc_lo
	s_cbranch_scc0 .LBB4_27
	s_branch .LBB4_25
.LBB4_28:                               ;   in Loop: Header=BB4_4 Depth=1
	s_wait_alu 0xfffe
	s_or_b32 exec_lo, exec_lo, s23
.LBB4_29:                               ;   in Loop: Header=BB4_4 Depth=1
	s_mov_b32 s2, 0
.LBB4_30:                               ;   in Loop: Header=BB4_4 Depth=1
	s_wait_alu 0xfffe
	s_and_not1_b32 vcc_lo, exec_lo, s2
	s_wait_alu 0xfffe
	s_cbranch_vccnz .LBB4_37
; %bb.31:                               ;   in Loop: Header=BB4_4 Depth=1
	s_and_saveexec_b32 s23, s0
	s_cbranch_execz .LBB4_36
; %bb.32:                               ;   in Loop: Header=BB4_4 Depth=1
	v_dual_mov_b32 v10, v6 :: v_dual_mov_b32 v9, v5
	v_mov_b32_e32 v11, v0
	s_mov_b32 s49, 0
	s_branch .LBB4_34
.LBB4_33:                               ;   in Loop: Header=BB4_34 Depth=2
	v_add_nc_u32_e32 v11, s12, v11
	v_add_co_u32 v9, s2, v9, s42
	s_wait_alu 0xf1fe
	v_add_co_ci_u32_e64 v10, null, s43, v10, s2
	s_delay_alu instid0(VALU_DEP_3) | instskip(SKIP_3) | instid1(SALU_CYCLE_1)
	v_cmp_le_i32_e32 vcc_lo, s15, v11
	s_wait_loadcnt 0x0
	global_store_b32 v[12:13], v35, off
	s_or_b32 s49, vcc_lo, s49
	s_and_not1_b32 exec_lo, exec_lo, s49
	s_cbranch_execz .LBB4_36
.LBB4_34:                               ;   Parent Loop BB4_4 Depth=1
                                        ; =>  This Loop Header: Depth=2
                                        ;       Child Loop BB4_35 Depth 3
	s_delay_alu instid0(VALU_DEP_1) | instskip(SKIP_3) | instid1(VALU_DEP_2)
	v_ashrrev_i32_e32 v12, 31, v11
	v_dual_mov_b32 v15, v10 :: v_dual_mov_b32 v14, v9
	s_mov_b64 s[2:3], s[68:69]
	s_mov_b64 s[70:71], s[66:67]
	v_lshlrev_b64_e32 v[12:13], 2, v[11:12]
	s_mov_b32 s72, s29
	s_delay_alu instid0(VALU_DEP_1) | instskip(SKIP_1) | instid1(VALU_DEP_2)
	v_add_co_u32 v12, vcc_lo, s58, v12
	s_wait_alu 0xfffd
	v_add_co_ci_u32_e64 v13, null, s59, v13, vcc_lo
	s_and_not1_b32 vcc_lo, exec_lo, s87
	global_load_b32 v35, v[12:13], off
	s_wait_alu 0xfffe
	s_cbranch_vccnz .LBB4_33
.LBB4_35:                               ;   Parent Loop BB4_4 Depth=1
                                        ;     Parent Loop BB4_34 Depth=2
                                        ; =>    This Inner Loop Header: Depth=3
	s_clause 0x1
	global_load_b32 v36, v34, s[2:3]
	global_load_b32 v37, v34, s[70:71]
	global_load_b32 v38, v[14:15], off
	s_wait_loadcnt 0x3
	v_mov_b32_e32 v39, v35
	s_add_co_i32 s72, s72, -1
	s_wait_alu 0xfffe
	s_add_nc_u64 s[70:71], s[70:71], -4
	s_cmp_lt_u32 s72, 3
	s_add_nc_u64 s[2:3], s[2:3], -4
	s_wait_loadcnt 0x0
	v_dual_mul_f32 v40, v39, v36 :: v_dual_mul_f32 v35, v36, v38
	s_delay_alu instid0(VALU_DEP_1) | instskip(NEXT) | instid1(VALU_DEP_2)
	v_fma_f32 v36, v37, v38, -v40
	v_fmac_f32_e32 v35, v39, v37
	global_store_b32 v[14:15], v36, off
	v_add_co_u32 v14, vcc_lo, v14, s46
	s_wait_alu 0xfffd
	v_add_co_ci_u32_e64 v15, null, s47, v15, vcc_lo
	s_cbranch_scc0 .LBB4_35
	s_branch .LBB4_33
.LBB4_36:                               ;   in Loop: Header=BB4_4 Depth=1
	s_wait_alu 0xfffe
	s_or_b32 exec_lo, exec_lo, s23
.LBB4_37:                               ;   in Loop: Header=BB4_4 Depth=1
	s_mov_b32 s2, 0
.LBB4_38:                               ;   in Loop: Header=BB4_4 Depth=1
	s_wait_alu 0xfffe
	s_and_not1_b32 vcc_lo, exec_lo, s2
	s_wait_alu 0xfffe
	s_cbranch_vccnz .LBB4_45
; %bb.39:                               ;   in Loop: Header=BB4_4 Depth=1
	s_and_saveexec_b32 s23, s0
	s_cbranch_execz .LBB4_44
; %bb.40:                               ;   in Loop: Header=BB4_4 Depth=1
	v_add_co_u32 v9, vcc_lo, v22, s64
	s_wait_alu 0xfffd
	v_add_co_ci_u32_e64 v10, null, s65, v23, vcc_lo
	v_mov_b32_e32 v11, v0
	s_mov_b32 s49, 0
	s_branch .LBB4_42
.LBB4_41:                               ;   in Loop: Header=BB4_42 Depth=2
	v_add_nc_u32_e32 v11, s12, v11
	v_add_co_u32 v9, s2, v9, s42
	s_wait_alu 0xf1fe
	v_add_co_ci_u32_e64 v10, null, s43, v10, s2
	s_delay_alu instid0(VALU_DEP_3) | instskip(SKIP_3) | instid1(SALU_CYCLE_1)
	v_cmp_le_i32_e32 vcc_lo, s15, v11
	s_wait_loadcnt 0x0
	global_store_b32 v[12:13], v35, off
	s_or_b32 s49, vcc_lo, s49
	s_and_not1_b32 exec_lo, exec_lo, s49
	s_cbranch_execz .LBB4_44
.LBB4_42:                               ;   Parent Loop BB4_4 Depth=1
                                        ; =>  This Loop Header: Depth=2
                                        ;       Child Loop BB4_43 Depth 3
	s_delay_alu instid0(VALU_DEP_1) | instskip(SKIP_3) | instid1(VALU_DEP_2)
	v_ashrrev_i32_e32 v12, 31, v11
	v_dual_mov_b32 v15, v10 :: v_dual_mov_b32 v14, v9
	s_mov_b32 s72, s28
	s_mov_b64 s[2:3], s[54:55]
	v_lshlrev_b64_e32 v[12:13], 2, v[11:12]
	s_mov_b64 s[70:71], s[56:57]
	s_delay_alu instid0(VALU_DEP_1) | instskip(SKIP_1) | instid1(VALU_DEP_2)
	v_add_co_u32 v12, vcc_lo, s58, v12
	s_wait_alu 0xfffd
	v_add_co_ci_u32_e64 v13, null, s59, v13, vcc_lo
	s_and_not1_b32 vcc_lo, exec_lo, s87
	global_load_b32 v35, v[12:13], off
	s_wait_alu 0xfffe
	s_cbranch_vccnz .LBB4_41
.LBB4_43:                               ;   Parent Loop BB4_4 Depth=1
                                        ;     Parent Loop BB4_42 Depth=2
                                        ; =>    This Inner Loop Header: Depth=3
	s_clause 0x1
	global_load_b32 v36, v34, s[70:71]
	global_load_b32 v37, v34, s[2:3]
	global_load_b32 v38, v[14:15], off
	s_wait_loadcnt 0x3
	v_mov_b32_e32 v39, v35
	s_add_co_i32 s72, s72, -1
	s_wait_alu 0xfffe
	s_add_nc_u64 s[70:71], s[70:71], 4
	s_cmp_eq_u32 s72, 0
	s_add_nc_u64 s[2:3], s[2:3], 4
	s_wait_loadcnt 0x0
	v_dual_mul_f32 v40, v39, v36 :: v_dual_mul_f32 v35, v36, v38
	s_delay_alu instid0(VALU_DEP_1) | instskip(NEXT) | instid1(VALU_DEP_2)
	v_fma_f32 v36, v37, v38, -v40
	v_fmac_f32_e32 v35, v39, v37
	global_store_b32 v[14:15], v36, off
	v_add_co_u32 v14, vcc_lo, v14, s44
	s_wait_alu 0xfffd
	v_add_co_ci_u32_e64 v15, null, s45, v15, vcc_lo
	s_cbranch_scc0 .LBB4_43
	s_branch .LBB4_41
.LBB4_44:                               ;   in Loop: Header=BB4_4 Depth=1
	s_wait_alu 0xfffe
	s_or_b32 exec_lo, exec_lo, s23
.LBB4_45:                               ;   in Loop: Header=BB4_4 Depth=1
	s_mov_b32 s2, 0
.LBB4_46:                               ;   in Loop: Header=BB4_4 Depth=1
	s_wait_alu 0xfffe
	s_and_not1_b32 vcc_lo, exec_lo, s2
	s_wait_alu 0xfffe
	s_cbranch_vccnz .LBB4_54
; %bb.47:                               ;   in Loop: Header=BB4_4 Depth=1
	s_and_saveexec_b32 s23, s0
	s_cbranch_execz .LBB4_53
; %bb.48:                               ;   in Loop: Header=BB4_4 Depth=1
	v_mov_b32_e32 v9, v0
	s_lshl_b64 s[2:3], s[30:31], 2
	s_mov_b32 s49, 0
	s_wait_alu 0xfffe
	s_add_nc_u64 s[70:71], s[58:59], s[2:3]
	s_branch .LBB4_50
.LBB4_49:                               ;   in Loop: Header=BB4_50 Depth=2
	v_add_nc_u32_e32 v9, s12, v9
	v_add_co_u32 v10, vcc_lo, s58, v10
	s_wait_alu 0xfffd
	v_add_co_ci_u32_e64 v11, null, s59, v11, vcc_lo
	v_add_co_u32 v5, vcc_lo, v5, s42
	s_wait_alu 0xfffd
	v_add_co_ci_u32_e64 v6, null, s43, v6, vcc_lo
	v_cmp_le_i32_e32 vcc_lo, s15, v9
	v_add_co_u32 v7, s2, v7, s42
	s_wait_alu 0xf1fe
	v_add_co_ci_u32_e64 v8, null, s43, v8, s2
	s_or_b32 s49, vcc_lo, s49
	s_wait_loadcnt 0x0
	global_store_b32 v[10:11], v12, off
	s_and_not1_b32 exec_lo, exec_lo, s49
	s_cbranch_execz .LBB4_53
.LBB4_50:                               ;   Parent Loop BB4_4 Depth=1
                                        ; =>  This Loop Header: Depth=2
                                        ;       Child Loop BB4_52 Depth 3
	v_ashrrev_i32_e32 v10, 31, v9
	s_delay_alu instid0(VALU_DEP_1) | instskip(SKIP_1) | instid1(VALU_DEP_1)
	v_lshlrev_b64_e32 v[10:11], 2, v[9:10]
	s_wait_alu 0xfffe
	v_add_co_u32 v12, vcc_lo, s70, v10
	s_wait_alu 0xfffd
	s_delay_alu instid0(VALU_DEP_2)
	v_add_co_ci_u32_e64 v13, null, s71, v11, vcc_lo
	s_and_not1_b32 vcc_lo, exec_lo, s87
	global_load_b32 v12, v[12:13], off
	s_wait_alu 0xfffe
	s_cbranch_vccnz .LBB4_49
; %bb.51:                               ;   in Loop: Header=BB4_50 Depth=2
	s_mov_b64 s[2:3], 0
	s_mov_b64 s[72:73], s[68:69]
	;; [unrolled: 1-line block ×3, first 2 shown]
	s_mov_b32 s89, s28
.LBB4_52:                               ;   Parent Loop BB4_4 Depth=1
                                        ;     Parent Loop BB4_50 Depth=2
                                        ; =>    This Inner Loop Header: Depth=3
	s_wait_alu 0xfffe
	v_add_co_u32 v13, vcc_lo, v7, s2
	s_wait_alu 0xfffd
	v_add_co_ci_u32_e64 v14, null, s3, v8, vcc_lo
	s_add_co_i32 s89, s89, -1
	s_clause 0x1
	global_load_b32 v15, v34, s[74:75]
	global_load_b32 v35, v34, s[72:73]
	global_load_b32 v14, v[13:14], off
	s_wait_loadcnt 0x3
	v_mov_b32_e32 v36, v12
	v_add_co_u32 v13, vcc_lo, v5, s2
	s_add_nc_u64 s[74:75], s[74:75], -4
	s_cmp_eq_u32 s89, 0
	s_add_nc_u64 s[72:73], s[72:73], -4
	s_wait_loadcnt 0x0
	v_mul_f32_e32 v37, v35, v14
	v_mul_f32_e32 v12, v15, v14
	s_wait_alu 0xfffd
	v_add_co_ci_u32_e64 v14, null, s3, v6, vcc_lo
	s_sub_nc_u64 s[2:3], s[2:3], s[44:45]
	v_fma_f32 v15, v36, v15, -v37
	v_fmac_f32_e32 v12, v36, v35
	global_store_b32 v[13:14], v15, off
	s_cbranch_scc0 .LBB4_52
	s_branch .LBB4_49
.LBB4_53:                               ;   in Loop: Header=BB4_4 Depth=1
	s_wait_alu 0xfffe
	s_or_b32 exec_lo, exec_lo, s23
.LBB4_54:                               ;   in Loop: Header=BB4_4 Depth=1
	s_mov_b32 s23, 0
.LBB4_55:                               ;   in Loop: Header=BB4_4 Depth=1
	s_wait_alu 0xfffe
	s_and_not1_b32 vcc_lo, exec_lo, s23
	s_wait_alu 0xfffe
	s_cbranch_vccnz .LBB4_62
; %bb.56:                               ;   in Loop: Header=BB4_4 Depth=1
	s_and_saveexec_b32 s23, s0
	s_cbranch_execz .LBB4_61
; %bb.57:                               ;   in Loop: Header=BB4_4 Depth=1
	v_mov_b32_e32 v5, v0
	s_lshl_b64 s[2:3], s[30:31], 2
	s_mov_b32 s49, 0
	s_wait_alu 0xfffe
	s_add_nc_u64 s[66:67], s[58:59], s[2:3]
	s_branch .LBB4_59
.LBB4_58:                               ;   in Loop: Header=BB4_59 Depth=2
	v_add_nc_u32_e32 v5, s12, v5
	v_add_co_u32 v6, vcc_lo, s66, v6
	s_wait_alu 0xfffd
	v_add_co_ci_u32_e64 v7, null, s67, v7, vcc_lo
	s_delay_alu instid0(VALU_DEP_3)
	v_cmp_le_i32_e32 vcc_lo, s15, v5
	v_add_co_u32 v3, s2, v3, s42
	s_wait_alu 0xf1fe
	v_add_co_ci_u32_e64 v4, null, s43, v4, s2
	s_or_b32 s49, vcc_lo, s49
	s_wait_loadcnt 0x0
	global_store_b32 v[6:7], v10, off
	s_and_not1_b32 exec_lo, exec_lo, s49
	s_cbranch_execz .LBB4_61
.LBB4_59:                               ;   Parent Loop BB4_4 Depth=1
                                        ; =>  This Loop Header: Depth=2
                                        ;       Child Loop BB4_60 Depth 3
	v_ashrrev_i32_e32 v6, 31, v5
	s_mov_b64 s[2:3], s[56:57]
	s_mov_b64 s[68:69], s[54:55]
	s_mov_b32 s70, s28
	s_delay_alu instid0(VALU_DEP_1) | instskip(NEXT) | instid1(VALU_DEP_1)
	v_lshlrev_b64_e32 v[6:7], 2, v[5:6]
	v_add_co_u32 v8, vcc_lo, s58, v6
	s_wait_alu 0xfffd
	s_delay_alu instid0(VALU_DEP_2)
	v_add_co_ci_u32_e64 v9, null, s59, v7, vcc_lo
	s_and_not1_b32 vcc_lo, exec_lo, s87
	global_load_b32 v10, v[8:9], off
	v_dual_mov_b32 v9, v4 :: v_dual_mov_b32 v8, v3
	s_wait_alu 0xfffe
	s_cbranch_vccnz .LBB4_58
.LBB4_60:                               ;   Parent Loop BB4_4 Depth=1
                                        ;     Parent Loop BB4_59 Depth=2
                                        ; =>    This Inner Loop Header: Depth=3
	s_delay_alu instid0(VALU_DEP_1)
	v_add_co_u32 v11, vcc_lo, v8, s44
	s_wait_alu 0xfffd
	v_add_co_ci_u32_e64 v12, null, s45, v9, vcc_lo
	s_add_co_i32 s70, s70, -1
	global_load_b32 v13, v[11:12], off
	s_clause 0x1
	global_load_b32 v14, v34, s[2:3]
	global_load_b32 v15, v34, s[68:69]
	s_add_nc_u64 s[68:69], s[68:69], 4
	s_wait_alu 0xfffe
	s_cmp_eq_u32 s70, 0
	s_add_nc_u64 s[2:3], s[2:3], 4
	s_wait_loadcnt 0x1
	v_mul_f32_e32 v35, v14, v13
	v_mul_f32_e32 v14, v10, v14
	s_wait_loadcnt 0x0
	s_delay_alu instid0(VALU_DEP_2)
	v_fmac_f32_e32 v35, v10, v15
	global_store_b32 v[8:9], v35, off
	v_dual_mov_b32 v8, v11 :: v_dual_mov_b32 v9, v12
	v_fma_f32 v10, v15, v13, -v14
	s_cbranch_scc0 .LBB4_60
	s_branch .LBB4_58
.LBB4_61:                               ;   in Loop: Header=BB4_4 Depth=1
	s_wait_alu 0xfffe
	s_or_b32 exec_lo, exec_lo, s23
.LBB4_62:                               ;   in Loop: Header=BB4_4 Depth=1
	s_mov_b32 s23, 0
.LBB4_63:                               ;   in Loop: Header=BB4_4 Depth=1
	s_wait_alu 0xfffe
	s_and_not1_b32 vcc_lo, exec_lo, s23
	s_wait_alu 0xfffe
	s_cbranch_vccnz .LBB4_70
; %bb.64:                               ;   in Loop: Header=BB4_4 Depth=1
	s_and_saveexec_b32 s23, s1
	s_cbranch_execz .LBB4_69
; %bb.65:                               ;   in Loop: Header=BB4_4 Depth=1
	v_add_co_u32 v3, vcc_lo, v24, s64
	s_wait_alu 0xfffd
	v_add_co_ci_u32_e64 v4, null, s65, v25, vcc_lo
	v_mov_b32_e32 v9, v0
	s_lshl_b64 s[2:3], s[34:35], 2
	s_mov_b32 s49, 0
	s_wait_alu 0xfffe
	s_add_nc_u64 s[66:67], s[58:59], s[2:3]
	s_branch .LBB4_67
.LBB4_66:                               ;   in Loop: Header=BB4_67 Depth=2
	v_add_nc_u32_e32 v9, s12, v9
	v_add_co_u32 v3, s2, v3, s52
	s_wait_alu 0xf1fe
	v_add_co_ci_u32_e64 v4, null, s53, v4, s2
	s_delay_alu instid0(VALU_DEP_3) | instskip(SKIP_3) | instid1(SALU_CYCLE_1)
	v_cmp_le_i32_e32 vcc_lo, s76, v9
	s_wait_loadcnt 0x0
	global_store_b32 v[5:6], v10, off offset:-4
	s_or_b32 s49, vcc_lo, s49
	s_and_not1_b32 exec_lo, exec_lo, s49
	s_cbranch_execz .LBB4_69
.LBB4_67:                               ;   Parent Loop BB4_4 Depth=1
                                        ; =>  This Loop Header: Depth=2
                                        ;       Child Loop BB4_68 Depth 3
	v_mad_co_i64_i32 v[5:6], null, v9, s22, 0
	v_dual_mov_b32 v8, v4 :: v_dual_mov_b32 v7, v3
	s_mov_b64 s[2:3], s[62:63]
	s_mov_b64 s[68:69], s[60:61]
	s_mov_b32 s70, s48
	s_delay_alu instid0(VALU_DEP_2) | instskip(SKIP_1) | instid1(VALU_DEP_1)
	v_lshlrev_b64_e32 v[5:6], 2, v[5:6]
	s_wait_alu 0xfffe
	v_add_co_u32 v5, vcc_lo, s66, v5
	s_wait_alu 0xfffd
	s_delay_alu instid0(VALU_DEP_2)
	v_add_co_ci_u32_e64 v6, null, s67, v6, vcc_lo
	s_and_not1_b32 vcc_lo, exec_lo, s88
	global_load_b32 v10, v[5:6], off offset:-4
	s_wait_alu 0xfffe
	s_cbranch_vccnz .LBB4_66
.LBB4_68:                               ;   Parent Loop BB4_4 Depth=1
                                        ;     Parent Loop BB4_67 Depth=2
                                        ; =>    This Inner Loop Header: Depth=3
	global_load_b32 v11, v[7:8], off
	s_clause 0x1
	global_load_b32 v12, v34, s[68:69]
	global_load_b32 v13, v34, s[2:3]
	s_add_co_i32 s70, s70, -1
	s_add_nc_u64 s[68:69], s[68:69], -4
	s_wait_alu 0xfffe
	s_cmp_eq_u32 s70, 0
	s_add_nc_u64 s[2:3], s[2:3], -4
	s_wait_loadcnt 0x1
	v_mul_f32_e32 v14, v12, v11
	s_wait_loadcnt 0x0
	s_delay_alu instid0(VALU_DEP_1) | instskip(NEXT) | instid1(VALU_DEP_1)
	v_dual_mul_f32 v11, v13, v11 :: v_dual_fmac_f32 v14, v10, v13
	v_fma_f32 v10, v10, v12, -v11
	global_store_b32 v[7:8], v14, off
	v_add_co_u32 v7, vcc_lo, v7, -4
	s_wait_alu 0xfffd
	v_add_co_ci_u32_e64 v8, null, -1, v8, vcc_lo
	s_cbranch_scc0 .LBB4_68
	s_branch .LBB4_66
.LBB4_69:                               ;   in Loop: Header=BB4_4 Depth=1
	s_wait_alu 0xfffe
	s_or_b32 exec_lo, exec_lo, s23
.LBB4_70:                               ;   in Loop: Header=BB4_4 Depth=1
	s_mov_b32 s23, 0
.LBB4_71:                               ;   in Loop: Header=BB4_4 Depth=1
	s_wait_alu 0xfffe
	s_and_not1_b32 vcc_lo, exec_lo, s23
	s_wait_alu 0xfffe
	s_cbranch_vccnz .LBB4_78
; %bb.72:                               ;   in Loop: Header=BB4_4 Depth=1
	s_and_saveexec_b32 s23, s1
	s_cbranch_execz .LBB4_77
; %bb.73:                               ;   in Loop: Header=BB4_4 Depth=1
	v_add_co_u32 v3, vcc_lo, v26, s64
	s_wait_alu 0xfffd
	v_add_co_ci_u32_e64 v4, null, s65, v27, vcc_lo
	v_mov_b32_e32 v9, v0
	s_lshl_b64 s[2:3], s[34:35], 2
	s_mov_b32 s49, 0
	s_wait_alu 0xfffe
	s_add_nc_u64 s[66:67], s[58:59], s[2:3]
	s_branch .LBB4_75
.LBB4_74:                               ;   in Loop: Header=BB4_75 Depth=2
	v_add_nc_u32_e32 v9, s12, v9
	v_add_co_u32 v3, s2, v3, s52
	s_wait_alu 0xf1fe
	v_add_co_ci_u32_e64 v4, null, s53, v4, s2
	s_delay_alu instid0(VALU_DEP_3) | instskip(SKIP_3) | instid1(SALU_CYCLE_1)
	v_cmp_le_i32_e32 vcc_lo, s76, v9
	s_wait_loadcnt 0x0
	global_store_b32 v[5:6], v10, off offset:-4
	s_or_b32 s49, vcc_lo, s49
	s_and_not1_b32 exec_lo, exec_lo, s49
	s_cbranch_execz .LBB4_77
.LBB4_75:                               ;   Parent Loop BB4_4 Depth=1
                                        ; =>  This Loop Header: Depth=2
                                        ;       Child Loop BB4_76 Depth 3
	v_mad_co_i64_i32 v[5:6], null, v9, s22, 0
	v_dual_mov_b32 v8, v4 :: v_dual_mov_b32 v7, v3
	s_mov_b64 s[2:3], s[56:57]
	s_mov_b64 s[68:69], s[54:55]
	s_mov_b32 s70, s48
	s_delay_alu instid0(VALU_DEP_2) | instskip(SKIP_1) | instid1(VALU_DEP_1)
	v_lshlrev_b64_e32 v[5:6], 2, v[5:6]
	s_wait_alu 0xfffe
	v_add_co_u32 v5, vcc_lo, s66, v5
	s_wait_alu 0xfffd
	s_delay_alu instid0(VALU_DEP_2)
	v_add_co_ci_u32_e64 v6, null, s67, v6, vcc_lo
	s_and_not1_b32 vcc_lo, exec_lo, s88
	global_load_b32 v10, v[5:6], off offset:-4
	s_wait_alu 0xfffe
	s_cbranch_vccnz .LBB4_74
.LBB4_76:                               ;   Parent Loop BB4_4 Depth=1
                                        ;     Parent Loop BB4_75 Depth=2
                                        ; =>    This Inner Loop Header: Depth=3
	global_load_b32 v11, v[7:8], off
	s_clause 0x1
	global_load_b32 v12, v34, s[68:69]
	global_load_b32 v13, v34, s[2:3]
	s_add_co_i32 s70, s70, -1
	s_add_nc_u64 s[68:69], s[68:69], 4
	s_wait_alu 0xfffe
	s_cmp_eq_u32 s70, 0
	s_add_nc_u64 s[2:3], s[2:3], 4
	s_wait_loadcnt 0x1
	v_mul_f32_e32 v14, v12, v11
	s_wait_loadcnt 0x0
	s_delay_alu instid0(VALU_DEP_1) | instskip(NEXT) | instid1(VALU_DEP_1)
	v_dual_mul_f32 v11, v13, v11 :: v_dual_fmac_f32 v14, v10, v13
	v_fma_f32 v10, v10, v12, -v11
	global_store_b32 v[7:8], v14, off
	v_add_co_u32 v7, vcc_lo, v7, 4
	s_wait_alu 0xfffd
	v_add_co_ci_u32_e64 v8, null, 0, v8, vcc_lo
	s_cbranch_scc0 .LBB4_76
	s_branch .LBB4_74
.LBB4_77:                               ;   in Loop: Header=BB4_4 Depth=1
	s_wait_alu 0xfffe
	s_or_b32 exec_lo, exec_lo, s23
.LBB4_78:                               ;   in Loop: Header=BB4_4 Depth=1
	s_mov_b32 s23, 0
.LBB4_79:                               ;   in Loop: Header=BB4_4 Depth=1
	s_wait_alu 0xfffe
	s_and_not1_b32 vcc_lo, exec_lo, s23
	s_wait_alu 0xfffe
	s_cbranch_vccnz .LBB4_86
; %bb.80:                               ;   in Loop: Header=BB4_4 Depth=1
	s_and_saveexec_b32 s23, s1
	s_cbranch_execz .LBB4_85
; %bb.81:                               ;   in Loop: Header=BB4_4 Depth=1
	v_add_co_u32 v3, vcc_lo, v28, s64
	s_wait_alu 0xfffd
	v_add_co_ci_u32_e64 v4, null, s65, v29, vcc_lo
	v_mov_b32_e32 v9, v0
	s_mov_b32 s49, 0
	s_branch .LBB4_83
.LBB4_82:                               ;   in Loop: Header=BB4_83 Depth=2
	v_add_nc_u32_e32 v9, s12, v9
	v_add_co_u32 v3, s2, v3, s52
	s_wait_alu 0xf1fe
	v_add_co_ci_u32_e64 v4, null, s53, v4, s2
	s_delay_alu instid0(VALU_DEP_3) | instskip(SKIP_3) | instid1(SALU_CYCLE_1)
	v_cmp_le_i32_e32 vcc_lo, s76, v9
	s_wait_loadcnt 0x0
	global_store_b32 v[5:6], v10, off
	s_or_b32 s49, vcc_lo, s49
	s_and_not1_b32 exec_lo, exec_lo, s49
	s_cbranch_execz .LBB4_85
.LBB4_83:                               ;   Parent Loop BB4_4 Depth=1
                                        ; =>  This Loop Header: Depth=2
                                        ;       Child Loop BB4_84 Depth 3
	s_delay_alu instid0(VALU_DEP_1) | instskip(SKIP_4) | instid1(VALU_DEP_2)
	v_mad_co_i64_i32 v[5:6], null, v9, s22, 0
	v_dual_mov_b32 v8, v4 :: v_dual_mov_b32 v7, v3
	s_mov_b64 s[2:3], s[62:63]
	s_mov_b64 s[66:67], s[60:61]
	s_mov_b32 s68, s13
	v_lshlrev_b64_e32 v[5:6], 2, v[5:6]
	s_delay_alu instid0(VALU_DEP_1) | instskip(SKIP_1) | instid1(VALU_DEP_2)
	v_add_co_u32 v5, vcc_lo, s58, v5
	s_wait_alu 0xfffd
	v_add_co_ci_u32_e64 v6, null, s59, v6, vcc_lo
	s_and_not1_b32 vcc_lo, exec_lo, s88
	global_load_b32 v10, v[5:6], off
	s_wait_alu 0xfffe
	s_cbranch_vccnz .LBB4_82
.LBB4_84:                               ;   Parent Loop BB4_4 Depth=1
                                        ;     Parent Loop BB4_83 Depth=2
                                        ; =>    This Inner Loop Header: Depth=3
	s_clause 0x1
	global_load_b32 v11, v34, s[2:3]
	global_load_b32 v12, v34, s[66:67]
	global_load_b32 v13, v[7:8], off
	s_wait_loadcnt 0x3
	v_mov_b32_e32 v14, v10
	s_add_co_i32 s68, s68, -1
	s_wait_alu 0xfffe
	s_add_nc_u64 s[66:67], s[66:67], -4
	s_cmp_lt_u32 s68, 3
	s_add_nc_u64 s[2:3], s[2:3], -4
	s_wait_loadcnt 0x0
	v_dual_mul_f32 v15, v14, v11 :: v_dual_mul_f32 v10, v11, v13
	s_delay_alu instid0(VALU_DEP_1) | instskip(NEXT) | instid1(VALU_DEP_2)
	v_fma_f32 v11, v12, v13, -v15
	v_fmac_f32_e32 v10, v14, v12
	global_store_b32 v[7:8], v11, off
	v_add_co_u32 v7, vcc_lo, v7, -4
	s_wait_alu 0xfffd
	v_add_co_ci_u32_e64 v8, null, -1, v8, vcc_lo
	s_cbranch_scc0 .LBB4_84
	s_branch .LBB4_82
.LBB4_85:                               ;   in Loop: Header=BB4_4 Depth=1
	s_wait_alu 0xfffe
	s_or_b32 exec_lo, exec_lo, s23
.LBB4_86:                               ;   in Loop: Header=BB4_4 Depth=1
	s_mov_b32 s23, 0
.LBB4_87:                               ;   in Loop: Header=BB4_4 Depth=1
	s_wait_alu 0xfffe
	s_and_not1_b32 vcc_lo, exec_lo, s23
	s_wait_alu 0xfffe
	s_cbranch_vccnz .LBB4_94
; %bb.88:                               ;   in Loop: Header=BB4_4 Depth=1
	s_and_saveexec_b32 s23, s1
	s_cbranch_execz .LBB4_93
; %bb.89:                               ;   in Loop: Header=BB4_4 Depth=1
	v_dual_mov_b32 v4, v2 :: v_dual_mov_b32 v3, v1
	v_mov_b32_e32 v9, v0
	s_mov_b32 s49, 0
	s_branch .LBB4_91
.LBB4_90:                               ;   in Loop: Header=BB4_91 Depth=2
	v_add_nc_u32_e32 v9, s12, v9
	v_add_co_u32 v3, s2, v3, s52
	s_wait_alu 0xf1fe
	v_add_co_ci_u32_e64 v4, null, s53, v4, s2
	s_delay_alu instid0(VALU_DEP_3) | instskip(SKIP_3) | instid1(SALU_CYCLE_1)
	v_cmp_le_i32_e32 vcc_lo, s76, v9
	s_wait_loadcnt 0x0
	global_store_b32 v[5:6], v10, off
	s_or_b32 s49, vcc_lo, s49
	s_and_not1_b32 exec_lo, exec_lo, s49
	s_cbranch_execz .LBB4_93
.LBB4_91:                               ;   Parent Loop BB4_4 Depth=1
                                        ; =>  This Loop Header: Depth=2
                                        ;       Child Loop BB4_92 Depth 3
	s_delay_alu instid0(VALU_DEP_1) | instskip(SKIP_4) | instid1(VALU_DEP_2)
	v_mad_co_i64_i32 v[5:6], null, v9, s22, 0
	v_dual_mov_b32 v8, v4 :: v_dual_mov_b32 v7, v3
	s_mov_b32 s68, s48
	s_mov_b64 s[2:3], s[54:55]
	s_mov_b64 s[66:67], s[56:57]
	v_lshlrev_b64_e32 v[5:6], 2, v[5:6]
	s_delay_alu instid0(VALU_DEP_1) | instskip(SKIP_1) | instid1(VALU_DEP_2)
	v_add_co_u32 v5, vcc_lo, s58, v5
	s_wait_alu 0xfffd
	v_add_co_ci_u32_e64 v6, null, s59, v6, vcc_lo
	s_and_not1_b32 vcc_lo, exec_lo, s88
	global_load_b32 v10, v[5:6], off
	s_wait_alu 0xfffe
	s_cbranch_vccnz .LBB4_90
.LBB4_92:                               ;   Parent Loop BB4_4 Depth=1
                                        ;     Parent Loop BB4_91 Depth=2
                                        ; =>    This Inner Loop Header: Depth=3
	s_clause 0x1
	global_load_b32 v11, v34, s[66:67]
	global_load_b32 v12, v34, s[2:3]
	global_load_b32 v13, v[7:8], off
	s_wait_loadcnt 0x3
	v_mov_b32_e32 v14, v10
	s_add_co_i32 s68, s68, -1
	s_wait_alu 0xfffe
	s_add_nc_u64 s[66:67], s[66:67], 4
	s_cmp_eq_u32 s68, 0
	s_add_nc_u64 s[2:3], s[2:3], 4
	s_wait_loadcnt 0x0
	v_dual_mul_f32 v15, v14, v11 :: v_dual_mul_f32 v10, v11, v13
	s_delay_alu instid0(VALU_DEP_1) | instskip(NEXT) | instid1(VALU_DEP_2)
	v_fma_f32 v11, v12, v13, -v15
	v_fmac_f32_e32 v10, v14, v12
	global_store_b32 v[7:8], v11, off
	v_add_co_u32 v7, vcc_lo, v7, 4
	s_wait_alu 0xfffd
	v_add_co_ci_u32_e64 v8, null, 0, v8, vcc_lo
	s_cbranch_scc0 .LBB4_92
	s_branch .LBB4_90
.LBB4_93:                               ;   in Loop: Header=BB4_4 Depth=1
	s_wait_alu 0xfffe
	s_or_b32 exec_lo, exec_lo, s23
.LBB4_94:                               ;   in Loop: Header=BB4_4 Depth=1
	s_mov_b32 s23, 0
.LBB4_95:                               ;   in Loop: Header=BB4_4 Depth=1
	s_wait_alu 0xfffe
	s_and_not1_b32 vcc_lo, exec_lo, s23
	s_wait_alu 0xfffe
	s_cbranch_vccnz .LBB4_102
; %bb.96:                               ;   in Loop: Header=BB4_4 Depth=1
	s_and_saveexec_b32 s23, s1
	s_cbranch_execz .LBB4_101
; %bb.97:                               ;   in Loop: Header=BB4_4 Depth=1
	v_add_co_u32 v3, vcc_lo, v32, s64
	s_wait_alu 0xfffd
	v_add_co_ci_u32_e64 v4, null, s65, v33, vcc_lo
	v_mov_b32_e32 v9, v0
	s_lshl_b64 s[2:3], s[34:35], 2
	s_mov_b32 s49, 0
	s_wait_alu 0xfffe
	s_add_nc_u64 s[64:65], s[58:59], s[2:3]
	s_branch .LBB4_99
.LBB4_98:                               ;   in Loop: Header=BB4_99 Depth=2
	v_add_nc_u32_e32 v9, s12, v9
	v_add_co_u32 v5, vcc_lo, s58, v5
	s_wait_alu 0xfffd
	v_add_co_ci_u32_e64 v6, null, s59, v6, vcc_lo
	s_delay_alu instid0(VALU_DEP_3)
	v_cmp_le_i32_e32 vcc_lo, s76, v9
	v_add_co_u32 v3, s2, v3, s52
	s_wait_alu 0xf1fe
	v_add_co_ci_u32_e64 v4, null, s53, v4, s2
	s_or_b32 s49, vcc_lo, s49
	s_wait_loadcnt 0x0
	global_store_b32 v[5:6], v10, off
	s_and_not1_b32 exec_lo, exec_lo, s49
	s_cbranch_execz .LBB4_101
.LBB4_99:                               ;   Parent Loop BB4_4 Depth=1
                                        ; =>  This Loop Header: Depth=2
                                        ;       Child Loop BB4_100 Depth 3
	v_mad_co_i64_i32 v[5:6], null, v9, s22, 0
	s_mov_b64 s[2:3], s[62:63]
	s_mov_b64 s[66:67], s[60:61]
	s_mov_b32 s68, s48
	v_lshlrev_b64_e32 v[5:6], 2, v[5:6]
	s_wait_alu 0xfffe
	s_delay_alu instid0(VALU_DEP_1) | instskip(SKIP_1) | instid1(VALU_DEP_2)
	v_add_co_u32 v7, vcc_lo, s64, v5
	s_wait_alu 0xfffd
	v_add_co_ci_u32_e64 v8, null, s65, v6, vcc_lo
	s_and_not1_b32 vcc_lo, exec_lo, s88
	global_load_b32 v10, v[7:8], off offset:-4
	v_dual_mov_b32 v8, v4 :: v_dual_mov_b32 v7, v3
	s_wait_alu 0xfffe
	s_cbranch_vccnz .LBB4_98
.LBB4_100:                              ;   Parent Loop BB4_4 Depth=1
                                        ;     Parent Loop BB4_99 Depth=2
                                        ; =>    This Inner Loop Header: Depth=3
	global_load_b32 v11, v[7:8], off offset:-4
	s_clause 0x1
	global_load_b32 v13, v34, s[2:3]
	global_load_b32 v12, v34, s[66:67]
	s_wait_loadcnt 0x3
	v_mov_b32_e32 v14, v10
	s_add_co_i32 s68, s68, -1
	s_wait_alu 0xfffe
	s_add_nc_u64 s[66:67], s[66:67], -4
	s_cmp_eq_u32 s68, 0
	s_add_nc_u64 s[2:3], s[2:3], -4
	s_wait_loadcnt 0x1
	v_mul_f32_e32 v15, v13, v11
	s_wait_loadcnt 0x0
	v_mul_f32_e32 v10, v12, v11
	v_add_co_u32 v11, vcc_lo, v7, -4
	s_delay_alu instid0(VALU_DEP_3)
	v_fma_f32 v15, v14, v12, -v15
	s_wait_alu 0xfffd
	v_add_co_ci_u32_e64 v12, null, -1, v8, vcc_lo
	global_store_b32 v[7:8], v15, off
	v_dual_mov_b32 v7, v11 :: v_dual_fmac_f32 v10, v14, v13
	v_mov_b32_e32 v8, v12
	s_cbranch_scc0 .LBB4_100
	s_branch .LBB4_98
.LBB4_101:                              ;   in Loop: Header=BB4_4 Depth=1
	s_wait_alu 0xfffe
	s_or_b32 exec_lo, exec_lo, s23
.LBB4_102:                              ;   in Loop: Header=BB4_4 Depth=1
	s_cbranch_execnz .LBB4_3
.LBB4_103:                              ;   in Loop: Header=BB4_4 Depth=1
	s_and_saveexec_b32 s23, s1
	s_cbranch_execz .LBB4_2
; %bb.104:                              ;   in Loop: Header=BB4_4 Depth=1
	v_mov_b32_e32 v7, v0
	s_lshl_b64 s[2:3], s[34:35], 2
	s_mov_b32 s49, 0
	s_wait_alu 0xfffe
	s_add_nc_u64 s[60:61], s[58:59], s[2:3]
	s_branch .LBB4_106
.LBB4_105:                              ;   in Loop: Header=BB4_106 Depth=2
	v_add_nc_u32_e32 v7, s12, v7
	v_add_co_u32 v3, vcc_lo, s60, v3
	s_wait_alu 0xfffd
	v_add_co_ci_u32_e64 v4, null, s61, v4, vcc_lo
	s_delay_alu instid0(VALU_DEP_3)
	v_cmp_le_i32_e32 vcc_lo, s76, v7
	v_add_co_u32 v1, s2, v1, s52
	s_wait_alu 0xf1fe
	v_add_co_ci_u32_e64 v2, null, s53, v2, s2
	s_or_b32 s49, vcc_lo, s49
	s_wait_loadcnt 0x0
	global_store_b32 v[3:4], v8, off offset:-4
	s_and_not1_b32 exec_lo, exec_lo, s49
	s_cbranch_execz .LBB4_2
.LBB4_106:                              ;   Parent Loop BB4_4 Depth=1
                                        ; =>  This Loop Header: Depth=2
                                        ;       Child Loop BB4_107 Depth 3
	v_mad_co_i64_i32 v[3:4], null, v7, s22, 0
	s_mov_b64 s[2:3], s[56:57]
	s_mov_b64 s[62:63], s[54:55]
	s_mov_b32 s64, s48
	v_lshlrev_b64_e32 v[3:4], 2, v[3:4]
	s_delay_alu instid0(VALU_DEP_1) | instskip(SKIP_1) | instid1(VALU_DEP_2)
	v_add_co_u32 v5, vcc_lo, s58, v3
	s_wait_alu 0xfffd
	v_add_co_ci_u32_e64 v6, null, s59, v4, vcc_lo
	s_and_not1_b32 vcc_lo, exec_lo, s88
	global_load_b32 v8, v[5:6], off
	v_dual_mov_b32 v6, v2 :: v_dual_mov_b32 v5, v1
	s_wait_alu 0xfffe
	s_cbranch_vccnz .LBB4_105
.LBB4_107:                              ;   Parent Loop BB4_4 Depth=1
                                        ;     Parent Loop BB4_106 Depth=2
                                        ; =>    This Inner Loop Header: Depth=3
	global_load_b32 v9, v[5:6], off
	s_clause 0x1
	global_load_b32 v10, v34, s[2:3]
	global_load_b32 v11, v34, s[62:63]
	s_add_co_i32 s64, s64, -1
	s_add_nc_u64 s[62:63], s[62:63], 4
	s_wait_alu 0xfffe
	s_cmp_eq_u32 s64, 0
	s_add_nc_u64 s[2:3], s[2:3], 4
	s_wait_loadcnt 0x1
	v_mul_f32_e32 v12, v10, v9
	v_mul_f32_e32 v10, v8, v10
	s_wait_loadcnt 0x0
	s_delay_alu instid0(VALU_DEP_2) | instskip(NEXT) | instid1(VALU_DEP_2)
	v_fmac_f32_e32 v12, v8, v11
	v_fma_f32 v8, v11, v9, -v10
	global_store_b32 v[5:6], v12, off offset:-4
	v_add_co_u32 v5, vcc_lo, v5, 4
	s_wait_alu 0xfffd
	v_add_co_ci_u32_e64 v6, null, 0, v6, vcc_lo
	s_cbranch_scc0 .LBB4_107
	s_branch .LBB4_105
.LBB4_108:
	s_endpgm
	.section	.rodata,"a",@progbits
	.p2align	6, 0x0
	.amdhsa_kernel _ZN9rocsolver6v33100L11lasr_kernelIffPfiEEv13rocblas_side_14rocblas_pivot_15rocblas_direct_T2_S6_PT0_lS8_lT1_lS6_lS6_
		.amdhsa_group_segment_fixed_size 0
		.amdhsa_private_segment_fixed_size 0
		.amdhsa_kernarg_size 352
		.amdhsa_user_sgpr_count 2
		.amdhsa_user_sgpr_dispatch_ptr 0
		.amdhsa_user_sgpr_queue_ptr 0
		.amdhsa_user_sgpr_kernarg_segment_ptr 1
		.amdhsa_user_sgpr_dispatch_id 0
		.amdhsa_user_sgpr_private_segment_size 0
		.amdhsa_wavefront_size32 1
		.amdhsa_uses_dynamic_stack 0
		.amdhsa_enable_private_segment 0
		.amdhsa_system_sgpr_workgroup_id_x 1
		.amdhsa_system_sgpr_workgroup_id_y 0
		.amdhsa_system_sgpr_workgroup_id_z 1
		.amdhsa_system_sgpr_workgroup_info 0
		.amdhsa_system_vgpr_workitem_id 0
		.amdhsa_next_free_vgpr 41
		.amdhsa_next_free_sgpr 90
		.amdhsa_reserve_vcc 1
		.amdhsa_float_round_mode_32 0
		.amdhsa_float_round_mode_16_64 0
		.amdhsa_float_denorm_mode_32 3
		.amdhsa_float_denorm_mode_16_64 3
		.amdhsa_fp16_overflow 0
		.amdhsa_workgroup_processor_mode 1
		.amdhsa_memory_ordered 1
		.amdhsa_forward_progress 1
		.amdhsa_inst_pref_size 42
		.amdhsa_round_robin_scheduling 0
		.amdhsa_exception_fp_ieee_invalid_op 0
		.amdhsa_exception_fp_denorm_src 0
		.amdhsa_exception_fp_ieee_div_zero 0
		.amdhsa_exception_fp_ieee_overflow 0
		.amdhsa_exception_fp_ieee_underflow 0
		.amdhsa_exception_fp_ieee_inexact 0
		.amdhsa_exception_int_div_zero 0
	.end_amdhsa_kernel
	.section	.text._ZN9rocsolver6v33100L11lasr_kernelIffPfiEEv13rocblas_side_14rocblas_pivot_15rocblas_direct_T2_S6_PT0_lS8_lT1_lS6_lS6_,"axG",@progbits,_ZN9rocsolver6v33100L11lasr_kernelIffPfiEEv13rocblas_side_14rocblas_pivot_15rocblas_direct_T2_S6_PT0_lS8_lT1_lS6_lS6_,comdat
.Lfunc_end4:
	.size	_ZN9rocsolver6v33100L11lasr_kernelIffPfiEEv13rocblas_side_14rocblas_pivot_15rocblas_direct_T2_S6_PT0_lS8_lT1_lS6_lS6_, .Lfunc_end4-_ZN9rocsolver6v33100L11lasr_kernelIffPfiEEv13rocblas_side_14rocblas_pivot_15rocblas_direct_T2_S6_PT0_lS8_lT1_lS6_lS6_
                                        ; -- End function
	.set _ZN9rocsolver6v33100L11lasr_kernelIffPfiEEv13rocblas_side_14rocblas_pivot_15rocblas_direct_T2_S6_PT0_lS8_lT1_lS6_lS6_.num_vgpr, 41
	.set _ZN9rocsolver6v33100L11lasr_kernelIffPfiEEv13rocblas_side_14rocblas_pivot_15rocblas_direct_T2_S6_PT0_lS8_lT1_lS6_lS6_.num_agpr, 0
	.set _ZN9rocsolver6v33100L11lasr_kernelIffPfiEEv13rocblas_side_14rocblas_pivot_15rocblas_direct_T2_S6_PT0_lS8_lT1_lS6_lS6_.numbered_sgpr, 90
	.set _ZN9rocsolver6v33100L11lasr_kernelIffPfiEEv13rocblas_side_14rocblas_pivot_15rocblas_direct_T2_S6_PT0_lS8_lT1_lS6_lS6_.num_named_barrier, 0
	.set _ZN9rocsolver6v33100L11lasr_kernelIffPfiEEv13rocblas_side_14rocblas_pivot_15rocblas_direct_T2_S6_PT0_lS8_lT1_lS6_lS6_.private_seg_size, 0
	.set _ZN9rocsolver6v33100L11lasr_kernelIffPfiEEv13rocblas_side_14rocblas_pivot_15rocblas_direct_T2_S6_PT0_lS8_lT1_lS6_lS6_.uses_vcc, 1
	.set _ZN9rocsolver6v33100L11lasr_kernelIffPfiEEv13rocblas_side_14rocblas_pivot_15rocblas_direct_T2_S6_PT0_lS8_lT1_lS6_lS6_.uses_flat_scratch, 0
	.set _ZN9rocsolver6v33100L11lasr_kernelIffPfiEEv13rocblas_side_14rocblas_pivot_15rocblas_direct_T2_S6_PT0_lS8_lT1_lS6_lS6_.has_dyn_sized_stack, 0
	.set _ZN9rocsolver6v33100L11lasr_kernelIffPfiEEv13rocblas_side_14rocblas_pivot_15rocblas_direct_T2_S6_PT0_lS8_lT1_lS6_lS6_.has_recursion, 0
	.set _ZN9rocsolver6v33100L11lasr_kernelIffPfiEEv13rocblas_side_14rocblas_pivot_15rocblas_direct_T2_S6_PT0_lS8_lT1_lS6_lS6_.has_indirect_call, 0
	.section	.AMDGPU.csdata,"",@progbits
; Kernel info:
; codeLenInByte = 5336
; TotalNumSgprs: 92
; NumVgprs: 41
; ScratchSize: 0
; MemoryBound: 0
; FloatMode: 240
; IeeeMode: 1
; LDSByteSize: 0 bytes/workgroup (compile time only)
; SGPRBlocks: 0
; VGPRBlocks: 5
; NumSGPRsForWavesPerEU: 92
; NumVGPRsForWavesPerEU: 41
; Occupancy: 16
; WaveLimiterHint : 0
; COMPUTE_PGM_RSRC2:SCRATCH_EN: 0
; COMPUTE_PGM_RSRC2:USER_SGPR: 2
; COMPUTE_PGM_RSRC2:TRAP_HANDLER: 0
; COMPUTE_PGM_RSRC2:TGID_X_EN: 1
; COMPUTE_PGM_RSRC2:TGID_Y_EN: 0
; COMPUTE_PGM_RSRC2:TGID_Z_EN: 1
; COMPUTE_PGM_RSRC2:TIDIG_COMP_CNT: 0
	.section	.text._ZN9rocsolver6v33100L11swap_kernelIfiEEvT0_PT_S2_S4_S2_,"axG",@progbits,_ZN9rocsolver6v33100L11swap_kernelIfiEEvT0_PT_S2_S4_S2_,comdat
	.globl	_ZN9rocsolver6v33100L11swap_kernelIfiEEvT0_PT_S2_S4_S2_ ; -- Begin function _ZN9rocsolver6v33100L11swap_kernelIfiEEvT0_PT_S2_S4_S2_
	.p2align	8
	.type	_ZN9rocsolver6v33100L11swap_kernelIfiEEvT0_PT_S2_S4_S2_,@function
_ZN9rocsolver6v33100L11swap_kernelIfiEEvT0_PT_S2_S4_S2_: ; @_ZN9rocsolver6v33100L11swap_kernelIfiEEvT0_PT_S2_S4_S2_
; %bb.0:
	s_load_b32 s12, s[0:1], 0x0
	s_wait_kmcnt 0x0
	s_cmp_lt_i32 s12, 1
	s_cbranch_scc1 .LBB5_10
; %bb.1:
	s_clause 0x3
	s_load_b32 s2, s[0:1], 0x34
	s_load_b96 s[4:6], s[0:1], 0x8
	s_load_b96 s[8:10], s[0:1], 0x18
	s_load_b32 s0, s[0:1], 0x28
	s_wait_kmcnt 0x0
	s_and_b32 s1, s2, 0xffff
	s_cmp_eq_u32 s6, 1
	v_mad_co_u64_u32 v[0:1], null, ttmp9, s1, v[0:1]
	s_cselect_b32 s3, -1, 0
	s_cmp_eq_u32 s10, 1
	s_mul_i32 s2, s0, s1
	s_cselect_b32 s7, -1, 0
	s_delay_alu instid0(SALU_CYCLE_1)
	s_and_b32 s1, s3, s7
	v_cmp_gt_i32_e64 s0, s12, v0
	s_wait_alu 0xfffe
	s_and_b32 vcc_lo, exec_lo, s1
	s_mov_b32 s1, -1
	s_cbranch_vccnz .LBB5_6
; %bb.2:
	s_and_saveexec_b32 s13, s0
	s_cbranch_execz .LBB5_5
; %bb.3:
	v_mad_co_i64_i32 v[1:2], null, s10, v0, 0
	v_mad_co_i64_i32 v[3:4], null, s6, v0, 0
	s_ashr_i32 s7, s6, 31
	s_ashr_i32 s11, s10, 31
	;; [unrolled: 1-line block ×3, first 2 shown]
	v_mov_b32_e32 v5, v0
	v_lshlrev_b64_e32 v[1:2], 2, v[1:2]
	s_wait_alu 0xfffe
	s_mul_u64 s[10:11], s[10:11], s[2:3]
	v_lshlrev_b64_e32 v[3:4], 2, v[3:4]
	s_mul_u64 s[14:15], s[6:7], s[2:3]
	s_wait_alu 0xfffe
	s_lshl_b64 s[6:7], s[10:11], 2
	s_lshl_b64 s[10:11], s[14:15], 2
	v_add_co_u32 v1, vcc_lo, s8, v1
	s_delay_alu instid0(VALU_DEP_1)
	v_add_co_ci_u32_e64 v2, null, s9, v2, vcc_lo
	v_add_co_u32 v3, vcc_lo, s4, v3
	s_wait_alu 0xfffd
	v_add_co_ci_u32_e64 v4, null, s5, v4, vcc_lo
	s_mov_b32 s3, 0
.LBB5_4:                                ; =>This Inner Loop Header: Depth=1
	global_load_b32 v6, v[3:4], off
	global_load_b32 v7, v[1:2], off
	v_add_nc_u32_e32 v5, s2, v5
	s_wait_loadcnt 0x1
	global_store_b32 v[1:2], v6, off
	s_wait_loadcnt 0x0
	global_store_b32 v[3:4], v7, off
	s_wait_alu 0xfffe
	v_add_co_u32 v1, s1, v1, s6
	v_cmp_le_i32_e32 vcc_lo, s12, v5
	s_wait_alu 0xf1ff
	v_add_co_ci_u32_e64 v2, null, s7, v2, s1
	v_add_co_u32 v3, s1, v3, s10
	s_wait_alu 0xf1ff
	v_add_co_ci_u32_e64 v4, null, s11, v4, s1
	s_or_b32 s3, vcc_lo, s3
	s_wait_alu 0xfffe
	s_and_not1_b32 exec_lo, exec_lo, s3
	s_cbranch_execnz .LBB5_4
.LBB5_5:
	s_wait_alu 0xfffe
	s_or_b32 exec_lo, exec_lo, s13
	s_mov_b32 s1, 0
.LBB5_6:
	s_wait_alu 0xfffe
	s_and_not1_b32 vcc_lo, exec_lo, s1
	s_wait_alu 0xfffe
	s_cbranch_vccnz .LBB5_10
; %bb.7:
	s_and_saveexec_b32 s1, s0
	s_cbranch_execz .LBB5_10
; %bb.8:
	v_ashrrev_i32_e32 v1, 31, v0
	s_ashr_i32 s3, s2, 31
	s_mov_b32 s1, 0
	s_wait_alu 0xfffe
	s_lshl_b64 s[6:7], s[2:3], 2
	v_lshlrev_b64_e32 v[1:2], 2, v[0:1]
.LBB5_9:                                ; =>This Inner Loop Header: Depth=1
	s_delay_alu instid0(VALU_DEP_1) | instskip(SKIP_1) | instid1(VALU_DEP_2)
	v_add_co_u32 v3, vcc_lo, s4, v1
	s_wait_alu 0xfffd
	v_add_co_ci_u32_e64 v4, null, s5, v2, vcc_lo
	v_add_co_u32 v5, vcc_lo, s8, v1
	s_wait_alu 0xfffd
	v_add_co_ci_u32_e64 v6, null, s9, v2, vcc_lo
	global_load_b32 v7, v[3:4], off
	global_load_b32 v8, v[5:6], off
	v_add_nc_u32_e32 v0, s2, v0
	s_wait_alu 0xfffe
	v_add_co_u32 v1, s0, v1, s6
	s_wait_alu 0xf1ff
	v_add_co_ci_u32_e64 v2, null, s7, v2, s0
	v_cmp_le_i32_e32 vcc_lo, s12, v0
	s_wait_loadcnt 0x1
	global_store_b32 v[5:6], v7, off
	s_wait_loadcnt 0x0
	global_store_b32 v[3:4], v8, off
	s_or_b32 s1, vcc_lo, s1
	s_wait_alu 0xfffe
	s_and_not1_b32 exec_lo, exec_lo, s1
	s_cbranch_execnz .LBB5_9
.LBB5_10:
	s_endpgm
	.section	.rodata,"a",@progbits
	.p2align	6, 0x0
	.amdhsa_kernel _ZN9rocsolver6v33100L11swap_kernelIfiEEvT0_PT_S2_S4_S2_
		.amdhsa_group_segment_fixed_size 0
		.amdhsa_private_segment_fixed_size 0
		.amdhsa_kernarg_size 296
		.amdhsa_user_sgpr_count 2
		.amdhsa_user_sgpr_dispatch_ptr 0
		.amdhsa_user_sgpr_queue_ptr 0
		.amdhsa_user_sgpr_kernarg_segment_ptr 1
		.amdhsa_user_sgpr_dispatch_id 0
		.amdhsa_user_sgpr_private_segment_size 0
		.amdhsa_wavefront_size32 1
		.amdhsa_uses_dynamic_stack 0
		.amdhsa_enable_private_segment 0
		.amdhsa_system_sgpr_workgroup_id_x 1
		.amdhsa_system_sgpr_workgroup_id_y 0
		.amdhsa_system_sgpr_workgroup_id_z 0
		.amdhsa_system_sgpr_workgroup_info 0
		.amdhsa_system_vgpr_workitem_id 0
		.amdhsa_next_free_vgpr 9
		.amdhsa_next_free_sgpr 16
		.amdhsa_reserve_vcc 1
		.amdhsa_float_round_mode_32 0
		.amdhsa_float_round_mode_16_64 0
		.amdhsa_float_denorm_mode_32 3
		.amdhsa_float_denorm_mode_16_64 3
		.amdhsa_fp16_overflow 0
		.amdhsa_workgroup_processor_mode 1
		.amdhsa_memory_ordered 1
		.amdhsa_forward_progress 1
		.amdhsa_inst_pref_size 5
		.amdhsa_round_robin_scheduling 0
		.amdhsa_exception_fp_ieee_invalid_op 0
		.amdhsa_exception_fp_denorm_src 0
		.amdhsa_exception_fp_ieee_div_zero 0
		.amdhsa_exception_fp_ieee_overflow 0
		.amdhsa_exception_fp_ieee_underflow 0
		.amdhsa_exception_fp_ieee_inexact 0
		.amdhsa_exception_int_div_zero 0
	.end_amdhsa_kernel
	.section	.text._ZN9rocsolver6v33100L11swap_kernelIfiEEvT0_PT_S2_S4_S2_,"axG",@progbits,_ZN9rocsolver6v33100L11swap_kernelIfiEEvT0_PT_S2_S4_S2_,comdat
.Lfunc_end5:
	.size	_ZN9rocsolver6v33100L11swap_kernelIfiEEvT0_PT_S2_S4_S2_, .Lfunc_end5-_ZN9rocsolver6v33100L11swap_kernelIfiEEvT0_PT_S2_S4_S2_
                                        ; -- End function
	.set _ZN9rocsolver6v33100L11swap_kernelIfiEEvT0_PT_S2_S4_S2_.num_vgpr, 9
	.set _ZN9rocsolver6v33100L11swap_kernelIfiEEvT0_PT_S2_S4_S2_.num_agpr, 0
	.set _ZN9rocsolver6v33100L11swap_kernelIfiEEvT0_PT_S2_S4_S2_.numbered_sgpr, 16
	.set _ZN9rocsolver6v33100L11swap_kernelIfiEEvT0_PT_S2_S4_S2_.num_named_barrier, 0
	.set _ZN9rocsolver6v33100L11swap_kernelIfiEEvT0_PT_S2_S4_S2_.private_seg_size, 0
	.set _ZN9rocsolver6v33100L11swap_kernelIfiEEvT0_PT_S2_S4_S2_.uses_vcc, 1
	.set _ZN9rocsolver6v33100L11swap_kernelIfiEEvT0_PT_S2_S4_S2_.uses_flat_scratch, 0
	.set _ZN9rocsolver6v33100L11swap_kernelIfiEEvT0_PT_S2_S4_S2_.has_dyn_sized_stack, 0
	.set _ZN9rocsolver6v33100L11swap_kernelIfiEEvT0_PT_S2_S4_S2_.has_recursion, 0
	.set _ZN9rocsolver6v33100L11swap_kernelIfiEEvT0_PT_S2_S4_S2_.has_indirect_call, 0
	.section	.AMDGPU.csdata,"",@progbits
; Kernel info:
; codeLenInByte = 580
; TotalNumSgprs: 18
; NumVgprs: 9
; ScratchSize: 0
; MemoryBound: 0
; FloatMode: 240
; IeeeMode: 1
; LDSByteSize: 0 bytes/workgroup (compile time only)
; SGPRBlocks: 0
; VGPRBlocks: 1
; NumSGPRsForWavesPerEU: 18
; NumVGPRsForWavesPerEU: 9
; Occupancy: 16
; WaveLimiterHint : 0
; COMPUTE_PGM_RSRC2:SCRATCH_EN: 0
; COMPUTE_PGM_RSRC2:USER_SGPR: 2
; COMPUTE_PGM_RSRC2:TRAP_HANDLER: 0
; COMPUTE_PGM_RSRC2:TGID_X_EN: 1
; COMPUTE_PGM_RSRC2:TGID_Y_EN: 0
; COMPUTE_PGM_RSRC2:TGID_Z_EN: 0
; COMPUTE_PGM_RSRC2:TIDIG_COMP_CNT: 0
	.text
	.p2align	2                               ; -- Begin function _ZN9rocsolver6v331009run_steqrIffEEviiiPT0_S3_PT_iPiS3_iS2_S2_S2_b
	.type	_ZN9rocsolver6v331009run_steqrIffEEviiiPT0_S3_PT_iPiS3_iS2_S2_S2_b,@function
_ZN9rocsolver6v331009run_steqrIffEEviiiPT0_S3_PT_iPiS3_iS2_S2_S2_b: ; @_ZN9rocsolver6v331009run_steqrIffEEviiiPT0_S3_PT_iPiS3_iS2_S2_S2_b
; %bb.0:
	s_wait_loadcnt_dscnt 0x0
	s_wait_expcnt 0x0
	s_wait_samplecnt 0x0
	s_wait_bvhcnt 0x0
	s_wait_kmcnt 0x0
	v_dual_mov_b32 v20, v3 :: v_dual_mov_b32 v23, v1
	v_dual_mov_b32 v22, v11 :: v_dual_and_b32 v1, 1, v18
	v_mov_b32_e32 v21, v10
	v_cmp_eq_u32_e64 s0, 0, v0
	s_delay_alu instid0(VALU_DEP_3)
	v_cmp_eq_u32_e64 s1, 1, v1
	s_and_saveexec_b32 s2, s0
; %bb.1:
	v_mov_b32_e32 v1, 0
	ds_store_2addr_b32 v1, v1, v1 offset0:3 offset1:7
; %bb.2:
	s_wait_alu 0xfffe
	s_or_b32 exec_lo, exec_lo, s2
	v_dual_mov_b32 v25, 0 :: v_dual_add_nc_u32 v18, -1, v2
	s_wait_storecnt_dscnt 0x0
	s_barrier_signal -1
	s_barrier_wait -1
	global_inv scope:SCOPE_SE
	ds_load_2addr_b32 v[54:55], v25 offset0:3 offset1:7
	s_wait_dscnt 0x0
	v_cmp_lt_i32_e32 vcc_lo, v54, v2
	v_cmp_lt_i32_e64 s2, v55, v14
	s_and_b32 s2, vcc_lo, s2
	s_wait_alu 0xfffe
	s_and_saveexec_b32 s8, s2
	s_cbranch_execz .LBB6_225
; %bb.3:
	v_ashrrev_i32_e32 v3, 31, v2
	v_ashrrev_i32_e32 v1, 31, v0
	;; [unrolled: 1-line block ×4, first 2 shown]
	v_cmp_lt_i32_e64 s2, v0, v2
	v_lshlrev_b64_e32 v[26:27], 2, v[2:3]
	v_lshlrev_b64_e32 v[32:33], 2, v[0:1]
	;; [unrolled: 1-line block ×4, first 2 shown]
	v_mul_f32_e32 v3, v15, v15
	s_mov_b32 s6, 0x667f3bcd
	v_add_co_u32 v11, vcc_lo, v12, v26
	s_wait_alu 0xfffd
	v_add_co_ci_u32_e64 v102, null, v13, v27, vcc_lo
	v_add_co_u32 v103, vcc_lo, v20, 4
	s_wait_alu 0xfffd
	v_add_co_ci_u32_e64 v112, null, 0, v4, vcc_lo
	v_add_co_u32 v113, vcc_lo, v12, -4
	s_wait_alu 0xfffd
	v_add_co_ci_u32_e64 v114, null, -1, v13, vcc_lo
	v_add_co_u32 v115, vcc_lo, v20, -4
	s_wait_alu 0xfffd
	v_add_co_ci_u32_e64 v116, null, -1, v4, vcc_lo
	;; [unrolled: 3-line block ×4, first 2 shown]
	s_mov_b32 s9, 0
	v_add_co_u32 v1, vcc_lo, v12, v119
	s_wait_alu 0xfffd
	v_add_co_ci_u32_e64 v129, null, v13, v128, vcc_lo
	v_add_co_u32 v130, vcc_lo, v7, v32
	s_wait_alu 0xfffd
	v_add_co_ci_u32_e64 v131, null, v8, v33, vcc_lo
	v_sub_co_u32 v132, vcc_lo, 0, v30
	s_wait_alu 0xfffd
	v_sub_co_ci_u32_e64 v133, null, 0, v31, vcc_lo
	s_mov_b32 s7, 0x3ff6a09e
                                        ; implicit-def: $vgpr50
                                        ; implicit-def: $vgpr48_vgpr49
                                        ; implicit-def: $vgpr32_vgpr33
                                        ; implicit-def: $vgpr36_vgpr37
                                        ; implicit-def: $vgpr135
                                        ; implicit-def: $vgpr52_vgpr53
                                        ; implicit-def: $vgpr134
                                        ; implicit-def: $vgpr34_vgpr35
                                        ; implicit-def: $vgpr38_vgpr39
	s_branch .LBB6_6
.LBB6_4:                                ;   in Loop: Header=BB6_6 Depth=1
	s_wait_alu 0xfffe
	s_or_b32 exec_lo, exec_lo, s4
	s_wait_storecnt 0x0
	s_wait_loadcnt_dscnt 0x0
	s_barrier_signal -1
	s_barrier_wait -1
	global_inv scope:SCOPE_SE
.LBB6_5:                                ;   in Loop: Header=BB6_6 Depth=1
	ds_load_2addr_b32 v[54:55], v25 offset0:3 offset1:7
	s_wait_dscnt 0x0
	v_cmp_ge_i32_e32 vcc_lo, v54, v2
	v_cmp_ge_i32_e64 s3, v55, v14
	s_or_b32 s3, vcc_lo, s3
	s_wait_alu 0xfffe
	s_and_b32 s3, exec_lo, s3
	s_wait_alu 0xfffe
	s_or_b32 s9, s3, s9
	s_wait_alu 0xfffe
	s_and_not1_b32 exec_lo, exec_lo, s9
	s_cbranch_execz .LBB6_225
.LBB6_6:                                ; =>This Loop Header: Depth=1
                                        ;     Child Loop BB6_121 Depth 2
                                        ;     Child Loop BB6_19 Depth 2
	;; [unrolled: 1-line block ×5, first 2 shown]
                                        ;       Child Loop BB6_49 Depth 3
                                        ;       Child Loop BB6_69 Depth 3
	;; [unrolled: 1-line block ×3, first 2 shown]
                                        ;         Child Loop BB6_117 Depth 4
                                        ;     Child Loop BB6_134 Depth 2
                                        ;       Child Loop BB6_140 Depth 3
                                        ;       Child Loop BB6_160 Depth 3
	;; [unrolled: 1-line block ×3, first 2 shown]
                                        ;         Child Loop BB6_208 Depth 4
                                        ;     Child Loop BB6_218 Depth 2
                                        ;     Child Loop BB6_224 Depth 2
	s_and_saveexec_b32 s5, s0
	s_cbranch_execz .LBB6_22
; %bb.7:                                ;   in Loop: Header=BB6_6 Depth=1
	v_cmp_gt_i32_e32 vcc_lo, 1, v54
	s_cbranch_vccnz .LBB6_9
; %bb.8:                                ;   in Loop: Header=BB6_6 Depth=1
	v_mov_b32_e32 v55, v25
	s_delay_alu instid0(VALU_DEP_1) | instskip(NEXT) | instid1(VALU_DEP_1)
	v_lshlrev_b64_e32 v[64:65], 2, v[54:55]
	v_add_co_u32 v64, vcc_lo, v5, v64
	s_wait_alu 0xfffd
	s_delay_alu instid0(VALU_DEP_2)
	v_add_co_ci_u32_e64 v65, null, v6, v65, vcc_lo
	flat_store_b32 v[64:65], v25 offset:-4
.LBB6_9:                                ;   in Loop: Header=BB6_6 Depth=1
	v_ashrrev_i32_e32 v55, 31, v54
	s_mov_b32 s3, 0
	s_mov_b32 s10, 0
	s_mov_b32 s4, exec_lo
                                        ; implicit-def: $vgpr64_vgpr65
	v_cmpx_ge_i32_e64 v54, v18
	s_wait_alu 0xfffe
	s_xor_b32 s4, exec_lo, s4
; %bb.10:                               ;   in Loop: Header=BB6_6 Depth=1
	v_dual_mov_b32 v65, v55 :: v_dual_mov_b32 v64, v54
	s_mov_b32 s10, exec_lo
; %bb.11:                               ;   in Loop: Header=BB6_6 Depth=1
	s_wait_alu 0xfffe
	s_or_saveexec_b32 s11, s4
	s_delay_alu instid0(VALU_DEP_1)
	v_mov_b32_e32 v67, v65
	v_dual_mov_b32 v19, v54 :: v_dual_mov_b32 v66, v64
	s_wait_alu 0xfffe
	s_xor_b32 exec_lo, exec_lo, s11
	s_cbranch_execnz .LBB6_119
; %bb.12:                               ;   in Loop: Header=BB6_6 Depth=1
	s_or_b32 exec_lo, exec_lo, s11
	s_and_saveexec_b32 s4, s10
	s_cbranch_execnz .LBB6_126
.LBB6_13:                               ;   in Loop: Header=BB6_6 Depth=1
	s_wait_alu 0xfffe
	s_or_b32 exec_lo, exec_lo, s4
	s_and_saveexec_b32 s4, s3
	s_cbranch_execz .LBB6_15
.LBB6_14:                               ;   in Loop: Header=BB6_6 Depth=1
	v_dual_mov_b32 v65, v33 :: v_dual_mov_b32 v64, v32
	v_dual_mov_b32 v67, v51 :: v_dual_mov_b32 v66, v50
	v_mov_b32_e32 v19, v50
	ds_store_b32 v25, v50 offset:4
	flat_store_b32 v[48:49], v25
.LBB6_15:                               ;   in Loop: Header=BB6_6 Depth=1
	s_wait_alu 0xfffe
	s_or_b32 exec_lo, exec_lo, s4
	v_lshlrev_b64_e32 v[68:69], 2, v[66:67]
	v_lshlrev_b64_e32 v[66:67], 2, v[64:65]
	s_mov_b32 s3, exec_lo
	s_delay_alu instid0(VALU_DEP_2) | instskip(SKIP_1) | instid1(VALU_DEP_3)
	v_add_co_u32 v68, vcc_lo, v20, v68
	s_wait_alu 0xfffd
	v_add_co_ci_u32_e64 v69, null, v4, v69, vcc_lo
	s_delay_alu instid0(VALU_DEP_3)
	v_add_co_u32 v64, vcc_lo, v20, v66
	s_wait_alu 0xfffd
	v_add_co_ci_u32_e64 v65, null, v4, v67, vcc_lo
	s_clause 0x1
	flat_load_b32 v24, v[68:69]
	flat_load_b32 v55, v[64:65]
	v_add_nc_u32_e32 v68, 1, v19
	ds_store_2addr_b32 v25, v54, v19 offset1:5
	ds_store_b32 v25, v19 offset:32
	ds_store_2addr_b32 v25, v68, v54 offset0:3 offset1:4
	s_wait_loadcnt_dscnt 0x3
	v_cmpx_lt_f32_e64 |v24|, |v55|
; %bb.16:                               ;   in Loop: Header=BB6_6 Depth=1
	ds_store_2addr_b32 v25, v19, v54 offset1:5
; %bb.17:                               ;   in Loop: Header=BB6_6 Depth=1
	s_wait_alu 0xfffe
	s_or_b32 exec_lo, exec_lo, s3
	v_and_b32_e32 v24, 0x7fffffff, v24
	s_mov_b32 s4, exec_lo
	v_cmpx_lt_i32_e64 v54, v19
	s_cbranch_execz .LBB6_21
; %bb.18:                               ;   in Loop: Header=BB6_6 Depth=1
	v_add_co_u32 v66, vcc_lo, v5, v66
	s_wait_alu 0xfffd
	v_add_co_ci_u32_e64 v67, null, v6, v67, vcc_lo
	s_mov_b32 s10, 0
.LBB6_19:                               ;   Parent Loop BB6_6 Depth=1
                                        ; =>  This Inner Loop Header: Depth=2
	flat_load_b32 v55, v[64:65]
	flat_load_b32 v68, v[66:67]
	v_add_nc_u32_e32 v54, 1, v54
	v_add_co_u32 v66, vcc_lo, v66, 4
	s_wait_alu 0xfffd
	v_add_co_ci_u32_e64 v67, null, 0, v67, vcc_lo
	v_add_co_u32 v64, vcc_lo, v64, 4
	v_cmp_ge_i32_e64 s3, v54, v19
	s_wait_alu 0xfffd
	v_add_co_ci_u32_e64 v65, null, 0, v65, vcc_lo
	s_wait_alu 0xfffe
	s_delay_alu instid0(VALU_DEP_2)
	s_or_b32 s10, s3, s10
	s_wait_loadcnt_dscnt 0x0
	v_max3_num_f32 v24, v24, |v55|, |v68|
	s_wait_alu 0xfffe
	s_and_not1_b32 exec_lo, exec_lo, s10
	s_cbranch_execnz .LBB6_19
; %bb.20:                               ;   in Loop: Header=BB6_6 Depth=1
	s_or_b32 exec_lo, exec_lo, s10
.LBB6_21:                               ;   in Loop: Header=BB6_6 Depth=1
	s_wait_alu 0xfffe
	s_or_b32 exec_lo, exec_lo, s4
	ds_store_b32 v25, v24 offset:24
.LBB6_22:                               ;   in Loop: Header=BB6_6 Depth=1
	s_wait_alu 0xfffe
	s_or_b32 exec_lo, exec_lo, s5
	s_wait_storecnt 0x0
	s_wait_loadcnt_dscnt 0x0
	s_barrier_signal -1
	s_barrier_wait -1
	global_inv scope:SCOPE_SE
	ds_load_2addr_b32 v[64:65], v25 offset0:5 offset1:6
	ds_load_b32 v19, v25
	s_wait_dscnt 0x1
	v_cmp_eq_f32_e64 s3, 0, v65
	s_wait_dscnt 0x0
	v_cmp_eq_u32_e32 vcc_lo, v64, v19
	s_or_b32 s3, vcc_lo, s3
	s_wait_alu 0xfffe
	s_and_b32 vcc_lo, exec_lo, s3
	s_wait_alu 0xfffe
	s_cbranch_vccnz .LBB6_5
; %bb.23:                               ;   in Loop: Header=BB6_6 Depth=1
	s_mov_b32 s3, exec_lo
	v_cmpx_ngt_f32_e32 v65, v17
	s_wait_alu 0xfffe
	s_xor_b32 s4, exec_lo, s3
	s_cbranch_execz .LBB6_31
; %bb.24:                               ;   in Loop: Header=BB6_6 Depth=1
	s_mov_b32 s5, exec_lo
	v_cmpx_lt_f32_e32 v65, v16
	s_cbranch_execz .LBB6_30
; %bb.25:                               ;   in Loop: Header=BB6_6 Depth=1
	v_div_scale_f32 v19, null, v16, v16, v65
	v_div_scale_f32 v64, vcc_lo, v65, v16, v65
	s_delay_alu instid0(VALU_DEP_2) | instskip(NEXT) | instid1(TRANS32_DEP_1)
	v_rcp_f32_e32 v24, v19
	v_fma_f32 v54, -v19, v24, 1.0
	s_delay_alu instid0(VALU_DEP_1) | instskip(SKIP_2) | instid1(VALU_DEP_1)
	v_fmac_f32_e32 v24, v54, v24
	ds_load_2addr_b32 v[54:55], v25 offset0:4 offset1:8
	v_mul_f32_e32 v66, v64, v24
	v_fma_f32 v67, -v19, v66, v64
	s_delay_alu instid0(VALU_DEP_1) | instskip(NEXT) | instid1(VALU_DEP_1)
	v_fmac_f32_e32 v66, v67, v24
	v_fma_f32 v19, -v19, v66, v64
	s_wait_alu 0xfffd
	s_delay_alu instid0(VALU_DEP_1) | instskip(NEXT) | instid1(VALU_DEP_1)
	v_div_fmas_f32 v19, v19, v24, v66
	v_div_fixup_f32 v19, v19, v16, v65
	s_and_saveexec_b32 s3, s0
	s_cbranch_execz .LBB6_27
; %bb.26:                               ;   in Loop: Header=BB6_6 Depth=1
	s_wait_dscnt 0x0
	v_ashrrev_i32_e32 v65, 31, v55
	v_mov_b32_e32 v64, v55
	s_delay_alu instid0(VALU_DEP_1) | instskip(NEXT) | instid1(VALU_DEP_1)
	v_lshlrev_b64_e32 v[64:65], 2, v[64:65]
	v_add_co_u32 v64, vcc_lo, v20, v64
	s_wait_alu 0xfffd
	s_delay_alu instid0(VALU_DEP_2)
	v_add_co_ci_u32_e64 v65, null, v4, v65, vcc_lo
	flat_load_b32 v24, v[64:65]
	s_wait_loadcnt_dscnt 0x0
	v_mul_f32_e32 v24, v19, v24
	flat_store_b32 v[64:65], v24
.LBB6_27:                               ;   in Loop: Header=BB6_6 Depth=1
	s_wait_alu 0xfffe
	s_or_b32 exec_lo, exec_lo, s3
	s_wait_dscnt 0x0
	v_add_nc_u32_e32 v64, v54, v0
	s_delay_alu instid0(VALU_DEP_1)
	v_cmp_lt_i32_e32 vcc_lo, v64, v55
	s_and_b32 exec_lo, exec_lo, vcc_lo
	s_cbranch_execz .LBB6_30
; %bb.28:                               ;   in Loop: Header=BB6_6 Depth=1
	v_ashrrev_i32_e32 v65, 31, v64
	s_mov_b32 s10, 0
	s_delay_alu instid0(VALU_DEP_1)
	v_lshlrev_b64_e32 v[65:66], 2, v[64:65]
.LBB6_29:                               ;   Parent Loop BB6_6 Depth=1
                                        ; =>  This Inner Loop Header: Depth=2
	s_delay_alu instid0(VALU_DEP_1) | instskip(SKIP_1) | instid1(VALU_DEP_2)
	v_add_co_u32 v67, vcc_lo, v20, v65
	s_wait_alu 0xfffd
	v_add_co_ci_u32_e64 v68, null, v4, v66, vcc_lo
	v_add_co_u32 v69, vcc_lo, v5, v65
	s_wait_alu 0xfffd
	v_add_co_ci_u32_e64 v70, null, v6, v66, vcc_lo
	flat_load_b32 v24, v[67:68]
	v_add_nc_u32_e32 v64, v64, v23
	v_add_co_u32 v65, vcc_lo, v65, v28
	s_wait_alu 0xfffd
	v_add_co_ci_u32_e64 v66, null, v66, v29, vcc_lo
	s_delay_alu instid0(VALU_DEP_3)
	v_cmp_ge_i32_e64 s3, v64, v55
	s_wait_alu 0xfffe
	s_or_b32 s10, s3, s10
	s_wait_loadcnt_dscnt 0x0
	v_mul_f32_e32 v24, v19, v24
	flat_store_b32 v[67:68], v24
	flat_load_b32 v24, v[69:70]
	s_wait_loadcnt_dscnt 0x0
	v_mul_f32_e32 v24, v19, v24
	flat_store_b32 v[69:70], v24
	s_wait_alu 0xfffe
	s_and_not1_b32 exec_lo, exec_lo, s10
	s_cbranch_execnz .LBB6_29
.LBB6_30:                               ;   in Loop: Header=BB6_6 Depth=1
	s_wait_alu 0xfffe
	s_or_b32 exec_lo, exec_lo, s5
                                        ; implicit-def: $vgpr64_vgpr65
.LBB6_31:                               ;   in Loop: Header=BB6_6 Depth=1
	s_wait_alu 0xfffe
	s_and_not1_saveexec_b32 s4, s4
	s_cbranch_execz .LBB6_38
; %bb.32:                               ;   in Loop: Header=BB6_6 Depth=1
	v_div_scale_f32 v19, null, v17, v17, v65
	v_div_scale_f32 v64, vcc_lo, v65, v17, v65
	s_delay_alu instid0(VALU_DEP_2) | instskip(NEXT) | instid1(TRANS32_DEP_1)
	v_rcp_f32_e32 v24, v19
	v_fma_f32 v54, -v19, v24, 1.0
	s_delay_alu instid0(VALU_DEP_1) | instskip(SKIP_2) | instid1(VALU_DEP_1)
	v_fmac_f32_e32 v24, v54, v24
	ds_load_2addr_b32 v[54:55], v25 offset0:4 offset1:8
	v_mul_f32_e32 v66, v64, v24
	v_fma_f32 v67, -v19, v66, v64
	s_delay_alu instid0(VALU_DEP_1) | instskip(NEXT) | instid1(VALU_DEP_1)
	v_fmac_f32_e32 v66, v67, v24
	v_fma_f32 v19, -v19, v66, v64
	s_wait_alu 0xfffd
	s_delay_alu instid0(VALU_DEP_1) | instskip(NEXT) | instid1(VALU_DEP_1)
	v_div_fmas_f32 v19, v19, v24, v66
	v_div_fixup_f32 v19, v19, v17, v65
	s_and_saveexec_b32 s3, s0
	s_cbranch_execz .LBB6_34
; %bb.33:                               ;   in Loop: Header=BB6_6 Depth=1
	s_wait_dscnt 0x0
	v_ashrrev_i32_e32 v65, 31, v55
	v_mov_b32_e32 v64, v55
	s_delay_alu instid0(VALU_DEP_1) | instskip(NEXT) | instid1(VALU_DEP_1)
	v_lshlrev_b64_e32 v[64:65], 2, v[64:65]
	v_add_co_u32 v64, vcc_lo, v20, v64
	s_wait_alu 0xfffd
	s_delay_alu instid0(VALU_DEP_2)
	v_add_co_ci_u32_e64 v65, null, v4, v65, vcc_lo
	flat_load_b32 v24, v[64:65]
	s_wait_loadcnt_dscnt 0x0
	v_mul_f32_e32 v24, v19, v24
	flat_store_b32 v[64:65], v24
.LBB6_34:                               ;   in Loop: Header=BB6_6 Depth=1
	s_wait_alu 0xfffe
	s_or_b32 exec_lo, exec_lo, s3
	s_wait_dscnt 0x0
	v_add_nc_u32_e32 v64, v54, v0
	s_mov_b32 s5, exec_lo
	s_delay_alu instid0(VALU_DEP_1)
	v_cmpx_lt_i32_e64 v64, v55
	s_cbranch_execz .LBB6_37
; %bb.35:                               ;   in Loop: Header=BB6_6 Depth=1
	v_ashrrev_i32_e32 v65, 31, v64
	s_mov_b32 s10, 0
	s_delay_alu instid0(VALU_DEP_1)
	v_lshlrev_b64_e32 v[65:66], 2, v[64:65]
.LBB6_36:                               ;   Parent Loop BB6_6 Depth=1
                                        ; =>  This Inner Loop Header: Depth=2
	s_delay_alu instid0(VALU_DEP_1) | instskip(SKIP_1) | instid1(VALU_DEP_2)
	v_add_co_u32 v67, vcc_lo, v20, v65
	s_wait_alu 0xfffd
	v_add_co_ci_u32_e64 v68, null, v4, v66, vcc_lo
	v_add_co_u32 v69, vcc_lo, v5, v65
	s_wait_alu 0xfffd
	v_add_co_ci_u32_e64 v70, null, v6, v66, vcc_lo
	flat_load_b32 v24, v[67:68]
	v_add_nc_u32_e32 v64, v64, v23
	v_add_co_u32 v65, vcc_lo, v65, v28
	s_wait_alu 0xfffd
	v_add_co_ci_u32_e64 v66, null, v66, v29, vcc_lo
	s_delay_alu instid0(VALU_DEP_3)
	v_cmp_ge_i32_e64 s3, v64, v55
	s_wait_alu 0xfffe
	s_or_b32 s10, s3, s10
	s_wait_loadcnt_dscnt 0x0
	v_mul_f32_e32 v24, v19, v24
	flat_store_b32 v[67:68], v24
	flat_load_b32 v24, v[69:70]
	s_wait_loadcnt_dscnt 0x0
	v_mul_f32_e32 v24, v19, v24
	flat_store_b32 v[69:70], v24
	s_wait_alu 0xfffe
	s_and_not1_b32 exec_lo, exec_lo, s10
	s_cbranch_execnz .LBB6_36
.LBB6_37:                               ;   in Loop: Header=BB6_6 Depth=1
	s_wait_alu 0xfffe
	s_or_b32 exec_lo, exec_lo, s5
.LBB6_38:                               ;   in Loop: Header=BB6_6 Depth=1
	s_wait_alu 0xfffe
	s_or_b32 exec_lo, exec_lo, s4
	s_wait_storecnt 0x0
	s_wait_loadcnt_dscnt 0x0
	s_barrier_signal -1
	s_barrier_wait -1
	global_inv scope:SCOPE_SE
	ds_load_2addr_b32 v[54:55], v25 offset1:5
	ds_load_b32 v65, v25 offset:28
	s_mov_b32 s4, -1
                                        ; implicit-def: $vgpr68_vgpr69
                                        ; implicit-def: $vgpr66_vgpr67
                                        ; implicit-def: $vgpr19
	s_wait_dscnt 0x1
	v_cmp_lt_i32_e32 vcc_lo, v55, v54
	v_mov_b32_e32 v64, v55
	s_wait_dscnt 0x0
	v_cmp_lt_i32_e64 s3, v65, v14
	s_cbranch_vccnz .LBB6_129
; %bb.39:                               ;   in Loop: Header=BB6_6 Depth=1
	v_dual_mov_b32 v69, v39 :: v_dual_mov_b32 v68, v38
	v_dual_mov_b32 v67, v35 :: v_dual_mov_b32 v66, v34
	v_mov_b32_e32 v19, v134
	s_and_saveexec_b32 s10, s3
	s_cbranch_execz .LBB6_128
; %bb.40:                               ;   in Loop: Header=BB6_6 Depth=1
	v_mov_b32_e32 v67, v35
	v_dual_mov_b32 v69, v39 :: v_dual_mov_b32 v86, v65
	v_dual_mov_b32 v19, v134 :: v_dual_mov_b32 v66, v34
	;; [unrolled: 1-line block ×3, first 2 shown]
	v_mov_b32_e32 v70, v54
	s_mov_b32 s11, 0
	s_branch .LBB6_43
.LBB6_41:                               ;   in Loop: Header=BB6_43 Depth=2
	s_wait_alu 0xfffe
	s_or_b32 exec_lo, exec_lo, s12
	s_wait_storecnt 0x0
	s_wait_loadcnt_dscnt 0x0
	s_barrier_signal -1
	s_barrier_wait -1
	global_inv scope:SCOPE_SE
	ds_load_b32 v71, v25
.LBB6_42:                               ;   in Loop: Header=BB6_43 Depth=2
	ds_load_2addr_b32 v[85:86], v25 offset0:5 offset1:7
	s_wait_dscnt 0x1
	v_mov_b32_e32 v70, v71
	s_wait_dscnt 0x0
	v_cmp_gt_i32_e32 vcc_lo, v71, v85
	v_cmp_ge_i32_e64 s4, v86, v14
	s_or_b32 s4, vcc_lo, s4
	s_wait_alu 0xfffe
	s_and_b32 s4, exec_lo, s4
	s_wait_alu 0xfffe
	s_or_b32 s11, s4, s11
	s_wait_alu 0xfffe
	s_and_not1_b32 exec_lo, exec_lo, s11
	s_cbranch_execz .LBB6_127
.LBB6_43:                               ;   Parent Loop BB6_6 Depth=1
                                        ; =>  This Loop Header: Depth=2
                                        ;       Child Loop BB6_49 Depth 3
                                        ;       Child Loop BB6_69 Depth 3
	;; [unrolled: 1-line block ×3, first 2 shown]
                                        ;         Child Loop BB6_117 Depth 4
	s_and_saveexec_b32 s12, s0
	s_cbranch_execz .LBB6_112
; %bb.44:                               ;   in Loop: Header=BB6_43 Depth=2
	v_cmp_lt_i32_e32 vcc_lo, v70, v85
	s_mov_b32 s4, 0
	s_cbranch_vccnz .LBB6_46
; %bb.45:                               ;   in Loop: Header=BB6_43 Depth=2
	v_ashrrev_i32_e32 v71, 31, v70
	s_mov_b32 s5, -1
	s_delay_alu instid0(VALU_DEP_1)
	v_dual_mov_b32 v81, v71 :: v_dual_mov_b32 v80, v70
	v_mov_b32_e32 v82, v70
	s_cbranch_execz .LBB6_47
	s_branch .LBB6_52
.LBB6_46:                               ;   in Loop: Header=BB6_43 Depth=2
	s_mov_b32 s5, 0
                                        ; implicit-def: $vgpr80_vgpr81
	v_mov_b32_e32 v82, v70
.LBB6_47:                               ;   in Loop: Header=BB6_43 Depth=2
	v_ashrrev_i32_e32 v71, 31, v70
	v_mov_b32_e32 v24, v70
	s_mov_b32 s13, 0
                                        ; implicit-def: $sgpr5
                                        ; implicit-def: $sgpr15
                                        ; implicit-def: $sgpr14
	s_delay_alu instid0(VALU_DEP_2) | instskip(NEXT) | instid1(VALU_DEP_1)
	v_lshlrev_b64_e32 v[66:67], 2, v[70:71]
	v_add_co_u32 v68, vcc_lo, v20, v66
	s_wait_alu 0xfffd
	s_delay_alu instid0(VALU_DEP_2)
	v_add_co_ci_u32_e64 v69, null, v4, v67, vcc_lo
	v_add_co_u32 v80, vcc_lo, v5, v66
	s_wait_alu 0xfffd
	v_add_co_ci_u32_e64 v81, null, v6, v67, vcc_lo
	s_branch .LBB6_49
.LBB6_48:                               ;   in Loop: Header=BB6_49 Depth=3
	s_wait_alu 0xfffe
	s_or_b32 exec_lo, exec_lo, s16
	s_xor_b32 s4, s14, -1
	s_and_b32 s16, exec_lo, s15
	s_wait_alu 0xfffe
	s_or_b32 s13, s16, s13
	s_and_not1_b32 s5, s5, exec_lo
	s_and_b32 s4, s4, exec_lo
	s_wait_alu 0xfffe
	s_or_b32 s5, s5, s4
	s_and_not1_b32 exec_lo, exec_lo, s13
	s_cbranch_execz .LBB6_51
.LBB6_49:                               ;   Parent Loop BB6_6 Depth=1
                                        ;     Parent Loop BB6_43 Depth=2
                                        ; =>    This Inner Loop Header: Depth=3
	s_delay_alu instid0(VALU_DEP_1)
	v_dual_mov_b32 v66, v80 :: v_dual_mov_b32 v67, v81
	s_or_b32 s14, s14, exec_lo
	s_or_b32 s15, s15, exec_lo
	flat_load_b64 v[80:81], v[68:69]
	flat_load_b32 v19, v[66:67]
	s_wait_loadcnt_dscnt 0x0
	v_dual_mul_f32 v55, v80, v81 :: v_dual_mul_f32 v80, v19, v19
	v_mov_b32_e32 v19, v24
                                        ; implicit-def: $vgpr24
	s_delay_alu instid0(VALU_DEP_2) | instskip(NEXT) | instid1(VALU_DEP_1)
	v_mul_f32_e64 v55, v3, |v55|
	v_cmp_nle_f32_e64 s4, |v80|, v55
                                        ; implicit-def: $vgpr80_vgpr81
	s_wait_alu 0xfffe
	s_and_saveexec_b32 s16, s4
	s_cbranch_execz .LBB6_48
; %bb.50:                               ;   in Loop: Header=BB6_49 Depth=3
	v_add_nc_u32_e32 v24, 1, v19
	v_add_co_u32 v68, vcc_lo, v68, 4
	s_wait_alu 0xfffd
	v_add_co_ci_u32_e64 v69, null, 0, v69, vcc_lo
	s_delay_alu instid0(VALU_DEP_3)
	v_cmp_ge_i32_e32 vcc_lo, v24, v85
	v_add_co_u32 v80, s4, v66, 4
	s_wait_alu 0xf1ff
	v_add_co_ci_u32_e64 v81, null, 0, v67, s4
	s_and_not1_b32 s4, s15, exec_lo
	s_and_b32 s15, vcc_lo, exec_lo
	s_and_not1_b32 s14, s14, exec_lo
	s_wait_alu 0xfffe
	s_or_b32 s15, s4, s15
	s_branch .LBB6_48
.LBB6_51:                               ;   in Loop: Header=BB6_43 Depth=2
	s_or_b32 exec_lo, exec_lo, s13
	v_dual_mov_b32 v82, v85 :: v_dual_mov_b32 v81, v71
	v_dual_mov_b32 v68, v70 :: v_dual_mov_b32 v69, v71
	v_mov_b32_e32 v80, v70
	s_mov_b32 s4, -1
.LBB6_52:                               ;   in Loop: Header=BB6_43 Depth=2
	s_wait_alu 0xfffe
	s_and_saveexec_b32 s13, s5
	s_cbranch_execnz .LBB6_81
; %bb.53:                               ;   in Loop: Header=BB6_43 Depth=2
	s_wait_alu 0xfffe
	s_or_b32 exec_lo, exec_lo, s13
	s_and_saveexec_b32 s5, s4
	s_cbranch_execz .LBB6_55
.LBB6_54:                               ;   in Loop: Header=BB6_43 Depth=2
	v_dual_mov_b32 v81, v69 :: v_dual_mov_b32 v80, v68
	v_mov_b32_e32 v82, v19
	ds_store_2addr_b32 v25, v19, v70 offset0:1 offset1:4
	flat_store_b32 v[66:67], v25
.LBB6_55:                               ;   in Loop: Header=BB6_43 Depth=2
	s_wait_alu 0xfffe
	s_or_b32 exec_lo, exec_lo, s5
	v_lshlrev_b64_e32 v[84:85], 2, v[80:81]
	s_mov_b32 s4, exec_lo
	s_delay_alu instid0(VALU_DEP_1) | instskip(SKIP_1) | instid1(VALU_DEP_2)
	v_add_co_u32 v80, vcc_lo, v20, v84
	s_wait_alu 0xfffd
	v_add_co_ci_u32_e64 v81, null, v4, v85, vcc_lo
	flat_load_b32 v71, v[80:81]
	s_wait_loadcnt_dscnt 0x0
	ds_store_b32 v25, v71 offset:8
	v_cmpx_ne_u32_e64 v82, v70
	s_wait_alu 0xfffe
	s_xor_b32 s13, exec_lo, s4
	s_cbranch_execz .LBB6_109
; %bb.56:                               ;   in Loop: Header=BB6_43 Depth=2
	v_add_nc_u32_e32 v24, 1, v70
	s_mov_b32 s4, exec_lo
	s_delay_alu instid0(VALU_DEP_1)
	v_cmpx_ne_u32_e64 v82, v24
	s_wait_alu 0xfffe
	s_xor_b32 s5, exec_lo, s4
	s_cbranch_execz .LBB6_85
; %bb.57:                               ;   in Loop: Header=BB6_43 Depth=2
	v_add_co_u32 v84, vcc_lo, v5, v84
	s_wait_alu 0xfffd
	v_add_co_ci_u32_e64 v85, null, v6, v85, vcc_lo
	v_ashrrev_i32_e32 v83, 31, v82
	s_mov_b32 s14, exec_lo
	flat_load_b32 v24, v[80:81] offset:4
	flat_load_b32 v55, v[84:85]
	v_lshlrev_b64_e32 v[98:99], 2, v[82:83]
	s_delay_alu instid0(VALU_DEP_1) | instskip(SKIP_1) | instid1(VALU_DEP_2)
	v_add_co_u32 v96, vcc_lo, v20, v98
	s_wait_alu 0xfffd
	v_add_co_ci_u32_e64 v97, null, v4, v99, vcc_lo
	flat_load_b32 v83, v[96:97]
	s_wait_loadcnt_dscnt 0x202
	v_sub_f32_e32 v24, v24, v71
	s_wait_loadcnt_dscnt 0x101
	v_add_f32_e32 v87, v55, v55
	s_delay_alu instid0(VALU_DEP_1) | instskip(SKIP_1) | instid1(VALU_DEP_2)
	v_div_scale_f32 v100, null, v87, v87, v24
	v_div_scale_f32 v145, vcc_lo, v24, v87, v24
	v_rcp_f32_e32 v101, v100
	s_wait_loadcnt_dscnt 0x0
	v_sub_f32_e32 v71, v83, v71
	v_add_nc_u32_e32 v83, 1, v86
	s_delay_alu instid0(TRANS32_DEP_1) | instskip(SKIP_2) | instid1(VALU_DEP_1)
	v_fma_f32 v144, -v100, v101, 1.0
	ds_store_2addr_b32 v25, v25, v83 offset0:2 offset1:7
	v_fmac_f32_e32 v101, v144, v101
	v_mul_f32_e32 v144, v145, v101
	s_delay_alu instid0(VALU_DEP_1) | instskip(NEXT) | instid1(VALU_DEP_1)
	v_fma_f32 v146, -v100, v144, v145
	v_fmac_f32_e32 v144, v146, v101
	s_delay_alu instid0(VALU_DEP_1) | instskip(SKIP_1) | instid1(VALU_DEP_1)
	v_fma_f32 v100, -v100, v144, v145
	s_wait_alu 0xfffd
	v_div_fmas_f32 v100, v100, v101, v144
	s_delay_alu instid0(VALU_DEP_1) | instskip(NEXT) | instid1(VALU_DEP_1)
	v_div_fixup_f32 v24, v100, v87, v24
	v_fma_f32 v87, v24, v24, 1.0
	s_delay_alu instid0(VALU_DEP_1) | instskip(SKIP_2) | instid1(VALU_DEP_2)
	v_mul_f32_e32 v100, 0x4f800000, v87
	v_cmp_gt_f32_e32 vcc_lo, 0xf800000, v87
	s_wait_alu 0xfffd
	v_cndmask_b32_e32 v87, v87, v100, vcc_lo
	s_delay_alu instid0(VALU_DEP_1) | instskip(NEXT) | instid1(TRANS32_DEP_1)
	v_sqrt_f32_e32 v100, v87
	v_add_nc_u32_e32 v101, -1, v100
	v_add_nc_u32_e32 v144, 1, v100
	s_delay_alu instid0(VALU_DEP_2) | instskip(NEXT) | instid1(VALU_DEP_2)
	v_fma_f32 v145, -v101, v100, v87
	v_fma_f32 v146, -v144, v100, v87
	s_delay_alu instid0(VALU_DEP_2) | instskip(SKIP_1) | instid1(VALU_DEP_1)
	v_cmp_ge_f32_e64 s4, 0, v145
	s_wait_alu 0xf1ff
	v_cndmask_b32_e64 v100, v100, v101, s4
	s_delay_alu instid0(VALU_DEP_3) | instskip(SKIP_1) | instid1(VALU_DEP_1)
	v_cmp_lt_f32_e64 s4, 0, v146
	s_wait_alu 0xf1ff
	v_cndmask_b32_e64 v100, v100, v144, s4
	s_delay_alu instid0(VALU_DEP_1) | instskip(NEXT) | instid1(VALU_DEP_1)
	v_mul_f32_e32 v101, 0x37800000, v100
	v_cndmask_b32_e32 v100, v100, v101, vcc_lo
	v_cmp_class_f32_e64 vcc_lo, v87, 0x260
	s_wait_alu 0xfffd
	s_delay_alu instid0(VALU_DEP_2) | instskip(SKIP_2) | instid1(VALU_DEP_2)
	v_cndmask_b32_e32 v87, v100, v87, vcc_lo
	v_cmp_nle_f32_e32 vcc_lo, 0, v24
	s_wait_alu 0xfffd
	v_cndmask_b32_e64 v87, |v87|, -|v87|, vcc_lo
	s_delay_alu instid0(VALU_DEP_1) | instskip(NEXT) | instid1(VALU_DEP_1)
	v_add_f32_e32 v24, v24, v87
	v_div_scale_f32 v87, null, v24, v24, v55
	v_div_scale_f32 v144, vcc_lo, v55, v24, v55
	s_delay_alu instid0(VALU_DEP_2) | instskip(NEXT) | instid1(TRANS32_DEP_1)
	v_rcp_f32_e32 v100, v87
	v_fma_f32 v101, -v87, v100, 1.0
	s_delay_alu instid0(VALU_DEP_1) | instskip(NEXT) | instid1(VALU_DEP_1)
	v_fmac_f32_e32 v100, v101, v100
	v_mul_f32_e32 v101, v144, v100
	s_delay_alu instid0(VALU_DEP_1) | instskip(NEXT) | instid1(VALU_DEP_1)
	v_fma_f32 v145, -v87, v101, v144
	v_fmac_f32_e32 v101, v145, v100
	s_delay_alu instid0(VALU_DEP_1) | instskip(SKIP_1) | instid1(VALU_DEP_1)
	v_fma_f32 v87, -v87, v101, v144
	s_wait_alu 0xfffd
	v_div_fmas_f32 v87, v87, v100, v101
	s_delay_alu instid0(VALU_DEP_1) | instskip(NEXT) | instid1(VALU_DEP_1)
	v_div_fixup_f32 v55, v87, v24, v55
	v_dual_mov_b32 v24, 0 :: v_dual_add_f32 v55, v71, v55
	v_cmpx_gt_i32_e64 v82, v70
	s_cbranch_execz .LBB6_84
; %bb.58:                               ;   in Loop: Header=BB6_43 Depth=2
	v_add_co_u32 v86, vcc_lo, v5, v98
	s_wait_alu 0xfffd
	v_add_co_ci_u32_e64 v87, null, v6, v99, vcc_lo
	v_dual_mov_b32 v83, 0 :: v_dual_mov_b32 v24, 1.0
	s_mov_b32 s15, exec_lo
	flat_load_b32 v71, v[86:87] offset:-4
	s_wait_loadcnt_dscnt 0x0
	v_cmpx_neq_f32_e32 0, v71
	s_cbranch_execz .LBB6_66
; %bb.59:                               ;   in Loop: Header=BB6_43 Depth=2
	v_dual_mov_b32 v24, 0 :: v_dual_mov_b32 v83, 1.0
	s_mov_b32 s16, exec_lo
	v_cmpx_neq_f32_e32 0, v55
	s_cbranch_execz .LBB6_65
; %bb.60:                               ;   in Loop: Header=BB6_43 Depth=2
	s_mov_b32 s17, exec_lo
                                        ; implicit-def: $vgpr83
                                        ; implicit-def: $vgpr24
	v_cmpx_ngt_f32_e64 |v71|, |v55|
	s_wait_alu 0xfffe
	s_xor_b32 s17, exec_lo, s17
	s_cbranch_execz .LBB6_62
; %bb.61:                               ;   in Loop: Header=BB6_43 Depth=2
	v_div_scale_f32 v24, null, v55, v55, -v71
	v_div_scale_f32 v87, vcc_lo, -v71, v55, -v71
	s_delay_alu instid0(VALU_DEP_2) | instskip(NEXT) | instid1(TRANS32_DEP_1)
	v_rcp_f32_e32 v83, v24
	v_fma_f32 v86, -v24, v83, 1.0
	s_delay_alu instid0(VALU_DEP_1) | instskip(NEXT) | instid1(VALU_DEP_1)
	v_fmac_f32_e32 v83, v86, v83
	v_mul_f32_e32 v86, v87, v83
	s_delay_alu instid0(VALU_DEP_1) | instskip(NEXT) | instid1(VALU_DEP_1)
	v_fma_f32 v100, -v24, v86, v87
	v_fmac_f32_e32 v86, v100, v83
	s_delay_alu instid0(VALU_DEP_1) | instskip(SKIP_1) | instid1(VALU_DEP_1)
	v_fma_f32 v24, -v24, v86, v87
	s_wait_alu 0xfffd
	v_div_fmas_f32 v24, v24, v83, v86
	s_delay_alu instid0(VALU_DEP_1) | instskip(NEXT) | instid1(VALU_DEP_1)
	v_div_fixup_f32 v55, v24, v55, -v71
	v_fma_f32 v24, v55, v55, 1.0
	s_delay_alu instid0(VALU_DEP_1) | instskip(SKIP_2) | instid1(VALU_DEP_2)
	v_mul_f32_e32 v83, 0x4f800000, v24
	v_cmp_gt_f32_e32 vcc_lo, 0xf800000, v24
	s_wait_alu 0xfffd
	v_cndmask_b32_e32 v24, v24, v83, vcc_lo
	s_delay_alu instid0(VALU_DEP_1) | instskip(NEXT) | instid1(TRANS32_DEP_1)
	v_sqrt_f32_e32 v83, v24
	v_add_nc_u32_e32 v86, -1, v83
	v_add_nc_u32_e32 v87, 1, v83
	s_delay_alu instid0(VALU_DEP_2) | instskip(NEXT) | instid1(VALU_DEP_2)
	v_fma_f32 v100, -v86, v83, v24
	v_fma_f32 v101, -v87, v83, v24
	s_delay_alu instid0(VALU_DEP_2) | instskip(SKIP_1) | instid1(VALU_DEP_1)
	v_cmp_ge_f32_e64 s4, 0, v100
	s_wait_alu 0xf1ff
	v_cndmask_b32_e64 v83, v83, v86, s4
	s_delay_alu instid0(VALU_DEP_3) | instskip(SKIP_1) | instid1(VALU_DEP_1)
	v_cmp_lt_f32_e64 s4, 0, v101
	s_wait_alu 0xf1ff
	v_cndmask_b32_e64 v83, v83, v87, s4
	s_delay_alu instid0(VALU_DEP_1) | instskip(NEXT) | instid1(VALU_DEP_1)
	v_mul_f32_e32 v86, 0x37800000, v83
	v_cndmask_b32_e32 v83, v83, v86, vcc_lo
	v_cmp_class_f32_e64 vcc_lo, v24, 0x260
	s_wait_alu 0xfffd
	s_delay_alu instid0(VALU_DEP_2) | instskip(NEXT) | instid1(VALU_DEP_1)
	v_cndmask_b32_e32 v24, v83, v24, vcc_lo
	v_div_scale_f32 v83, null, v24, v24, 1.0
	s_delay_alu instid0(VALU_DEP_1) | instskip(NEXT) | instid1(TRANS32_DEP_1)
	v_rcp_f32_e32 v86, v83
	v_fma_f32 v87, -v83, v86, 1.0
	s_delay_alu instid0(VALU_DEP_1) | instskip(SKIP_1) | instid1(VALU_DEP_1)
	v_fmac_f32_e32 v86, v87, v86
	v_div_scale_f32 v87, vcc_lo, 1.0, v24, 1.0
	v_mul_f32_e32 v100, v87, v86
	s_delay_alu instid0(VALU_DEP_1) | instskip(NEXT) | instid1(VALU_DEP_1)
	v_fma_f32 v101, -v83, v100, v87
	v_fmac_f32_e32 v100, v101, v86
	s_delay_alu instid0(VALU_DEP_1) | instskip(SKIP_1) | instid1(VALU_DEP_1)
	v_fma_f32 v83, -v83, v100, v87
	s_wait_alu 0xfffd
	v_div_fmas_f32 v83, v83, v86, v100
	s_delay_alu instid0(VALU_DEP_1) | instskip(NEXT) | instid1(VALU_DEP_1)
	v_div_fixup_f32 v24, v83, v24, 1.0
	v_mul_f32_e32 v83, v55, v24
                                        ; implicit-def: $vgpr55
.LBB6_62:                               ;   in Loop: Header=BB6_43 Depth=2
	s_wait_alu 0xfffe
	s_and_not1_saveexec_b32 s17, s17
	s_cbranch_execz .LBB6_64
; %bb.63:                               ;   in Loop: Header=BB6_43 Depth=2
	v_div_scale_f32 v24, null, v71, v71, -v55
	v_div_scale_f32 v87, vcc_lo, -v55, v71, -v55
	s_delay_alu instid0(VALU_DEP_2) | instskip(NEXT) | instid1(TRANS32_DEP_1)
	v_rcp_f32_e32 v83, v24
	v_fma_f32 v86, -v24, v83, 1.0
	s_delay_alu instid0(VALU_DEP_1) | instskip(NEXT) | instid1(VALU_DEP_1)
	v_fmac_f32_e32 v83, v86, v83
	v_mul_f32_e32 v86, v87, v83
	s_delay_alu instid0(VALU_DEP_1) | instskip(NEXT) | instid1(VALU_DEP_1)
	v_fma_f32 v100, -v24, v86, v87
	v_fmac_f32_e32 v86, v100, v83
	s_delay_alu instid0(VALU_DEP_1) | instskip(SKIP_1) | instid1(VALU_DEP_1)
	v_fma_f32 v24, -v24, v86, v87
	s_wait_alu 0xfffd
	v_div_fmas_f32 v24, v24, v83, v86
	s_delay_alu instid0(VALU_DEP_1) | instskip(NEXT) | instid1(VALU_DEP_1)
	v_div_fixup_f32 v24, v24, v71, -v55
	v_fma_f32 v55, v24, v24, 1.0
	s_delay_alu instid0(VALU_DEP_1) | instskip(SKIP_2) | instid1(VALU_DEP_2)
	v_mul_f32_e32 v83, 0x4f800000, v55
	v_cmp_gt_f32_e32 vcc_lo, 0xf800000, v55
	s_wait_alu 0xfffd
	v_cndmask_b32_e32 v55, v55, v83, vcc_lo
	s_delay_alu instid0(VALU_DEP_1) | instskip(NEXT) | instid1(TRANS32_DEP_1)
	v_sqrt_f32_e32 v83, v55
	v_add_nc_u32_e32 v86, -1, v83
	v_add_nc_u32_e32 v87, 1, v83
	s_delay_alu instid0(VALU_DEP_2) | instskip(NEXT) | instid1(VALU_DEP_2)
	v_fma_f32 v100, -v86, v83, v55
	v_fma_f32 v101, -v87, v83, v55
	s_delay_alu instid0(VALU_DEP_2) | instskip(SKIP_1) | instid1(VALU_DEP_1)
	v_cmp_ge_f32_e64 s4, 0, v100
	s_wait_alu 0xf1ff
	v_cndmask_b32_e64 v83, v83, v86, s4
	s_delay_alu instid0(VALU_DEP_3) | instskip(SKIP_1) | instid1(VALU_DEP_1)
	v_cmp_lt_f32_e64 s4, 0, v101
	s_wait_alu 0xf1ff
	v_cndmask_b32_e64 v83, v83, v87, s4
	s_delay_alu instid0(VALU_DEP_1) | instskip(NEXT) | instid1(VALU_DEP_1)
	v_mul_f32_e32 v86, 0x37800000, v83
	v_cndmask_b32_e32 v83, v83, v86, vcc_lo
	v_cmp_class_f32_e64 vcc_lo, v55, 0x260
	s_wait_alu 0xfffd
	s_delay_alu instid0(VALU_DEP_2) | instskip(NEXT) | instid1(VALU_DEP_1)
	v_cndmask_b32_e32 v55, v83, v55, vcc_lo
	v_div_scale_f32 v83, null, v55, v55, 1.0
	s_delay_alu instid0(VALU_DEP_1) | instskip(NEXT) | instid1(TRANS32_DEP_1)
	v_rcp_f32_e32 v86, v83
	v_fma_f32 v87, -v83, v86, 1.0
	s_delay_alu instid0(VALU_DEP_1) | instskip(SKIP_1) | instid1(VALU_DEP_1)
	v_fmac_f32_e32 v86, v87, v86
	v_div_scale_f32 v87, vcc_lo, 1.0, v55, 1.0
	v_mul_f32_e32 v100, v87, v86
	s_delay_alu instid0(VALU_DEP_1) | instskip(NEXT) | instid1(VALU_DEP_1)
	v_fma_f32 v101, -v83, v100, v87
	v_fmac_f32_e32 v100, v101, v86
	s_delay_alu instid0(VALU_DEP_1) | instskip(SKIP_1) | instid1(VALU_DEP_1)
	v_fma_f32 v83, -v83, v100, v87
	s_wait_alu 0xfffd
	v_div_fmas_f32 v83, v83, v86, v100
	s_delay_alu instid0(VALU_DEP_1) | instskip(NEXT) | instid1(VALU_DEP_1)
	v_div_fixup_f32 v83, v83, v55, 1.0
	v_mul_f32_e32 v24, v24, v83
.LBB6_64:                               ;   in Loop: Header=BB6_43 Depth=2
	s_wait_alu 0xfffe
	s_or_b32 exec_lo, exec_lo, s17
.LBB6_65:                               ;   in Loop: Header=BB6_43 Depth=2
	s_wait_alu 0xfffe
	s_or_b32 exec_lo, exec_lo, s16
.LBB6_66:                               ;   in Loop: Header=BB6_43 Depth=2
	s_wait_alu 0xfffe
	s_or_b32 exec_lo, exec_lo, s15
	flat_load_b64 v[86:87], v[96:97] offset:-4
	v_add_nc_u32_e32 v144, -1, v82
	v_add_co_u32 v98, vcc_lo, v12, v98
	s_wait_alu 0xfffd
	v_add_co_ci_u32_e64 v99, null, v13, v99, vcc_lo
	s_wait_loadcnt_dscnt 0x0
	v_sub_f32_e32 v55, v86, v87
	v_ashrrev_i32_e32 v145, 31, v144
	v_add_f32_e32 v86, v24, v24
	v_cmp_gt_i32_e32 vcc_lo, v144, v70
	s_delay_alu instid0(VALU_DEP_4) | instskip(NEXT) | instid1(VALU_DEP_4)
	v_mul_f32_e32 v55, v83, v55
	v_lshlrev_b64_e32 v[100:101], 2, v[144:145]
	s_delay_alu instid0(VALU_DEP_2) | instskip(NEXT) | instid1(VALU_DEP_2)
	v_fma_f32 v55, v71, v86, -v55
	v_add_co_u32 v86, s4, v11, v100
	s_delay_alu instid0(VALU_DEP_2)
	v_mul_f32_e64 v144, v55, -v83
	v_fma_f32 v145, v55, -v83, v87
	v_fma_f32 v55, v24, v55, -v71
	s_wait_alu 0xf1ff
	v_add_co_ci_u32_e64 v87, null, v102, v101, s4
	ds_store_b32 v25, v144 offset:8
	flat_store_b32 v[96:97], v145
	s_clause 0x1
	flat_store_b32 v[98:99], v24 offset:-4
	flat_store_b32 v[86:87], v83 offset:-4
	s_and_saveexec_b32 s15, vcc_lo
	s_cbranch_execz .LBB6_83
; %bb.67:                               ;   in Loop: Header=BB6_43 Depth=2
	v_add_nc_u32_e32 v98, -2, v82
	v_add_co_u32 v86, vcc_lo, v113, v100
	s_wait_alu 0xfffd
	v_add_co_ci_u32_e64 v87, null, v114, v101, vcc_lo
	s_delay_alu instid0(VALU_DEP_3) | instskip(SKIP_3) | instid1(VALU_DEP_3)
	v_ashrrev_i32_e32 v99, 31, v98
	v_add_co_u32 v96, vcc_lo, v115, v100
	s_wait_alu 0xfffd
	v_add_co_ci_u32_e64 v97, null, v116, v101, vcc_lo
	v_lshlrev_b64_e32 v[144:145], 2, v[98:99]
	v_add_co_u32 v98, vcc_lo, v117, v100
	s_wait_alu 0xfffd
	v_add_co_ci_u32_e64 v99, null, v118, v101, vcc_lo
	v_xor_b32_e32 v83, 0x80000000, v83
	s_delay_alu instid0(VALU_DEP_4)
	v_add_co_u32 v100, vcc_lo, v1, v144
	s_wait_alu 0xfffd
	v_add_co_ci_u32_e64 v101, null, v129, v145, vcc_lo
	s_mov_b32 s17, -1
	s_mov_b32 s16, 0
	s_branch .LBB6_69
.LBB6_68:                               ;   in Loop: Header=BB6_69 Depth=3
	flat_load_b64 v[146:147], v[96:97]
	ds_load_b32 v55, v25 offset:8
	s_add_co_i32 s17, s17, -1
	v_mul_f32_e32 v24, v24, v71
	v_add_f32_e32 v71, v144, v144
	v_add_co_u32 v98, vcc_lo, v98, -4
	s_wait_alu 0xfffd
	v_add_co_ci_u32_e64 v99, null, -1, v99, vcc_lo
	s_wait_loadcnt_dscnt 0x0
	v_sub_f32_e32 v55, v147, v55
	s_wait_alu 0xfffe
	s_delay_alu instid0(VALU_DEP_1) | instskip(NEXT) | instid1(VALU_DEP_1)
	v_dual_sub_f32 v83, v146, v55 :: v_dual_add_nc_u32 v146, s17, v82
	v_mul_f32_e32 v83, v145, v83
	s_delay_alu instid0(VALU_DEP_2) | instskip(NEXT) | instid1(VALU_DEP_2)
	v_cmp_le_i32_e32 vcc_lo, v146, v70
	v_fma_f32 v71, v24, v71, -v83
	v_xor_b32_e32 v83, 0x80000000, v145
	s_or_b32 s16, vcc_lo, s16
	s_delay_alu instid0(VALU_DEP_2)
	v_mul_f32_e64 v147, v71, -v145
	v_fma_f32 v148, v71, -v145, v55
	v_fma_f32 v55, v144, v71, -v24
	v_mov_b32_e32 v24, v144
	ds_store_b32 v25, v147 offset:8
	flat_store_b32 v[96:97], v148 offset:4
	flat_store_b32 v[86:87], v144
	flat_store_b32 v[100:101], v145
	v_add_co_u32 v86, s4, v86, -4
	s_wait_alu 0xf1ff
	v_add_co_ci_u32_e64 v87, null, -1, v87, s4
	v_add_co_u32 v96, s4, v96, -4
	s_wait_alu 0xf1ff
	v_add_co_ci_u32_e64 v97, null, -1, v97, s4
	;; [unrolled: 3-line block ×3, first 2 shown]
	s_wait_alu 0xfffe
	s_and_not1_b32 exec_lo, exec_lo, s16
	s_cbranch_execz .LBB6_82
.LBB6_69:                               ;   Parent Loop BB6_6 Depth=1
                                        ;     Parent Loop BB6_43 Depth=2
                                        ; =>    This Inner Loop Header: Depth=3
	flat_load_b32 v71, v[98:99]
	v_mov_b32_e32 v145, 0
	s_mov_b32 s18, exec_lo
	s_wait_loadcnt_dscnt 0x0
	v_dual_mov_b32 v144, 1.0 :: v_dual_mul_f32 v83, v83, v71
	s_delay_alu instid0(VALU_DEP_1)
	v_cmpx_neq_f32_e32 0, v83
	s_cbranch_execz .LBB6_79
; %bb.70:                               ;   in Loop: Header=BB6_69 Depth=3
	v_xor_b32_e32 v146, 0x80000000, v83
                                        ; implicit-def: $vgpr145
                                        ; implicit-def: $vgpr144
	s_mov_b32 s4, exec_lo
	v_cmpx_neq_f32_e32 0, v55
	s_wait_alu 0xfffe
	s_xor_b32 s19, exec_lo, s4
	s_cbranch_execz .LBB6_76
; %bb.71:                               ;   in Loop: Header=BB6_69 Depth=3
	s_mov_b32 s20, exec_lo
                                        ; implicit-def: $vgpr145
                                        ; implicit-def: $vgpr144
	v_cmpx_ngt_f32_e64 |v83|, |v55|
	s_wait_alu 0xfffe
	s_xor_b32 s20, exec_lo, s20
	s_cbranch_execz .LBB6_73
; %bb.72:                               ;   in Loop: Header=BB6_69 Depth=3
	v_div_scale_f32 v144, null, v55, v55, -v83
	v_div_scale_f32 v147, vcc_lo, -v83, v55, -v83
	s_delay_alu instid0(VALU_DEP_2) | instskip(NEXT) | instid1(TRANS32_DEP_1)
	v_rcp_f32_e32 v145, v144
	v_fma_f32 v146, -v144, v145, 1.0
	s_delay_alu instid0(VALU_DEP_1) | instskip(NEXT) | instid1(VALU_DEP_1)
	v_fmac_f32_e32 v145, v146, v145
	v_mul_f32_e32 v146, v147, v145
	s_delay_alu instid0(VALU_DEP_1) | instskip(NEXT) | instid1(VALU_DEP_1)
	v_fma_f32 v148, -v144, v146, v147
	v_fmac_f32_e32 v146, v148, v145
	s_delay_alu instid0(VALU_DEP_1) | instskip(SKIP_1) | instid1(VALU_DEP_1)
	v_fma_f32 v144, -v144, v146, v147
	s_wait_alu 0xfffd
	v_div_fmas_f32 v144, v144, v145, v146
	s_delay_alu instid0(VALU_DEP_1) | instskip(NEXT) | instid1(VALU_DEP_1)
	v_div_fixup_f32 v145, v144, v55, -v83
	v_fma_f32 v144, v145, v145, 1.0
	s_delay_alu instid0(VALU_DEP_1) | instskip(SKIP_2) | instid1(VALU_DEP_2)
	v_mul_f32_e32 v146, 0x4f800000, v144
	v_cmp_gt_f32_e32 vcc_lo, 0xf800000, v144
	s_wait_alu 0xfffd
	v_cndmask_b32_e32 v144, v144, v146, vcc_lo
	s_delay_alu instid0(VALU_DEP_1) | instskip(NEXT) | instid1(TRANS32_DEP_1)
	v_sqrt_f32_e32 v146, v144
	v_add_nc_u32_e32 v147, -1, v146
	v_add_nc_u32_e32 v148, 1, v146
	s_delay_alu instid0(VALU_DEP_2) | instskip(NEXT) | instid1(VALU_DEP_2)
	v_fma_f32 v149, -v147, v146, v144
	v_fma_f32 v150, -v148, v146, v144
	s_delay_alu instid0(VALU_DEP_2) | instskip(SKIP_1) | instid1(VALU_DEP_1)
	v_cmp_ge_f32_e64 s4, 0, v149
	s_wait_alu 0xf1ff
	v_cndmask_b32_e64 v146, v146, v147, s4
	s_delay_alu instid0(VALU_DEP_3) | instskip(SKIP_1) | instid1(VALU_DEP_1)
	v_cmp_lt_f32_e64 s4, 0, v150
	s_wait_alu 0xf1ff
	v_cndmask_b32_e64 v146, v146, v148, s4
	s_delay_alu instid0(VALU_DEP_1) | instskip(NEXT) | instid1(VALU_DEP_1)
	v_mul_f32_e32 v147, 0x37800000, v146
	v_cndmask_b32_e32 v146, v146, v147, vcc_lo
	v_cmp_class_f32_e64 vcc_lo, v144, 0x260
	s_wait_alu 0xfffd
	s_delay_alu instid0(VALU_DEP_2) | instskip(NEXT) | instid1(VALU_DEP_1)
	v_cndmask_b32_e32 v144, v146, v144, vcc_lo
	v_div_scale_f32 v146, null, v144, v144, 1.0
	s_delay_alu instid0(VALU_DEP_1) | instskip(NEXT) | instid1(TRANS32_DEP_1)
	v_rcp_f32_e32 v147, v146
	v_fma_f32 v148, -v146, v147, 1.0
	s_delay_alu instid0(VALU_DEP_1) | instskip(SKIP_1) | instid1(VALU_DEP_1)
	v_fmac_f32_e32 v147, v148, v147
	v_div_scale_f32 v148, vcc_lo, 1.0, v144, 1.0
	v_mul_f32_e32 v149, v148, v147
	s_delay_alu instid0(VALU_DEP_1) | instskip(NEXT) | instid1(VALU_DEP_1)
	v_fma_f32 v150, -v146, v149, v148
	v_fmac_f32_e32 v149, v150, v147
	s_delay_alu instid0(VALU_DEP_1) | instskip(SKIP_1) | instid1(VALU_DEP_1)
	v_fma_f32 v146, -v146, v149, v148
	s_wait_alu 0xfffd
	v_div_fmas_f32 v146, v146, v147, v149
	s_delay_alu instid0(VALU_DEP_1) | instskip(NEXT) | instid1(VALU_DEP_1)
	v_div_fixup_f32 v144, v146, v144, 1.0
	v_mul_f32_e32 v145, v145, v144
.LBB6_73:                               ;   in Loop: Header=BB6_69 Depth=3
	s_wait_alu 0xfffe
	s_and_not1_saveexec_b32 s20, s20
	s_cbranch_execz .LBB6_75
; %bb.74:                               ;   in Loop: Header=BB6_69 Depth=3
	v_div_scale_f32 v144, null, v83, v83, -v55
	v_div_scale_f32 v147, vcc_lo, -v55, v83, -v55
	s_delay_alu instid0(VALU_DEP_2) | instskip(NEXT) | instid1(TRANS32_DEP_1)
	v_rcp_f32_e32 v145, v144
	v_fma_f32 v146, -v144, v145, 1.0
	s_delay_alu instid0(VALU_DEP_1) | instskip(NEXT) | instid1(VALU_DEP_1)
	v_fmac_f32_e32 v145, v146, v145
	v_mul_f32_e32 v146, v147, v145
	s_delay_alu instid0(VALU_DEP_1) | instskip(NEXT) | instid1(VALU_DEP_1)
	v_fma_f32 v148, -v144, v146, v147
	v_fmac_f32_e32 v146, v148, v145
	s_delay_alu instid0(VALU_DEP_1) | instskip(SKIP_1) | instid1(VALU_DEP_1)
	v_fma_f32 v144, -v144, v146, v147
	s_wait_alu 0xfffd
	v_div_fmas_f32 v144, v144, v145, v146
	s_delay_alu instid0(VALU_DEP_1) | instskip(NEXT) | instid1(VALU_DEP_1)
	v_div_fixup_f32 v144, v144, v83, -v55
	v_fma_f32 v145, v144, v144, 1.0
	s_delay_alu instid0(VALU_DEP_1) | instskip(SKIP_2) | instid1(VALU_DEP_2)
	v_mul_f32_e32 v146, 0x4f800000, v145
	v_cmp_gt_f32_e32 vcc_lo, 0xf800000, v145
	s_wait_alu 0xfffd
	v_cndmask_b32_e32 v145, v145, v146, vcc_lo
	s_delay_alu instid0(VALU_DEP_1) | instskip(NEXT) | instid1(TRANS32_DEP_1)
	v_sqrt_f32_e32 v146, v145
	v_add_nc_u32_e32 v147, -1, v146
	v_add_nc_u32_e32 v148, 1, v146
	s_delay_alu instid0(VALU_DEP_2) | instskip(NEXT) | instid1(VALU_DEP_2)
	v_fma_f32 v149, -v147, v146, v145
	v_fma_f32 v150, -v148, v146, v145
	s_delay_alu instid0(VALU_DEP_2) | instskip(SKIP_1) | instid1(VALU_DEP_1)
	v_cmp_ge_f32_e64 s4, 0, v149
	s_wait_alu 0xf1ff
	v_cndmask_b32_e64 v146, v146, v147, s4
	s_delay_alu instid0(VALU_DEP_3) | instskip(SKIP_1) | instid1(VALU_DEP_1)
	v_cmp_lt_f32_e64 s4, 0, v150
	s_wait_alu 0xf1ff
	v_cndmask_b32_e64 v146, v146, v148, s4
	s_delay_alu instid0(VALU_DEP_1) | instskip(NEXT) | instid1(VALU_DEP_1)
	v_mul_f32_e32 v147, 0x37800000, v146
	v_cndmask_b32_e32 v146, v146, v147, vcc_lo
	v_cmp_class_f32_e64 vcc_lo, v145, 0x260
	s_wait_alu 0xfffd
	s_delay_alu instid0(VALU_DEP_2) | instskip(NEXT) | instid1(VALU_DEP_1)
	v_cndmask_b32_e32 v145, v146, v145, vcc_lo
	v_div_scale_f32 v146, null, v145, v145, 1.0
	s_delay_alu instid0(VALU_DEP_1) | instskip(NEXT) | instid1(TRANS32_DEP_1)
	v_rcp_f32_e32 v147, v146
	v_fma_f32 v148, -v146, v147, 1.0
	s_delay_alu instid0(VALU_DEP_1) | instskip(SKIP_1) | instid1(VALU_DEP_1)
	v_fmac_f32_e32 v147, v148, v147
	v_div_scale_f32 v148, vcc_lo, 1.0, v145, 1.0
	v_mul_f32_e32 v149, v148, v147
	s_delay_alu instid0(VALU_DEP_1) | instskip(NEXT) | instid1(VALU_DEP_1)
	v_fma_f32 v150, -v146, v149, v148
	v_fmac_f32_e32 v149, v150, v147
	s_delay_alu instid0(VALU_DEP_1) | instskip(SKIP_1) | instid1(VALU_DEP_1)
	v_fma_f32 v146, -v146, v149, v148
	s_wait_alu 0xfffd
	v_div_fmas_f32 v146, v146, v147, v149
	s_delay_alu instid0(VALU_DEP_1) | instskip(NEXT) | instid1(VALU_DEP_1)
	v_div_fixup_f32 v145, v146, v145, 1.0
	v_mul_f32_e32 v144, v144, v145
.LBB6_75:                               ;   in Loop: Header=BB6_69 Depth=3
	s_wait_alu 0xfffe
	s_or_b32 exec_lo, exec_lo, s20
	v_mul_f32_e32 v83, v83, v145
	s_delay_alu instid0(VALU_DEP_1)
	v_fma_f32 v146, v55, v144, -v83
.LBB6_76:                               ;   in Loop: Header=BB6_69 Depth=3
	s_wait_alu 0xfffe
	s_and_not1_saveexec_b32 s4, s19
; %bb.77:                               ;   in Loop: Header=BB6_69 Depth=3
	v_dual_mov_b32 v144, 0 :: v_dual_mov_b32 v145, 1.0
; %bb.78:                               ;   in Loop: Header=BB6_69 Depth=3
	s_wait_alu 0xfffe
	s_or_b32 exec_lo, exec_lo, s4
	v_mov_b32_e32 v55, v146
.LBB6_79:                               ;   in Loop: Header=BB6_69 Depth=3
	s_wait_alu 0xfffe
	s_or_b32 exec_lo, exec_lo, s18
	s_cmp_eq_u32 s17, 0
	s_cbranch_scc1 .LBB6_68
; %bb.80:                               ;   in Loop: Header=BB6_69 Depth=3
	flat_store_b32 v[98:99], v55 offset:4
	s_branch .LBB6_68
.LBB6_81:                               ;   in Loop: Header=BB6_43 Depth=2
	s_and_not1_b32 s4, s4, exec_lo
	ds_store_2addr_b32 v25, v82, v70 offset0:1 offset1:4
	s_wait_alu 0xfffe
	s_or_b32 exec_lo, exec_lo, s13
	s_and_saveexec_b32 s5, s4
	s_cbranch_execnz .LBB6_54
	s_branch .LBB6_55
.LBB6_82:                               ;   in Loop: Header=BB6_43 Depth=2
	s_or_b32 exec_lo, exec_lo, s16
.LBB6_83:                               ;   in Loop: Header=BB6_43 Depth=2
	s_wait_alu 0xfffe
	s_or_b32 exec_lo, exec_lo, s15
	ds_load_b32 v24, v25 offset:8
.LBB6_84:                               ;   in Loop: Header=BB6_43 Depth=2
	s_wait_alu 0xfffe
	s_or_b32 exec_lo, exec_lo, s14
	flat_load_b32 v70, v[80:81]
                                        ; implicit-def: $vgpr71
	s_wait_loadcnt_dscnt 0x0
	v_sub_f32_e32 v24, v70, v24
                                        ; implicit-def: $vgpr70
	flat_store_b32 v[80:81], v24
	flat_store_b32 v[84:85], v55
                                        ; implicit-def: $vgpr84_vgpr85
                                        ; implicit-def: $vgpr80_vgpr81
.LBB6_85:                               ;   in Loop: Header=BB6_43 Depth=2
	s_wait_alu 0xfffe
	s_and_not1_saveexec_b32 s14, s5
	s_cbranch_execz .LBB6_118
; %bb.86:                               ;   in Loop: Header=BB6_43 Depth=2
	v_add_co_u32 v82, vcc_lo, v5, v84
	s_wait_alu 0xfffd
	v_add_co_ci_u32_e64 v83, null, v6, v85, vcc_lo
	s_mov_b32 s5, exec_lo
                                        ; implicit-def: $vgpr96
	flat_load_b32 v97, v[82:83]
	flat_load_b32 v86, v[80:81] offset:4
	s_wait_loadcnt_dscnt 0x0
	v_dual_add_f32 v24, v97, v97 :: v_dual_sub_f32 v55, v71, v86
	s_delay_alu instid0(VALU_DEP_1) | instskip(NEXT) | instid1(VALU_DEP_2)
	v_and_b32_e32 v87, 0x7fffffff, v24
	v_cmpx_ngt_f32_e64 |v55|, |v24|
	s_wait_alu 0xfffe
	s_xor_b32 s5, exec_lo, s5
	s_cbranch_execz .LBB6_92
; %bb.87:                               ;   in Loop: Header=BB6_43 Depth=2
	v_cmp_nlt_f32_e64 s4, |v55|, |v24|
                                        ; implicit-def: $vgpr96
	s_and_saveexec_b32 s15, s4
	s_wait_alu 0xfffe
	s_xor_b32 s4, exec_lo, s15
	s_cbranch_execz .LBB6_89
; %bb.88:                               ;   in Loop: Header=BB6_43 Depth=2
	v_cvt_f64_f32_e32 v[98:99], v87
                                        ; implicit-def: $vgpr87
	s_delay_alu instid0(VALU_DEP_1) | instskip(NEXT) | instid1(VALU_DEP_1)
	v_mul_f64_e32 v[98:99], s[6:7], v[98:99]
	v_cvt_f32_f64_e32 v96, v[98:99]
.LBB6_89:                               ;   in Loop: Header=BB6_43 Depth=2
	s_wait_alu 0xfffe
	s_and_not1_saveexec_b32 s15, s4
	s_cbranch_execz .LBB6_91
; %bb.90:                               ;   in Loop: Header=BB6_43 Depth=2
	v_and_b32_e32 v96, 0x7fffffff, v55
	s_delay_alu instid0(VALU_DEP_1) | instskip(SKIP_1) | instid1(VALU_DEP_2)
	v_div_scale_f32 v98, null, v87, v87, v96
	v_div_scale_f32 v87, vcc_lo, v96, v87, v96
	v_rcp_f32_e32 v99, v98
	s_delay_alu instid0(TRANS32_DEP_1) | instskip(NEXT) | instid1(VALU_DEP_1)
	v_fma_f32 v100, -v98, v99, 1.0
	v_fmac_f32_e32 v99, v100, v99
	s_delay_alu instid0(VALU_DEP_1) | instskip(NEXT) | instid1(VALU_DEP_1)
	v_mul_f32_e32 v96, v87, v99
	v_fma_f32 v100, -v98, v96, v87
	s_delay_alu instid0(VALU_DEP_1) | instskip(NEXT) | instid1(VALU_DEP_1)
	v_fmac_f32_e32 v96, v100, v99
	v_fma_f32 v87, -v98, v96, v87
	s_wait_alu 0xfffd
	s_delay_alu instid0(VALU_DEP_1) | instskip(NEXT) | instid1(VALU_DEP_1)
	v_div_fmas_f32 v87, v87, v99, v96
	v_div_fixup_f32 v87, v87, |v24|, |v55|
	s_delay_alu instid0(VALU_DEP_1) | instskip(NEXT) | instid1(VALU_DEP_1)
	v_fma_f32 v87, v87, v87, 1.0
	v_mul_f32_e32 v96, 0x4f800000, v87
	v_cmp_gt_f32_e32 vcc_lo, 0xf800000, v87
	s_wait_alu 0xfffd
	s_delay_alu instid0(VALU_DEP_2) | instskip(NEXT) | instid1(VALU_DEP_1)
	v_cndmask_b32_e32 v87, v87, v96, vcc_lo
	v_sqrt_f32_e32 v96, v87
	s_delay_alu instid0(TRANS32_DEP_1) | instskip(SKIP_1) | instid1(VALU_DEP_2)
	v_add_nc_u32_e32 v98, -1, v96
	v_add_nc_u32_e32 v99, 1, v96
	v_fma_f32 v100, -v98, v96, v87
	s_delay_alu instid0(VALU_DEP_2) | instskip(NEXT) | instid1(VALU_DEP_2)
	v_fma_f32 v101, -v99, v96, v87
	v_cmp_ge_f32_e64 s4, 0, v100
	s_wait_alu 0xf1ff
	s_delay_alu instid0(VALU_DEP_1) | instskip(NEXT) | instid1(VALU_DEP_3)
	v_cndmask_b32_e64 v96, v96, v98, s4
	v_cmp_lt_f32_e64 s4, 0, v101
	s_wait_alu 0xf1ff
	s_delay_alu instid0(VALU_DEP_1) | instskip(NEXT) | instid1(VALU_DEP_1)
	v_cndmask_b32_e64 v96, v96, v99, s4
	v_mul_f32_e32 v98, 0x37800000, v96
	s_delay_alu instid0(VALU_DEP_1) | instskip(SKIP_2) | instid1(VALU_DEP_2)
	v_cndmask_b32_e32 v96, v96, v98, vcc_lo
	v_cmp_class_f32_e64 vcc_lo, v87, 0x260
	s_wait_alu 0xfffd
	v_cndmask_b32_e32 v87, v96, v87, vcc_lo
	s_delay_alu instid0(VALU_DEP_1)
	v_mul_f32_e64 v96, |v24|, v87
.LBB6_91:                               ;   in Loop: Header=BB6_43 Depth=2
	s_wait_alu 0xfffe
	s_or_b32 exec_lo, exec_lo, s15
                                        ; implicit-def: $vgpr87
.LBB6_92:                               ;   in Loop: Header=BB6_43 Depth=2
	s_wait_alu 0xfffe
	s_and_not1_saveexec_b32 s5, s5
	s_cbranch_execz .LBB6_94
; %bb.93:                               ;   in Loop: Header=BB6_43 Depth=2
	v_and_b32_e32 v96, 0x7fffffff, v55
	s_delay_alu instid0(VALU_DEP_1) | instskip(SKIP_1) | instid1(VALU_DEP_2)
	v_div_scale_f32 v98, null, v96, v96, v87
	v_div_scale_f32 v87, vcc_lo, v87, v96, v87
	v_rcp_f32_e32 v99, v98
	s_delay_alu instid0(TRANS32_DEP_1) | instskip(NEXT) | instid1(VALU_DEP_1)
	v_fma_f32 v100, -v98, v99, 1.0
	v_fmac_f32_e32 v99, v100, v99
	s_delay_alu instid0(VALU_DEP_1) | instskip(NEXT) | instid1(VALU_DEP_1)
	v_mul_f32_e32 v96, v87, v99
	v_fma_f32 v100, -v98, v96, v87
	s_delay_alu instid0(VALU_DEP_1) | instskip(NEXT) | instid1(VALU_DEP_1)
	v_fmac_f32_e32 v96, v100, v99
	v_fma_f32 v87, -v98, v96, v87
	s_wait_alu 0xfffd
	s_delay_alu instid0(VALU_DEP_1) | instskip(NEXT) | instid1(VALU_DEP_1)
	v_div_fmas_f32 v87, v87, v99, v96
	v_div_fixup_f32 v87, v87, |v55|, |v24|
	s_delay_alu instid0(VALU_DEP_1) | instskip(NEXT) | instid1(VALU_DEP_1)
	v_fma_f32 v87, v87, v87, 1.0
	v_mul_f32_e32 v96, 0x4f800000, v87
	v_cmp_gt_f32_e32 vcc_lo, 0xf800000, v87
	s_wait_alu 0xfffd
	s_delay_alu instid0(VALU_DEP_2) | instskip(NEXT) | instid1(VALU_DEP_1)
	v_cndmask_b32_e32 v87, v87, v96, vcc_lo
	v_sqrt_f32_e32 v96, v87
	s_delay_alu instid0(TRANS32_DEP_1) | instskip(SKIP_1) | instid1(VALU_DEP_2)
	v_add_nc_u32_e32 v98, -1, v96
	v_add_nc_u32_e32 v99, 1, v96
	v_fma_f32 v100, -v98, v96, v87
	s_delay_alu instid0(VALU_DEP_2) | instskip(NEXT) | instid1(VALU_DEP_2)
	v_fma_f32 v101, -v99, v96, v87
	v_cmp_ge_f32_e64 s4, 0, v100
	s_wait_alu 0xf1ff
	s_delay_alu instid0(VALU_DEP_1) | instskip(NEXT) | instid1(VALU_DEP_3)
	v_cndmask_b32_e64 v96, v96, v98, s4
	v_cmp_lt_f32_e64 s4, 0, v101
	s_wait_alu 0xf1ff
	s_delay_alu instid0(VALU_DEP_1) | instskip(NEXT) | instid1(VALU_DEP_1)
	v_cndmask_b32_e64 v96, v96, v99, s4
	v_mul_f32_e32 v98, 0x37800000, v96
	s_delay_alu instid0(VALU_DEP_1) | instskip(SKIP_2) | instid1(VALU_DEP_2)
	v_cndmask_b32_e32 v96, v96, v98, vcc_lo
	v_cmp_class_f32_e64 vcc_lo, v87, 0x260
	s_wait_alu 0xfffd
	v_cndmask_b32_e32 v87, v96, v87, vcc_lo
	s_delay_alu instid0(VALU_DEP_1)
	v_mul_f32_e64 v96, |v55|, v87
.LBB6_94:                               ;   in Loop: Header=BB6_43 Depth=2
	s_wait_alu 0xfffe
	s_or_b32 exec_lo, exec_lo, s5
	v_cmp_gt_f32_e64 vcc_lo, |v71|, |v86|
	v_add_f32_e32 v99, v71, v86
	s_mov_b32 s4, exec_lo
	s_wait_alu 0xfffd
	v_cndmask_b32_e32 v98, v71, v86, vcc_lo
	v_cndmask_b32_e32 v100, v86, v71, vcc_lo
                                        ; implicit-def: $vgpr87
	v_cmpx_ngt_f32_e32 0, v99
	s_wait_alu 0xfffe
	s_xor_b32 s5, exec_lo, s4
	s_cbranch_execz .LBB6_100
; %bb.95:                               ;   in Loop: Header=BB6_43 Depth=2
	s_mov_b32 s4, exec_lo
                                        ; implicit-def: $vgpr87
	v_cmpx_nlt_f32_e32 0, v99
	s_wait_alu 0xfffe
	s_xor_b32 s4, exec_lo, s4
; %bb.96:                               ;   in Loop: Header=BB6_43 Depth=2
	v_mul_f32_e32 v86, 0.5, v96
	v_mul_f32_e32 v87, -0.5, v96
                                        ; implicit-def: $vgpr99
                                        ; implicit-def: $vgpr100
                                        ; implicit-def: $vgpr98
                                        ; implicit-def: $vgpr97
; %bb.97:                               ;   in Loop: Header=BB6_43 Depth=2
	s_wait_alu 0xfffe
	s_and_not1_saveexec_b32 s15, s4
	s_cbranch_execz .LBB6_99
; %bb.98:                               ;   in Loop: Header=BB6_43 Depth=2
	v_add_f32_e32 v71, v99, v96
	v_cvt_f64_f32_e32 v[99:100], v100
	v_cvt_f64_f32_e32 v[146:147], v97
	;; [unrolled: 1-line block ×3, first 2 shown]
	s_delay_alu instid0(VALU_DEP_4) | instskip(NEXT) | instid1(VALU_DEP_1)
	v_mul_f32_e32 v86, 0.5, v71
	v_cvt_f64_f32_e32 v[144:145], v86
	s_delay_alu instid0(VALU_DEP_1) | instskip(SKIP_2) | instid1(VALU_DEP_3)
	v_div_scale_f64 v[148:149], null, v[144:145], v[144:145], v[99:100]
	v_div_scale_f64 v[150:151], null, v[144:145], v[144:145], v[146:147]
	v_div_scale_f64 v[176:177], vcc_lo, v[99:100], v[144:145], v[99:100]
	v_rcp_f64_e32 v[160:161], v[148:149]
	s_delay_alu instid0(VALU_DEP_2) | instskip(NEXT) | instid1(TRANS32_DEP_2)
	v_rcp_f64_e32 v[162:163], v[150:151]
	v_fma_f64 v[164:165], -v[148:149], v[160:161], 1.0
	s_delay_alu instid0(TRANS32_DEP_1) | instskip(NEXT) | instid1(VALU_DEP_2)
	v_fma_f64 v[166:167], -v[150:151], v[162:163], 1.0
	v_fma_f64 v[160:161], v[160:161], v[164:165], v[160:161]
	s_delay_alu instid0(VALU_DEP_2) | instskip(NEXT) | instid1(VALU_DEP_2)
	v_fma_f64 v[162:163], v[162:163], v[166:167], v[162:163]
	v_fma_f64 v[164:165], -v[148:149], v[160:161], 1.0
	s_delay_alu instid0(VALU_DEP_2) | instskip(NEXT) | instid1(VALU_DEP_2)
	v_fma_f64 v[166:167], -v[150:151], v[162:163], 1.0
	v_fma_f64 v[160:161], v[160:161], v[164:165], v[160:161]
	v_div_scale_f64 v[164:165], s4, v[146:147], v[144:145], v[146:147]
	s_delay_alu instid0(VALU_DEP_3) | instskip(NEXT) | instid1(VALU_DEP_3)
	v_fma_f64 v[162:163], v[162:163], v[166:167], v[162:163]
	v_mul_f64_e32 v[166:167], v[176:177], v[160:161]
	s_delay_alu instid0(VALU_DEP_2) | instskip(NEXT) | instid1(VALU_DEP_2)
	v_mul_f64_e32 v[178:179], v[164:165], v[162:163]
	v_fma_f64 v[148:149], -v[148:149], v[166:167], v[176:177]
	s_delay_alu instid0(VALU_DEP_2) | instskip(SKIP_1) | instid1(VALU_DEP_2)
	v_fma_f64 v[150:151], -v[150:151], v[178:179], v[164:165]
	s_wait_alu 0xfffd
	v_div_fmas_f64 v[148:149], v[148:149], v[160:161], v[166:167]
	s_mov_b32 vcc_lo, s4
	s_wait_alu 0xfffe
	s_delay_alu instid0(VALU_DEP_2) | instskip(NEXT) | instid1(VALU_DEP_2)
	v_div_fmas_f64 v[150:151], v[150:151], v[162:163], v[178:179]
	v_div_fixup_f64 v[99:100], v[148:149], v[144:145], v[99:100]
	s_delay_alu instid0(VALU_DEP_2) | instskip(NEXT) | instid1(VALU_DEP_1)
	v_div_fixup_f64 v[150:151], v[150:151], v[144:145], v[146:147]
	v_mul_f64_e32 v[144:145], v[150:151], v[146:147]
	s_delay_alu instid0(VALU_DEP_1) | instskip(NEXT) | instid1(VALU_DEP_1)
	v_fma_f64 v[97:98], v[99:100], v[97:98], -v[144:145]
	v_cvt_f32_f64_e32 v87, v[97:98]
.LBB6_99:                               ;   in Loop: Header=BB6_43 Depth=2
	s_wait_alu 0xfffe
	s_or_b32 exec_lo, exec_lo, s15
                                        ; implicit-def: $vgpr99
                                        ; implicit-def: $vgpr100
                                        ; implicit-def: $vgpr98
                                        ; implicit-def: $vgpr97
.LBB6_100:                              ;   in Loop: Header=BB6_43 Depth=2
	s_wait_alu 0xfffe
	s_or_saveexec_b32 s5, s5
	v_mov_b32_e32 v71, 1
	s_wait_alu 0xfffe
	s_xor_b32 exec_lo, exec_lo, s5
	s_cbranch_execz .LBB6_102
; %bb.101:                              ;   in Loop: Header=BB6_43 Depth=2
	v_sub_f32_e32 v71, v99, v96
	v_cvt_f64_f32_e32 v[99:100], v100
	v_cvt_f64_f32_e32 v[146:147], v97
	;; [unrolled: 1-line block ×3, first 2 shown]
	s_delay_alu instid0(VALU_DEP_4) | instskip(NEXT) | instid1(VALU_DEP_1)
	v_dual_mul_f32 v86, 0.5, v71 :: v_dual_mov_b32 v71, -1
	v_cvt_f64_f32_e32 v[144:145], v86
	s_delay_alu instid0(VALU_DEP_1) | instskip(SKIP_2) | instid1(VALU_DEP_3)
	v_div_scale_f64 v[148:149], null, v[144:145], v[144:145], v[99:100]
	v_div_scale_f64 v[150:151], null, v[144:145], v[144:145], v[146:147]
	v_div_scale_f64 v[176:177], vcc_lo, v[99:100], v[144:145], v[99:100]
	v_rcp_f64_e32 v[160:161], v[148:149]
	s_delay_alu instid0(VALU_DEP_2) | instskip(NEXT) | instid1(TRANS32_DEP_2)
	v_rcp_f64_e32 v[162:163], v[150:151]
	v_fma_f64 v[164:165], -v[148:149], v[160:161], 1.0
	s_delay_alu instid0(TRANS32_DEP_1) | instskip(NEXT) | instid1(VALU_DEP_2)
	v_fma_f64 v[166:167], -v[150:151], v[162:163], 1.0
	v_fma_f64 v[160:161], v[160:161], v[164:165], v[160:161]
	s_delay_alu instid0(VALU_DEP_2) | instskip(NEXT) | instid1(VALU_DEP_2)
	v_fma_f64 v[162:163], v[162:163], v[166:167], v[162:163]
	v_fma_f64 v[164:165], -v[148:149], v[160:161], 1.0
	s_delay_alu instid0(VALU_DEP_2) | instskip(NEXT) | instid1(VALU_DEP_2)
	v_fma_f64 v[166:167], -v[150:151], v[162:163], 1.0
	v_fma_f64 v[160:161], v[160:161], v[164:165], v[160:161]
	v_div_scale_f64 v[164:165], s4, v[146:147], v[144:145], v[146:147]
	s_delay_alu instid0(VALU_DEP_3) | instskip(NEXT) | instid1(VALU_DEP_3)
	v_fma_f64 v[162:163], v[162:163], v[166:167], v[162:163]
	v_mul_f64_e32 v[166:167], v[176:177], v[160:161]
	s_delay_alu instid0(VALU_DEP_2) | instskip(NEXT) | instid1(VALU_DEP_2)
	v_mul_f64_e32 v[178:179], v[164:165], v[162:163]
	v_fma_f64 v[148:149], -v[148:149], v[166:167], v[176:177]
	s_delay_alu instid0(VALU_DEP_2) | instskip(SKIP_1) | instid1(VALU_DEP_2)
	v_fma_f64 v[150:151], -v[150:151], v[178:179], v[164:165]
	s_wait_alu 0xfffd
	v_div_fmas_f64 v[148:149], v[148:149], v[160:161], v[166:167]
	s_mov_b32 vcc_lo, s4
	s_wait_alu 0xfffe
	s_delay_alu instid0(VALU_DEP_2) | instskip(NEXT) | instid1(VALU_DEP_2)
	v_div_fmas_f64 v[150:151], v[150:151], v[162:163], v[178:179]
	v_div_fixup_f64 v[99:100], v[148:149], v[144:145], v[99:100]
	s_delay_alu instid0(VALU_DEP_2) | instskip(NEXT) | instid1(VALU_DEP_1)
	v_div_fixup_f64 v[150:151], v[150:151], v[144:145], v[146:147]
	v_mul_f64_e32 v[144:145], v[150:151], v[146:147]
	s_delay_alu instid0(VALU_DEP_1) | instskip(NEXT) | instid1(VALU_DEP_1)
	v_fma_f64 v[97:98], v[99:100], v[97:98], -v[144:145]
	v_cvt_f32_f64_e32 v87, v[97:98]
.LBB6_102:                              ;   in Loop: Header=BB6_43 Depth=2
	s_or_b32 exec_lo, exec_lo, s5
	v_cmp_nle_f32_e64 s4, 0, v55
	s_mov_b32 s15, exec_lo
                                        ; implicit-def: $vgpr97
	s_wait_alu 0xf1ff
	v_cndmask_b32_e64 v96, v96, -v96, s4
	s_delay_alu instid0(VALU_DEP_1) | instskip(NEXT) | instid1(VALU_DEP_1)
	v_add_f32_e32 v55, v55, v96
                                        ; implicit-def: $vgpr96
	v_cmpx_ngt_f32_e64 |v55|, |v24|
	s_wait_alu 0xfffe
	s_xor_b32 s15, exec_lo, s15
	s_cbranch_execz .LBB6_106
; %bb.103:                              ;   in Loop: Header=BB6_43 Depth=2
	v_dual_mov_b32 v96, 0 :: v_dual_mov_b32 v97, 1.0
	s_mov_b32 s16, exec_lo
	v_cmpx_neq_f32_e32 0, v24
	s_cbranch_execz .LBB6_105
; %bb.104:                              ;   in Loop: Header=BB6_43 Depth=2
	v_div_scale_f32 v96, null, v24, v24, -v55
	v_div_scale_f32 v99, vcc_lo, -v55, v24, -v55
	s_delay_alu instid0(VALU_DEP_2) | instskip(NEXT) | instid1(TRANS32_DEP_1)
	v_rcp_f32_e32 v97, v96
	v_fma_f32 v98, -v96, v97, 1.0
	s_delay_alu instid0(VALU_DEP_1) | instskip(NEXT) | instid1(VALU_DEP_1)
	v_fmac_f32_e32 v97, v98, v97
	v_mul_f32_e32 v98, v99, v97
	s_delay_alu instid0(VALU_DEP_1) | instskip(NEXT) | instid1(VALU_DEP_1)
	v_fma_f32 v100, -v96, v98, v99
	v_fmac_f32_e32 v98, v100, v97
	s_delay_alu instid0(VALU_DEP_1) | instskip(SKIP_1) | instid1(VALU_DEP_1)
	v_fma_f32 v96, -v96, v98, v99
	s_wait_alu 0xfffd
	v_div_fmas_f32 v96, v96, v97, v98
	s_delay_alu instid0(VALU_DEP_1) | instskip(NEXT) | instid1(VALU_DEP_1)
	v_div_fixup_f32 v24, v96, v24, -v55
	v_fma_f32 v55, v24, v24, 1.0
	s_delay_alu instid0(VALU_DEP_1) | instskip(SKIP_2) | instid1(VALU_DEP_2)
	v_mul_f32_e32 v96, 0x4f800000, v55
	v_cmp_gt_f32_e32 vcc_lo, 0xf800000, v55
	s_wait_alu 0xfffd
	v_cndmask_b32_e32 v55, v55, v96, vcc_lo
	s_delay_alu instid0(VALU_DEP_1) | instskip(NEXT) | instid1(TRANS32_DEP_1)
	v_sqrt_f32_e32 v96, v55
	v_add_nc_u32_e32 v97, -1, v96
	v_add_nc_u32_e32 v98, 1, v96
	s_delay_alu instid0(VALU_DEP_2) | instskip(NEXT) | instid1(VALU_DEP_2)
	v_fma_f32 v99, -v97, v96, v55
	v_fma_f32 v100, -v98, v96, v55
	s_delay_alu instid0(VALU_DEP_2) | instskip(SKIP_1) | instid1(VALU_DEP_1)
	v_cmp_ge_f32_e64 s5, 0, v99
	s_wait_alu 0xf1ff
	v_cndmask_b32_e64 v96, v96, v97, s5
	s_delay_alu instid0(VALU_DEP_3) | instskip(SKIP_1) | instid1(VALU_DEP_1)
	v_cmp_lt_f32_e64 s5, 0, v100
	s_wait_alu 0xf1ff
	v_cndmask_b32_e64 v96, v96, v98, s5
	s_delay_alu instid0(VALU_DEP_1) | instskip(NEXT) | instid1(VALU_DEP_1)
	v_mul_f32_e32 v97, 0x37800000, v96
	v_cndmask_b32_e32 v96, v96, v97, vcc_lo
	v_cmp_class_f32_e64 vcc_lo, v55, 0x260
	s_wait_alu 0xfffd
	s_delay_alu instid0(VALU_DEP_2) | instskip(NEXT) | instid1(VALU_DEP_1)
	v_cndmask_b32_e32 v55, v96, v55, vcc_lo
	v_div_scale_f32 v96, null, v55, v55, 1.0
	s_delay_alu instid0(VALU_DEP_1) | instskip(NEXT) | instid1(TRANS32_DEP_1)
	v_rcp_f32_e32 v97, v96
	v_fma_f32 v98, -v96, v97, 1.0
	s_delay_alu instid0(VALU_DEP_1) | instskip(SKIP_1) | instid1(VALU_DEP_1)
	v_fmac_f32_e32 v97, v98, v97
	v_div_scale_f32 v98, vcc_lo, 1.0, v55, 1.0
	v_mul_f32_e32 v99, v98, v97
	s_delay_alu instid0(VALU_DEP_1) | instskip(NEXT) | instid1(VALU_DEP_1)
	v_fma_f32 v100, -v96, v99, v98
	v_fmac_f32_e32 v99, v100, v97
	s_delay_alu instid0(VALU_DEP_1) | instskip(SKIP_1) | instid1(VALU_DEP_1)
	v_fma_f32 v96, -v96, v99, v98
	s_wait_alu 0xfffd
	v_div_fmas_f32 v96, v96, v97, v99
	s_delay_alu instid0(VALU_DEP_1) | instskip(NEXT) | instid1(VALU_DEP_1)
	v_div_fixup_f32 v97, v96, v55, 1.0
	v_mul_f32_e32 v96, v24, v97
.LBB6_105:                              ;   in Loop: Header=BB6_43 Depth=2
	s_wait_alu 0xfffe
	s_or_b32 exec_lo, exec_lo, s16
                                        ; implicit-def: $vgpr55
                                        ; implicit-def: $vgpr24
.LBB6_106:                              ;   in Loop: Header=BB6_43 Depth=2
	s_wait_alu 0xfffe
	s_and_not1_saveexec_b32 s15, s15
	s_cbranch_execz .LBB6_108
; %bb.107:                              ;   in Loop: Header=BB6_43 Depth=2
	v_div_scale_f32 v96, null, v55, v55, -v24
	v_div_scale_f32 v99, vcc_lo, -v24, v55, -v24
	s_delay_alu instid0(VALU_DEP_2) | instskip(NEXT) | instid1(TRANS32_DEP_1)
	v_rcp_f32_e32 v97, v96
	v_fma_f32 v98, -v96, v97, 1.0
	s_delay_alu instid0(VALU_DEP_1) | instskip(NEXT) | instid1(VALU_DEP_1)
	v_fmac_f32_e32 v97, v98, v97
	v_mul_f32_e32 v98, v99, v97
	s_delay_alu instid0(VALU_DEP_1) | instskip(NEXT) | instid1(VALU_DEP_1)
	v_fma_f32 v100, -v96, v98, v99
	v_fmac_f32_e32 v98, v100, v97
	s_delay_alu instid0(VALU_DEP_1) | instskip(SKIP_1) | instid1(VALU_DEP_1)
	v_fma_f32 v96, -v96, v98, v99
	s_wait_alu 0xfffd
	v_div_fmas_f32 v96, v96, v97, v98
	s_delay_alu instid0(VALU_DEP_1) | instskip(NEXT) | instid1(VALU_DEP_1)
	v_div_fixup_f32 v24, v96, v55, -v24
	v_fma_f32 v55, v24, v24, 1.0
	s_delay_alu instid0(VALU_DEP_1) | instskip(SKIP_2) | instid1(VALU_DEP_2)
	v_mul_f32_e32 v96, 0x4f800000, v55
	v_cmp_gt_f32_e32 vcc_lo, 0xf800000, v55
	s_wait_alu 0xfffd
	v_cndmask_b32_e32 v55, v55, v96, vcc_lo
	s_delay_alu instid0(VALU_DEP_1) | instskip(NEXT) | instid1(TRANS32_DEP_1)
	v_sqrt_f32_e32 v96, v55
	v_add_nc_u32_e32 v97, -1, v96
	v_add_nc_u32_e32 v98, 1, v96
	s_delay_alu instid0(VALU_DEP_2) | instskip(NEXT) | instid1(VALU_DEP_2)
	v_fma_f32 v99, -v97, v96, v55
	v_fma_f32 v100, -v98, v96, v55
	s_delay_alu instid0(VALU_DEP_2) | instskip(SKIP_1) | instid1(VALU_DEP_1)
	v_cmp_ge_f32_e64 s5, 0, v99
	s_wait_alu 0xf1ff
	v_cndmask_b32_e64 v96, v96, v97, s5
	s_delay_alu instid0(VALU_DEP_3) | instskip(SKIP_1) | instid1(VALU_DEP_1)
	v_cmp_lt_f32_e64 s5, 0, v100
	s_wait_alu 0xf1ff
	v_cndmask_b32_e64 v96, v96, v98, s5
	s_delay_alu instid0(VALU_DEP_1) | instskip(NEXT) | instid1(VALU_DEP_1)
	v_mul_f32_e32 v97, 0x37800000, v96
	v_cndmask_b32_e32 v96, v96, v97, vcc_lo
	v_cmp_class_f32_e64 vcc_lo, v55, 0x260
	s_wait_alu 0xfffd
	s_delay_alu instid0(VALU_DEP_2) | instskip(NEXT) | instid1(VALU_DEP_1)
	v_cndmask_b32_e32 v55, v96, v55, vcc_lo
	v_div_scale_f32 v96, null, v55, v55, 1.0
	s_delay_alu instid0(VALU_DEP_1) | instskip(NEXT) | instid1(TRANS32_DEP_1)
	v_rcp_f32_e32 v97, v96
	v_fma_f32 v98, -v96, v97, 1.0
	s_delay_alu instid0(VALU_DEP_1) | instskip(SKIP_1) | instid1(VALU_DEP_1)
	v_fmac_f32_e32 v97, v98, v97
	v_div_scale_f32 v98, vcc_lo, 1.0, v55, 1.0
	v_mul_f32_e32 v99, v98, v97
	s_delay_alu instid0(VALU_DEP_1) | instskip(NEXT) | instid1(VALU_DEP_1)
	v_fma_f32 v100, -v96, v99, v98
	v_fmac_f32_e32 v99, v100, v97
	s_delay_alu instid0(VALU_DEP_1) | instskip(SKIP_1) | instid1(VALU_DEP_1)
	v_fma_f32 v96, -v96, v99, v98
	s_wait_alu 0xfffd
	v_div_fmas_f32 v96, v96, v97, v99
	s_delay_alu instid0(VALU_DEP_1) | instskip(NEXT) | instid1(VALU_DEP_1)
	v_div_fixup_f32 v96, v96, v55, 1.0
	v_mul_f32_e32 v97, v24, v96
.LBB6_108:                              ;   in Loop: Header=BB6_43 Depth=2
	s_wait_alu 0xfffe
	s_or_b32 exec_lo, exec_lo, s15
	v_cndmask_b32_e64 v24, 1, -1, s4
	v_add_co_u32 v84, s4, v12, v84
	s_wait_alu 0xf1ff
	v_add_co_ci_u32_e64 v85, null, v13, v85, s4
	s_delay_alu instid0(VALU_DEP_3)
	v_cmp_eq_u32_e32 vcc_lo, v71, v24
	v_add_nc_u32_e32 v70, 2, v70
	s_wait_alu 0xfffd
	v_cndmask_b32_e32 v24, v96, v97, vcc_lo
	v_cndmask_b32_e64 v55, v97, -v96, vcc_lo
	v_add_co_u32 v96, vcc_lo, v84, v26
	s_wait_alu 0xfffd
	v_add_co_ci_u32_e64 v97, null, v85, v27, vcc_lo
	s_clause 0x1
	flat_store_b32 v[84:85], v55
	flat_store_b32 v[96:97], v24 offset:-4
	flat_store_b64 v[80:81], v[86:87]
	flat_store_b32 v[82:83], v25
	ds_store_b32 v25, v70
	s_or_b32 exec_lo, exec_lo, s14
                                        ; implicit-def: $vgpr80_vgpr81
                                        ; implicit-def: $vgpr71
                                        ; implicit-def: $vgpr70
.LBB6_109:                              ;   in Loop: Header=BB6_43 Depth=2
	s_wait_alu 0xfffe
	s_and_not1_saveexec_b32 s4, s13
	s_cbranch_execz .LBB6_111
.LBB6_110:                              ;   in Loop: Header=BB6_43 Depth=2
	v_add_nc_u32_e32 v24, 1, v70
	flat_store_b32 v[80:81], v71
	ds_store_b32 v25, v24
.LBB6_111:                              ;   in Loop: Header=BB6_43 Depth=2
	s_wait_alu 0xfffe
	s_or_b32 exec_lo, exec_lo, s4
.LBB6_112:                              ;   in Loop: Header=BB6_43 Depth=2
	s_wait_alu 0xfffe
	s_or_b32 exec_lo, exec_lo, s12
	s_wait_storecnt 0x0
	s_wait_loadcnt_dscnt 0x0
	s_barrier_signal -1
	s_barrier_wait -1
	global_inv scope:SCOPE_SE
	ds_load_b64 v[70:71], v25
	s_wait_dscnt 0x0
	v_cmp_eq_u32_e32 vcc_lo, v71, v70
	s_cbranch_vccnz .LBB6_42
; %bb.113:                              ;   in Loop: Header=BB6_43 Depth=2
	s_and_saveexec_b32 s12, s2
	s_cbranch_execz .LBB6_41
; %bb.114:                              ;   in Loop: Header=BB6_43 Depth=2
	ds_load_b32 v70, v25 offset:16
	s_mov_b32 s13, 0
	s_wait_dscnt 0x0
	v_mul_lo_u32 v80, v70, v9
	v_readfirstlane_b32 s4, v70
	s_wait_alu 0xf1ff
	s_delay_alu instid0(VALU_DEP_1) | instskip(SKIP_1) | instid1(VALU_DEP_4)
	v_subrev_nc_u32_e32 v55, s4, v71
	v_ashrrev_i32_e32 v71, 31, v70
	v_ashrrev_i32_e32 v81, 31, v80
	s_delay_alu instid0(VALU_DEP_3) | instskip(SKIP_1) | instid1(VALU_DEP_3)
	v_add_nc_u32_e32 v24, -1, v55
	v_mad_co_i64_i32 v[82:83], null, v55, v9, 0
	v_lshlrev_b64_e32 v[80:81], 2, v[80:81]
	v_lshlrev_b64_e32 v[70:71], 2, v[70:71]
	s_delay_alu instid0(VALU_DEP_4)
	v_lshlrev_b64_e32 v[84:85], 2, v[24:25]
	v_cmp_lt_i32_e64 s4, 0, v55
	v_lshlrev_b64_e32 v[82:83], 2, v[82:83]
	v_mad_co_u64_u32 v[96:97], null, v30, v24, v[80:81]
	v_add_co_u32 v87, vcc_lo, v7, v80
	s_wait_alu 0xfffd
	v_add_co_ci_u32_e64 v98, null, v8, v81, vcc_lo
	v_add_co_u32 v80, vcc_lo, v70, v84
	s_wait_alu 0xfffd
	v_add_co_ci_u32_e64 v71, null, v71, v85, vcc_lo
	v_mov_b32_e32 v70, v97
	v_add_co_u32 v99, vcc_lo, v87, v82
	s_wait_alu 0xfffd
	v_add_co_ci_u32_e64 v100, null, v98, v83, vcc_lo
	s_delay_alu instid0(VALU_DEP_3)
	v_mad_co_u64_u32 v[81:82], null, v31, v24, v[70:71]
	v_add_co_u32 v70, vcc_lo, v12, v80
	s_wait_alu 0xfffd
	v_add_co_ci_u32_e64 v71, null, v13, v71, vcc_lo
	v_add_co_u32 v80, vcc_lo, v130, v96
	s_wait_alu 0xfffd
	s_delay_alu instid0(VALU_DEP_4)
	v_add_co_ci_u32_e64 v81, null, v131, v81, vcc_lo
	v_mov_b32_e32 v82, v0
	s_branch .LBB6_116
.LBB6_115:                              ;   in Loop: Header=BB6_116 Depth=3
	v_add_nc_u32_e32 v82, v82, v23
	v_add_co_u32 v80, s5, v80, v28
	s_wait_alu 0xf1ff
	v_add_co_ci_u32_e64 v81, null, v81, v29, s5
	s_delay_alu instid0(VALU_DEP_3)
	v_cmp_ge_i32_e32 vcc_lo, v82, v2
	s_wait_loadcnt_dscnt 0x0
	flat_store_b32 v[83:84], v24
	s_or_b32 s13, vcc_lo, s13
	s_wait_alu 0xfffe
	s_and_not1_b32 exec_lo, exec_lo, s13
	s_cbranch_execz .LBB6_41
.LBB6_116:                              ;   Parent Loop BB6_6 Depth=1
                                        ;     Parent Loop BB6_43 Depth=2
                                        ; =>    This Loop Header: Depth=3
                                        ;         Child Loop BB6_117 Depth 4
	s_delay_alu instid0(VALU_DEP_1) | instskip(SKIP_2) | instid1(VALU_DEP_3)
	v_ashrrev_i32_e32 v83, 31, v82
	v_dual_mov_b32 v97, v71 :: v_dual_mov_b32 v96, v70
	v_mov_b32_e32 v101, v55
	v_lshlrev_b64_e32 v[83:84], 2, v[82:83]
	s_delay_alu instid0(VALU_DEP_1) | instskip(SKIP_1) | instid1(VALU_DEP_2)
	v_add_co_u32 v85, vcc_lo, v99, v83
	s_wait_alu 0xfffd
	v_add_co_ci_u32_e64 v86, null, v100, v84, vcc_lo
	v_add_co_u32 v83, vcc_lo, v87, v83
	s_wait_alu 0xfffd
	v_add_co_ci_u32_e64 v84, null, v98, v84, vcc_lo
	flat_load_b32 v24, v[85:86]
	v_dual_mov_b32 v86, v81 :: v_dual_mov_b32 v85, v80
	s_and_not1_b32 vcc_lo, exec_lo, s4
	s_wait_alu 0xfffe
	s_cbranch_vccnz .LBB6_115
.LBB6_117:                              ;   Parent Loop BB6_6 Depth=1
                                        ;     Parent Loop BB6_43 Depth=2
                                        ;       Parent Loop BB6_116 Depth=3
                                        ; =>      This Inner Loop Header: Depth=4
	v_add_co_u32 v144, vcc_lo, v96, v119
	s_wait_alu 0xfffd
	v_add_co_ci_u32_e64 v145, null, v97, v128, vcc_lo
	s_wait_loadcnt_dscnt 0x0
	v_dual_mov_b32 v151, v24 :: v_dual_add_nc_u32 v150, -1, v101
	flat_load_b32 v147, v[85:86]
	s_clause 0x1
	flat_load_b32 v148, v[144:145]
	flat_load_b32 v149, v[96:97]
	v_mad_co_u64_u32 v[144:145], null, v101, v9, 0
	v_add_co_u32 v96, vcc_lo, v96, -4
	s_wait_alu 0xfffd
	v_add_co_ci_u32_e64 v97, null, -1, v97, vcc_lo
	v_add_co_u32 v85, vcc_lo, v85, v132
	s_delay_alu instid0(VALU_DEP_4) | instskip(SKIP_3) | instid1(VALU_DEP_3)
	v_mov_b32_e32 v24, v145
	s_wait_alu 0xfffd
	v_add_co_ci_u32_e64 v86, null, v86, v133, vcc_lo
	v_cmp_eq_u32_e32 vcc_lo, 0, v150
	v_mad_co_u64_u32 v[145:146], null, v101, v10, v[24:25]
	v_mov_b32_e32 v101, v150
	s_and_b32 vcc_lo, exec_lo, vcc_lo
	s_delay_alu instid0(VALU_DEP_2) | instskip(NEXT) | instid1(VALU_DEP_1)
	v_lshlrev_b64_e32 v[144:145], 2, v[144:145]
	v_add_co_u32 v144, s5, v83, v144
	s_wait_alu 0xf1ff
	s_delay_alu instid0(VALU_DEP_2) | instskip(SKIP_4) | instid1(VALU_DEP_2)
	v_add_co_ci_u32_e64 v145, null, v84, v145, s5
	s_wait_loadcnt_dscnt 0x101
	v_mul_f32_e32 v146, v148, v147
	s_wait_loadcnt_dscnt 0x0
	v_mul_f32_e32 v24, v149, v147
	v_fma_f32 v146, v151, v149, -v146
	s_delay_alu instid0(VALU_DEP_2)
	v_fmac_f32_e32 v24, v151, v148
	flat_store_b32 v[144:145], v146
	s_wait_alu 0xfffe
	s_cbranch_vccz .LBB6_117
	s_branch .LBB6_115
.LBB6_118:                              ;   in Loop: Header=BB6_43 Depth=2
	s_wait_alu 0xfffe
	s_or_b32 exec_lo, exec_lo, s14
                                        ; implicit-def: $vgpr80_vgpr81
                                        ; implicit-def: $vgpr71
                                        ; implicit-def: $vgpr70
	s_and_not1_saveexec_b32 s4, s13
	s_cbranch_execnz .LBB6_110
	s_branch .LBB6_111
.LBB6_119:                              ;   in Loop: Header=BB6_6 Depth=1
	v_dual_mov_b32 v32, v54 :: v_dual_mov_b32 v33, v55
	s_mov_b32 s13, 0
                                        ; implicit-def: $sgpr12
                                        ; implicit-def: $sgpr15
                                        ; implicit-def: $sgpr14
	s_delay_alu instid0(VALU_DEP_1) | instskip(SKIP_1) | instid1(VALU_DEP_2)
	v_lshlrev_b64_e32 v[48:49], 2, v[32:33]
	v_dual_mov_b32 v67, v33 :: v_dual_mov_b32 v66, v32
	v_add_co_u32 v64, vcc_lo, v103, v48
	s_wait_alu 0xfffd
	s_delay_alu instid0(VALU_DEP_3)
	v_add_co_ci_u32_e64 v65, null, v112, v49, vcc_lo
	v_add_co_u32 v68, vcc_lo, v5, v48
	s_wait_alu 0xfffd
	v_add_co_ci_u32_e64 v69, null, v6, v49, vcc_lo
	s_branch .LBB6_121
.LBB6_120:                              ;   in Loop: Header=BB6_121 Depth=2
	s_wait_alu 0xfffe
	s_or_b32 exec_lo, exec_lo, s4
	s_xor_b32 s3, s14, -1
	s_and_b32 s4, exec_lo, s15
	s_wait_alu 0xfffe
	s_or_b32 s13, s4, s13
	s_and_not1_b32 s4, s12, exec_lo
	s_and_b32 s3, s3, exec_lo
	s_wait_alu 0xfffe
	s_or_b32 s12, s4, s3
	s_and_not1_b32 exec_lo, exec_lo, s13
	s_cbranch_execz .LBB6_123
.LBB6_121:                              ;   Parent Loop BB6_6 Depth=1
                                        ; =>  This Inner Loop Header: Depth=2
	flat_load_b64 v[50:51], v[64:65] offset:-4
	flat_load_b32 v19, v[68:69]
	v_dual_mov_b32 v48, v68 :: v_dual_mov_b32 v49, v69
	s_or_b32 s14, s14, exec_lo
	s_or_b32 s15, s15, exec_lo
	s_wait_loadcnt_dscnt 0x101
	v_mul_f32_e64 v24, 0x4f800000, |v50|
	v_cmp_gt_f32_e64 vcc_lo, 0xf800000, |v50|
	v_mul_f32_e64 v55, 0x4f800000, |v51|
	v_cmp_gt_f32_e64 s3, 0xf800000, |v51|
	s_wait_alu 0xfffd
	s_delay_alu instid0(VALU_DEP_3) | instskip(SKIP_1) | instid1(VALU_DEP_2)
	v_cndmask_b32_e64 v24, |v50|, v24, vcc_lo
	s_wait_alu 0xf1ff
	v_cndmask_b32_e64 v50, |v51|, v55, s3
	s_delay_alu instid0(VALU_DEP_2) | instskip(NEXT) | instid1(VALU_DEP_1)
	v_sqrt_f32_e32 v51, v24
	v_sqrt_f32_e32 v55, v50
	s_delay_alu instid0(TRANS32_DEP_2) | instskip(SKIP_1) | instid1(TRANS32_DEP_1)
	v_add_nc_u32_e32 v68, -1, v51
	v_add_nc_u32_e32 v70, 1, v51
	v_add_nc_u32_e32 v69, -1, v55
	v_add_nc_u32_e32 v71, 1, v55
	s_delay_alu instid0(VALU_DEP_4) | instskip(NEXT) | instid1(VALU_DEP_4)
	v_fma_f32 v80, -v68, v51, v24
	v_fma_f32 v82, -v70, v51, v24
	s_delay_alu instid0(VALU_DEP_4) | instskip(NEXT) | instid1(VALU_DEP_4)
	v_fma_f32 v81, -v69, v55, v50
	v_fma_f32 v83, -v71, v55, v50
	s_delay_alu instid0(VALU_DEP_4) | instskip(SKIP_1) | instid1(VALU_DEP_1)
	v_cmp_ge_f32_e64 s4, 0, v80
	s_wait_alu 0xf1ff
	v_cndmask_b32_e64 v51, v51, v68, s4
	v_cmp_ge_f32_e64 s4, 0, v81
	s_wait_alu 0xf1ff
	s_delay_alu instid0(VALU_DEP_1) | instskip(SKIP_2) | instid1(VALU_DEP_1)
	v_cndmask_b32_e64 v55, v55, v69, s4
	v_cmp_lt_f32_e64 s4, 0, v82
	s_wait_alu 0xf1ff
	v_cndmask_b32_e64 v51, v51, v70, s4
	v_cmp_lt_f32_e64 s4, 0, v83
	s_delay_alu instid0(VALU_DEP_2) | instskip(SKIP_1) | instid1(VALU_DEP_2)
	v_mul_f32_e32 v68, 0x37800000, v51
	s_wait_alu 0xf1ff
	v_cndmask_b32_e64 v55, v55, v71, s4
	s_mov_b32 s4, exec_lo
	s_delay_alu instid0(VALU_DEP_2) | instskip(SKIP_2) | instid1(VALU_DEP_2)
	v_cndmask_b32_e32 v51, v51, v68, vcc_lo
	v_cmp_class_f32_e64 vcc_lo, v24, 0x260
	s_wait_alu 0xfffd
	v_dual_cndmask_b32 v24, v51, v24 :: v_dual_mul_f32 v69, 0x37800000, v55
	v_cmp_class_f32_e64 vcc_lo, v50, 0x260
	s_delay_alu instid0(VALU_DEP_2) | instskip(SKIP_1) | instid1(VALU_DEP_1)
	v_cndmask_b32_e64 v55, v55, v69, s3
                                        ; implicit-def: $vgpr68_vgpr69
	s_wait_alu 0xfffd
	v_cndmask_b32_e32 v50, v55, v50, vcc_lo
	s_delay_alu instid0(VALU_DEP_1) | instskip(SKIP_1) | instid1(VALU_DEP_2)
	v_mul_f32_e32 v24, v24, v50
	v_dual_mov_b32 v50, v66 :: v_dual_mov_b32 v51, v67
                                        ; implicit-def: $vgpr66_vgpr67
	v_mul_f32_e32 v24, v15, v24
	s_wait_loadcnt_dscnt 0x0
	s_delay_alu instid0(VALU_DEP_1)
	v_cmpx_nle_f32_e64 |v19|, v24
	s_cbranch_execz .LBB6_120
; %bb.122:                              ;   in Loop: Header=BB6_121 Depth=2
	v_add_co_u32 v66, vcc_lo, v50, 1
	s_wait_alu 0xfffd
	v_add_co_ci_u32_e64 v67, null, 0, v51, vcc_lo
	v_add_co_u32 v64, vcc_lo, v64, 4
	s_wait_alu 0xfffd
	v_add_co_ci_u32_e64 v65, null, 0, v65, vcc_lo
	v_cmp_ge_i32_e32 vcc_lo, v66, v18
	v_add_co_u32 v68, s3, v48, 4
	s_wait_alu 0xf1ff
	v_add_co_ci_u32_e64 v69, null, 0, v49, s3
	s_wait_alu 0xfffe
	s_and_not1_b32 s3, s15, exec_lo
	s_and_b32 s15, vcc_lo, exec_lo
	s_and_not1_b32 s14, s14, exec_lo
	s_wait_alu 0xfffe
	s_or_b32 s15, s3, s15
	s_branch .LBB6_120
.LBB6_123:                              ;   in Loop: Header=BB6_6 Depth=1
	s_or_b32 exec_lo, exec_lo, s13
	s_mov_b32 s3, -1
	s_mov_b32 s4, s10
                                        ; implicit-def: $vgpr66_vgpr67
	s_wait_alu 0xfffe
	s_and_saveexec_b32 s13, s12
	s_wait_alu 0xfffe
	s_xor_b32 s12, exec_lo, s13
; %bb.124:                              ;   in Loop: Header=BB6_6 Depth=1
	v_ashrrev_i32_e32 v19, 31, v18
	s_xor_b32 s3, exec_lo, -1
	s_or_b32 s4, s10, exec_lo
	s_delay_alu instid0(VALU_DEP_1)
	v_dual_mov_b32 v67, v19 :: v_dual_mov_b32 v66, v18
; %bb.125:                              ;   in Loop: Header=BB6_6 Depth=1
	s_wait_alu 0xfffe
	s_or_b32 exec_lo, exec_lo, s12
	v_mov_b32_e32 v65, v33
	v_dual_mov_b32 v19, v18 :: v_dual_mov_b32 v64, v32
	s_and_not1_b32 s10, s10, exec_lo
	s_and_b32 s4, s4, exec_lo
	s_and_b32 s3, s3, exec_lo
	s_wait_alu 0xfffe
	s_or_b32 s10, s10, s4
	s_or_b32 exec_lo, exec_lo, s11
	s_wait_alu 0xfffe
	s_and_saveexec_b32 s4, s10
	s_cbranch_execz .LBB6_13
.LBB6_126:                              ;   in Loop: Header=BB6_6 Depth=1
	ds_store_b32 v25, v19 offset:4
	s_wait_alu 0xfffe
	s_or_b32 exec_lo, exec_lo, s4
	s_and_saveexec_b32 s4, s3
	s_cbranch_execnz .LBB6_14
	s_branch .LBB6_15
.LBB6_127:                              ;   in Loop: Header=BB6_6 Depth=1
	s_or_b32 exec_lo, exec_lo, s11
.LBB6_128:                              ;   in Loop: Header=BB6_6 Depth=1
	s_wait_alu 0xfffe
	s_or_b32 exec_lo, exec_lo, s10
	s_mov_b32 s4, 0
.LBB6_129:                              ;   in Loop: Header=BB6_6 Depth=1
	s_wait_alu 0xfffe
	s_and_not1_b32 vcc_lo, exec_lo, s4
	s_wait_alu 0xfffe
	s_cbranch_vccnz .LBB6_210
; %bb.130:                              ;   in Loop: Header=BB6_6 Depth=1
	s_and_saveexec_b32 s5, s3
	s_cbranch_execz .LBB6_212
; %bb.131:                              ;   in Loop: Header=BB6_6 Depth=1
	s_mov_b32 s10, 0
	s_branch .LBB6_134
.LBB6_132:                              ;   in Loop: Header=BB6_134 Depth=2
	s_wait_alu 0xfffe
	s_or_b32 exec_lo, exec_lo, s11
	s_wait_storecnt 0x0
	s_wait_loadcnt_dscnt 0x0
	s_barrier_signal -1
	s_barrier_wait -1
	global_inv scope:SCOPE_SE
	ds_load_b32 v54, v25
.LBB6_133:                              ;   in Loop: Header=BB6_134 Depth=2
	ds_load_2addr_b32 v[64:65], v25 offset0:5 offset1:7
	s_wait_dscnt 0x0
	v_cmp_lt_i32_e32 vcc_lo, v54, v64
	v_cmp_ge_i32_e64 s3, v65, v14
	s_or_b32 s3, vcc_lo, s3
	s_wait_alu 0xfffe
	s_and_b32 s3, exec_lo, s3
	s_wait_alu 0xfffe
	s_or_b32 s10, s3, s10
	s_wait_alu 0xfffe
	s_and_not1_b32 exec_lo, exec_lo, s10
	s_cbranch_execz .LBB6_211
.LBB6_134:                              ;   Parent Loop BB6_6 Depth=1
                                        ; =>  This Loop Header: Depth=2
                                        ;       Child Loop BB6_140 Depth 3
                                        ;       Child Loop BB6_160 Depth 3
	;; [unrolled: 1-line block ×3, first 2 shown]
                                        ;         Child Loop BB6_208 Depth 4
	s_and_saveexec_b32 s11, s0
	s_cbranch_execz .LBB6_203
; %bb.135:                              ;   in Loop: Header=BB6_134 Depth=2
	v_cmp_gt_i32_e32 vcc_lo, v54, v64
	s_mov_b32 s3, 0
	s_cbranch_vccnz .LBB6_137
; %bb.136:                              ;   in Loop: Header=BB6_134 Depth=2
	v_ashrrev_i32_e32 v55, 31, v54
	s_mov_b32 s4, -1
	s_delay_alu instid0(VALU_DEP_1)
	v_dual_mov_b32 v67, v55 :: v_dual_mov_b32 v66, v54
	v_mov_b32_e32 v68, v54
	s_cbranch_execz .LBB6_138
	s_branch .LBB6_143
.LBB6_137:                              ;   in Loop: Header=BB6_134 Depth=2
	s_mov_b32 s4, 0
                                        ; implicit-def: $vgpr66_vgpr67
	v_mov_b32_e32 v68, v54
.LBB6_138:                              ;   in Loop: Header=BB6_134 Depth=2
	v_ashrrev_i32_e32 v55, 31, v54
	v_mov_b32_e32 v19, v54
	s_mov_b32 s12, 0
                                        ; implicit-def: $sgpr4
                                        ; implicit-def: $sgpr14
                                        ; implicit-def: $sgpr13
	s_delay_alu instid0(VALU_DEP_2) | instskip(NEXT) | instid1(VALU_DEP_1)
	v_lshlrev_b64_e32 v[36:37], 2, v[54:55]
	v_add_co_u32 v52, vcc_lo, v115, v36
	s_wait_alu 0xfffd
	s_delay_alu instid0(VALU_DEP_2)
	v_add_co_ci_u32_e64 v53, null, v116, v37, vcc_lo
	v_add_co_u32 v36, vcc_lo, v5, v36
	s_wait_alu 0xfffd
	v_add_co_ci_u32_e64 v37, null, v6, v37, vcc_lo
	s_branch .LBB6_140
.LBB6_139:                              ;   in Loop: Header=BB6_140 Depth=3
	s_wait_alu 0xfffe
	s_or_b32 exec_lo, exec_lo, s15
	s_xor_b32 s3, s13, -1
	s_and_b32 s15, exec_lo, s14
	v_add_co_u32 v36, vcc_lo, v36, -4
	s_wait_alu 0xfffd
	v_add_co_ci_u32_e64 v37, null, -1, v37, vcc_lo
	s_wait_alu 0xfffe
	s_or_b32 s12, s15, s12
	s_and_not1_b32 s4, s4, exec_lo
	s_and_b32 s3, s3, exec_lo
	s_wait_alu 0xfffe
	s_or_b32 s4, s4, s3
	s_and_not1_b32 exec_lo, exec_lo, s12
	s_cbranch_execz .LBB6_142
.LBB6_140:                              ;   Parent Loop BB6_6 Depth=1
                                        ;     Parent Loop BB6_134 Depth=2
                                        ; =>    This Inner Loop Header: Depth=3
	flat_load_b64 v[66:67], v[52:53]
	flat_load_b32 v24, v[36:37] offset:-4
	s_or_b32 s13, s13, exec_lo
	s_or_b32 s14, s14, exec_lo
	s_mov_b32 s15, exec_lo
	v_mov_b32_e32 v135, v19
                                        ; implicit-def: $vgpr19
	s_wait_loadcnt_dscnt 0x101
	v_mul_f32_e32 v66, v67, v66
	s_wait_loadcnt_dscnt 0x0
	v_mul_f32_e32 v24, v24, v24
	s_delay_alu instid0(VALU_DEP_2) | instskip(NEXT) | instid1(VALU_DEP_1)
	v_mul_f32_e64 v66, v3, |v66|
	v_cmpx_nle_f32_e64 |v24|, v66
	s_cbranch_execz .LBB6_139
; %bb.141:                              ;   in Loop: Header=BB6_140 Depth=3
	v_add_nc_u32_e32 v19, -1, v135
	v_add_co_u32 v52, s3, v52, -4
	s_wait_alu 0xf1fe
	v_add_co_ci_u32_e64 v53, null, -1, v53, s3
	s_delay_alu instid0(VALU_DEP_3)
	v_cmp_le_i32_e32 vcc_lo, v19, v64
	s_and_not1_b32 s3, s14, exec_lo
	s_and_not1_b32 s13, s13, exec_lo
	s_and_b32 s14, vcc_lo, exec_lo
	s_wait_alu 0xfffe
	s_or_b32 s14, s3, s14
	s_branch .LBB6_139
.LBB6_142:                              ;   in Loop: Header=BB6_134 Depth=2
	s_or_b32 exec_lo, exec_lo, s12
	v_dual_mov_b32 v68, v64 :: v_dual_mov_b32 v67, v55
	v_dual_mov_b32 v52, v54 :: v_dual_mov_b32 v53, v55
	v_mov_b32_e32 v66, v54
	s_mov_b32 s3, -1
.LBB6_143:                              ;   in Loop: Header=BB6_134 Depth=2
	s_wait_alu 0xfffe
	s_and_saveexec_b32 s12, s4
	s_cbranch_execnz .LBB6_172
; %bb.144:                              ;   in Loop: Header=BB6_134 Depth=2
	s_wait_alu 0xfffe
	s_or_b32 exec_lo, exec_lo, s12
	s_and_saveexec_b32 s4, s3
	s_cbranch_execz .LBB6_146
.LBB6_145:                              ;   in Loop: Header=BB6_134 Depth=2
	v_dual_mov_b32 v67, v53 :: v_dual_mov_b32 v66, v52
	v_mov_b32_e32 v68, v135
	ds_store_2addr_b32 v25, v135, v54 offset0:1 offset1:4
	flat_store_b32 v[36:37], v25
.LBB6_146:                              ;   in Loop: Header=BB6_134 Depth=2
	s_wait_alu 0xfffe
	s_or_b32 exec_lo, exec_lo, s4
	v_lshlrev_b64_e32 v[70:71], 2, v[66:67]
	s_mov_b32 s3, exec_lo
	s_delay_alu instid0(VALU_DEP_1) | instskip(SKIP_1) | instid1(VALU_DEP_2)
	v_add_co_u32 v66, vcc_lo, v20, v70
	s_wait_alu 0xfffd
	v_add_co_ci_u32_e64 v67, null, v4, v71, vcc_lo
	flat_load_b32 v55, v[66:67]
	s_wait_loadcnt_dscnt 0x0
	ds_store_b32 v25, v55 offset:8
	v_cmpx_ne_u32_e64 v68, v54
	s_wait_alu 0xfffe
	s_xor_b32 s12, exec_lo, s3
	s_cbranch_execz .LBB6_200
; %bb.147:                              ;   in Loop: Header=BB6_134 Depth=2
	v_add_nc_u32_e32 v19, -1, v54
	s_mov_b32 s3, exec_lo
	s_delay_alu instid0(VALU_DEP_1)
	v_cmpx_ne_u32_e64 v68, v19
	s_wait_alu 0xfffe
	s_xor_b32 s4, exec_lo, s3
	s_cbranch_execz .LBB6_176
; %bb.148:                              ;   in Loop: Header=BB6_134 Depth=2
	v_add_co_u32 v70, vcc_lo, v5, v70
	s_wait_alu 0xfffd
	v_add_co_ci_u32_e64 v71, null, v6, v71, vcc_lo
	v_ashrrev_i32_e32 v69, 31, v68
	s_mov_b32 s13, exec_lo
	flat_load_b32 v19, v[66:67] offset:-4
	flat_load_b32 v24, v[70:71] offset:-4
	v_lshlrev_b64_e32 v[82:83], 2, v[68:69]
	s_delay_alu instid0(VALU_DEP_1) | instskip(SKIP_1) | instid1(VALU_DEP_2)
	v_add_co_u32 v80, vcc_lo, v20, v82
	s_wait_alu 0xfffd
	v_add_co_ci_u32_e64 v81, null, v4, v83, vcc_lo
	flat_load_b32 v64, v[80:81]
	s_wait_loadcnt_dscnt 0x202
	v_sub_f32_e32 v19, v19, v55
	s_wait_loadcnt_dscnt 0x101
	v_add_f32_e32 v69, v24, v24
	s_delay_alu instid0(VALU_DEP_1) | instskip(SKIP_1) | instid1(VALU_DEP_2)
	v_div_scale_f32 v84, null, v69, v69, v19
	v_div_scale_f32 v87, vcc_lo, v19, v69, v19
	v_rcp_f32_e32 v85, v84
	s_wait_loadcnt_dscnt 0x0
	v_dual_sub_f32 v55, v64, v55 :: v_dual_add_nc_u32 v64, 1, v65
	s_delay_alu instid0(TRANS32_DEP_1) | instskip(SKIP_2) | instid1(VALU_DEP_1)
	v_fma_f32 v86, -v84, v85, 1.0
	ds_store_2addr_b32 v25, v25, v64 offset0:2 offset1:7
	v_fmac_f32_e32 v85, v86, v85
	v_mul_f32_e32 v86, v87, v85
	s_delay_alu instid0(VALU_DEP_1) | instskip(NEXT) | instid1(VALU_DEP_1)
	v_fma_f32 v96, -v84, v86, v87
	v_fmac_f32_e32 v86, v96, v85
	s_delay_alu instid0(VALU_DEP_1) | instskip(SKIP_1) | instid1(VALU_DEP_1)
	v_fma_f32 v84, -v84, v86, v87
	s_wait_alu 0xfffd
	v_div_fmas_f32 v84, v84, v85, v86
	s_delay_alu instid0(VALU_DEP_1) | instskip(NEXT) | instid1(VALU_DEP_1)
	v_div_fixup_f32 v19, v84, v69, v19
	v_fma_f32 v69, v19, v19, 1.0
	s_delay_alu instid0(VALU_DEP_1) | instskip(SKIP_2) | instid1(VALU_DEP_2)
	v_mul_f32_e32 v84, 0x4f800000, v69
	v_cmp_gt_f32_e32 vcc_lo, 0xf800000, v69
	s_wait_alu 0xfffd
	v_cndmask_b32_e32 v69, v69, v84, vcc_lo
	s_delay_alu instid0(VALU_DEP_1) | instskip(NEXT) | instid1(TRANS32_DEP_1)
	v_sqrt_f32_e32 v84, v69
	v_add_nc_u32_e32 v85, -1, v84
	v_add_nc_u32_e32 v86, 1, v84
	s_delay_alu instid0(VALU_DEP_2) | instskip(NEXT) | instid1(VALU_DEP_2)
	v_fma_f32 v87, -v85, v84, v69
	v_fma_f32 v96, -v86, v84, v69
	s_delay_alu instid0(VALU_DEP_2) | instskip(SKIP_1) | instid1(VALU_DEP_1)
	v_cmp_ge_f32_e64 s3, 0, v87
	s_wait_alu 0xf1ff
	v_cndmask_b32_e64 v84, v84, v85, s3
	s_delay_alu instid0(VALU_DEP_3) | instskip(SKIP_1) | instid1(VALU_DEP_1)
	v_cmp_lt_f32_e64 s3, 0, v96
	s_wait_alu 0xf1ff
	v_cndmask_b32_e64 v84, v84, v86, s3
	s_delay_alu instid0(VALU_DEP_1) | instskip(NEXT) | instid1(VALU_DEP_1)
	v_mul_f32_e32 v85, 0x37800000, v84
	v_cndmask_b32_e32 v84, v84, v85, vcc_lo
	v_cmp_class_f32_e64 vcc_lo, v69, 0x260
	s_wait_alu 0xfffd
	s_delay_alu instid0(VALU_DEP_2) | instskip(SKIP_2) | instid1(VALU_DEP_2)
	v_cndmask_b32_e32 v69, v84, v69, vcc_lo
	v_cmp_nle_f32_e32 vcc_lo, 0, v19
	s_wait_alu 0xfffd
	v_cndmask_b32_e64 v69, |v69|, -|v69|, vcc_lo
	s_delay_alu instid0(VALU_DEP_1) | instskip(NEXT) | instid1(VALU_DEP_1)
	v_add_f32_e32 v19, v19, v69
	v_div_scale_f32 v69, null, v19, v19, v24
	v_div_scale_f32 v86, vcc_lo, v24, v19, v24
	s_delay_alu instid0(VALU_DEP_2) | instskip(NEXT) | instid1(TRANS32_DEP_1)
	v_rcp_f32_e32 v84, v69
	v_fma_f32 v85, -v69, v84, 1.0
	s_delay_alu instid0(VALU_DEP_1) | instskip(NEXT) | instid1(VALU_DEP_1)
	v_fmac_f32_e32 v84, v85, v84
	v_mul_f32_e32 v85, v86, v84
	s_delay_alu instid0(VALU_DEP_1) | instskip(NEXT) | instid1(VALU_DEP_1)
	v_fma_f32 v87, -v69, v85, v86
	v_fmac_f32_e32 v85, v87, v84
	s_delay_alu instid0(VALU_DEP_1) | instskip(SKIP_1) | instid1(VALU_DEP_1)
	v_fma_f32 v69, -v69, v85, v86
	s_wait_alu 0xfffd
	v_div_fmas_f32 v69, v69, v84, v85
	s_delay_alu instid0(VALU_DEP_1) | instskip(NEXT) | instid1(VALU_DEP_1)
	v_div_fixup_f32 v24, v69, v19, v24
	v_dual_mov_b32 v19, 0 :: v_dual_add_f32 v24, v55, v24
	v_cmpx_lt_i32_e64 v68, v54
	s_cbranch_execz .LBB6_175
; %bb.149:                              ;   in Loop: Header=BB6_134 Depth=2
	v_add_co_u32 v64, vcc_lo, v5, v82
	s_wait_alu 0xfffd
	v_add_co_ci_u32_e64 v65, null, v6, v83, vcc_lo
	v_mov_b32_e32 v19, 1.0
	s_mov_b32 s14, exec_lo
	flat_load_b32 v55, v[64:65]
	v_mov_b32_e32 v65, 0
	s_wait_loadcnt_dscnt 0x0
	v_cmpx_neq_f32_e32 0, v55
	s_cbranch_execz .LBB6_157
; %bb.150:                              ;   in Loop: Header=BB6_134 Depth=2
	v_mov_b32_e32 v19, 0
	v_mov_b32_e32 v65, 1.0
	s_mov_b32 s15, exec_lo
	v_cmpx_neq_f32_e32 0, v24
	s_cbranch_execz .LBB6_156
; %bb.151:                              ;   in Loop: Header=BB6_134 Depth=2
	s_mov_b32 s16, exec_lo
                                        ; implicit-def: $vgpr65
                                        ; implicit-def: $vgpr19
	v_cmpx_ngt_f32_e64 |v55|, |v24|
	s_wait_alu 0xfffe
	s_xor_b32 s16, exec_lo, s16
	s_cbranch_execz .LBB6_153
; %bb.152:                              ;   in Loop: Header=BB6_134 Depth=2
	v_div_scale_f32 v19, null, v24, v24, -v55
	v_div_scale_f32 v69, vcc_lo, -v55, v24, -v55
	s_delay_alu instid0(VALU_DEP_2) | instskip(NEXT) | instid1(TRANS32_DEP_1)
	v_rcp_f32_e32 v64, v19
	v_fma_f32 v65, -v19, v64, 1.0
	s_delay_alu instid0(VALU_DEP_1) | instskip(NEXT) | instid1(VALU_DEP_1)
	v_fmac_f32_e32 v64, v65, v64
	v_mul_f32_e32 v65, v69, v64
	s_delay_alu instid0(VALU_DEP_1) | instskip(NEXT) | instid1(VALU_DEP_1)
	v_fma_f32 v84, -v19, v65, v69
	v_fmac_f32_e32 v65, v84, v64
	s_delay_alu instid0(VALU_DEP_1) | instskip(SKIP_1) | instid1(VALU_DEP_1)
	v_fma_f32 v19, -v19, v65, v69
	s_wait_alu 0xfffd
	v_div_fmas_f32 v19, v19, v64, v65
	s_delay_alu instid0(VALU_DEP_1) | instskip(NEXT) | instid1(VALU_DEP_1)
	v_div_fixup_f32 v24, v19, v24, -v55
	v_fma_f32 v19, v24, v24, 1.0
	s_delay_alu instid0(VALU_DEP_1) | instskip(SKIP_2) | instid1(VALU_DEP_2)
	v_mul_f32_e32 v64, 0x4f800000, v19
	v_cmp_gt_f32_e32 vcc_lo, 0xf800000, v19
	s_wait_alu 0xfffd
	v_cndmask_b32_e32 v19, v19, v64, vcc_lo
	s_delay_alu instid0(VALU_DEP_1) | instskip(NEXT) | instid1(TRANS32_DEP_1)
	v_sqrt_f32_e32 v64, v19
	v_add_nc_u32_e32 v65, -1, v64
	v_add_nc_u32_e32 v69, 1, v64
	s_delay_alu instid0(VALU_DEP_2) | instskip(NEXT) | instid1(VALU_DEP_2)
	v_fma_f32 v84, -v65, v64, v19
	v_fma_f32 v85, -v69, v64, v19
	s_delay_alu instid0(VALU_DEP_2) | instskip(SKIP_1) | instid1(VALU_DEP_1)
	v_cmp_ge_f32_e64 s3, 0, v84
	s_wait_alu 0xf1ff
	v_cndmask_b32_e64 v64, v64, v65, s3
	s_delay_alu instid0(VALU_DEP_3) | instskip(SKIP_1) | instid1(VALU_DEP_1)
	v_cmp_lt_f32_e64 s3, 0, v85
	s_wait_alu 0xf1ff
	v_cndmask_b32_e64 v64, v64, v69, s3
	s_delay_alu instid0(VALU_DEP_1) | instskip(NEXT) | instid1(VALU_DEP_1)
	v_mul_f32_e32 v65, 0x37800000, v64
	v_cndmask_b32_e32 v64, v64, v65, vcc_lo
	v_cmp_class_f32_e64 vcc_lo, v19, 0x260
	s_wait_alu 0xfffd
	s_delay_alu instid0(VALU_DEP_2) | instskip(NEXT) | instid1(VALU_DEP_1)
	v_cndmask_b32_e32 v19, v64, v19, vcc_lo
	v_div_scale_f32 v64, null, v19, v19, 1.0
	s_delay_alu instid0(VALU_DEP_1) | instskip(NEXT) | instid1(TRANS32_DEP_1)
	v_rcp_f32_e32 v65, v64
	v_fma_f32 v69, -v64, v65, 1.0
	s_delay_alu instid0(VALU_DEP_1) | instskip(SKIP_1) | instid1(VALU_DEP_1)
	v_fmac_f32_e32 v65, v69, v65
	v_div_scale_f32 v69, vcc_lo, 1.0, v19, 1.0
	v_mul_f32_e32 v84, v69, v65
	s_delay_alu instid0(VALU_DEP_1) | instskip(NEXT) | instid1(VALU_DEP_1)
	v_fma_f32 v85, -v64, v84, v69
	v_fmac_f32_e32 v84, v85, v65
	s_delay_alu instid0(VALU_DEP_1) | instskip(SKIP_1) | instid1(VALU_DEP_1)
	v_fma_f32 v64, -v64, v84, v69
	s_wait_alu 0xfffd
	v_div_fmas_f32 v64, v64, v65, v84
	s_delay_alu instid0(VALU_DEP_1) | instskip(NEXT) | instid1(VALU_DEP_1)
	v_div_fixup_f32 v19, v64, v19, 1.0
	v_mul_f32_e32 v65, v24, v19
                                        ; implicit-def: $vgpr24
.LBB6_153:                              ;   in Loop: Header=BB6_134 Depth=2
	s_wait_alu 0xfffe
	s_and_not1_saveexec_b32 s16, s16
	s_cbranch_execz .LBB6_155
; %bb.154:                              ;   in Loop: Header=BB6_134 Depth=2
	v_div_scale_f32 v19, null, v55, v55, -v24
	v_div_scale_f32 v69, vcc_lo, -v24, v55, -v24
	s_delay_alu instid0(VALU_DEP_2) | instskip(NEXT) | instid1(TRANS32_DEP_1)
	v_rcp_f32_e32 v64, v19
	v_fma_f32 v65, -v19, v64, 1.0
	s_delay_alu instid0(VALU_DEP_1) | instskip(NEXT) | instid1(VALU_DEP_1)
	v_fmac_f32_e32 v64, v65, v64
	v_mul_f32_e32 v65, v69, v64
	s_delay_alu instid0(VALU_DEP_1) | instskip(NEXT) | instid1(VALU_DEP_1)
	v_fma_f32 v84, -v19, v65, v69
	v_fmac_f32_e32 v65, v84, v64
	s_delay_alu instid0(VALU_DEP_1) | instskip(SKIP_1) | instid1(VALU_DEP_1)
	v_fma_f32 v19, -v19, v65, v69
	s_wait_alu 0xfffd
	v_div_fmas_f32 v19, v19, v64, v65
	s_delay_alu instid0(VALU_DEP_1) | instskip(NEXT) | instid1(VALU_DEP_1)
	v_div_fixup_f32 v19, v19, v55, -v24
	v_fma_f32 v24, v19, v19, 1.0
	s_delay_alu instid0(VALU_DEP_1) | instskip(SKIP_2) | instid1(VALU_DEP_2)
	v_mul_f32_e32 v64, 0x4f800000, v24
	v_cmp_gt_f32_e32 vcc_lo, 0xf800000, v24
	s_wait_alu 0xfffd
	v_cndmask_b32_e32 v24, v24, v64, vcc_lo
	s_delay_alu instid0(VALU_DEP_1) | instskip(NEXT) | instid1(TRANS32_DEP_1)
	v_sqrt_f32_e32 v64, v24
	v_add_nc_u32_e32 v65, -1, v64
	v_add_nc_u32_e32 v69, 1, v64
	s_delay_alu instid0(VALU_DEP_2) | instskip(NEXT) | instid1(VALU_DEP_2)
	v_fma_f32 v84, -v65, v64, v24
	v_fma_f32 v85, -v69, v64, v24
	s_delay_alu instid0(VALU_DEP_2) | instskip(SKIP_1) | instid1(VALU_DEP_1)
	v_cmp_ge_f32_e64 s3, 0, v84
	s_wait_alu 0xf1ff
	v_cndmask_b32_e64 v64, v64, v65, s3
	s_delay_alu instid0(VALU_DEP_3) | instskip(SKIP_1) | instid1(VALU_DEP_1)
	v_cmp_lt_f32_e64 s3, 0, v85
	s_wait_alu 0xf1ff
	v_cndmask_b32_e64 v64, v64, v69, s3
	s_delay_alu instid0(VALU_DEP_1) | instskip(NEXT) | instid1(VALU_DEP_1)
	v_mul_f32_e32 v65, 0x37800000, v64
	v_cndmask_b32_e32 v64, v64, v65, vcc_lo
	v_cmp_class_f32_e64 vcc_lo, v24, 0x260
	s_wait_alu 0xfffd
	s_delay_alu instid0(VALU_DEP_2) | instskip(NEXT) | instid1(VALU_DEP_1)
	v_cndmask_b32_e32 v24, v64, v24, vcc_lo
	v_div_scale_f32 v64, null, v24, v24, 1.0
	s_delay_alu instid0(VALU_DEP_1) | instskip(NEXT) | instid1(TRANS32_DEP_1)
	v_rcp_f32_e32 v65, v64
	v_fma_f32 v69, -v64, v65, 1.0
	s_delay_alu instid0(VALU_DEP_1) | instskip(SKIP_1) | instid1(VALU_DEP_1)
	v_fmac_f32_e32 v65, v69, v65
	v_div_scale_f32 v69, vcc_lo, 1.0, v24, 1.0
	v_mul_f32_e32 v84, v69, v65
	s_delay_alu instid0(VALU_DEP_1) | instskip(NEXT) | instid1(VALU_DEP_1)
	v_fma_f32 v85, -v64, v84, v69
	v_fmac_f32_e32 v84, v85, v65
	s_delay_alu instid0(VALU_DEP_1) | instskip(SKIP_1) | instid1(VALU_DEP_1)
	v_fma_f32 v64, -v64, v84, v69
	s_wait_alu 0xfffd
	v_div_fmas_f32 v64, v64, v65, v84
	s_delay_alu instid0(VALU_DEP_1) | instskip(NEXT) | instid1(VALU_DEP_1)
	v_div_fixup_f32 v65, v64, v24, 1.0
	v_mul_f32_e32 v19, v19, v65
.LBB6_155:                              ;   in Loop: Header=BB6_134 Depth=2
	s_wait_alu 0xfffe
	s_or_b32 exec_lo, exec_lo, s16
.LBB6_156:                              ;   in Loop: Header=BB6_134 Depth=2
	s_wait_alu 0xfffe
	s_or_b32 exec_lo, exec_lo, s15
.LBB6_157:                              ;   in Loop: Header=BB6_134 Depth=2
	s_wait_alu 0xfffe
	s_or_b32 exec_lo, exec_lo, s14
	flat_load_b64 v[84:85], v[80:81]
	v_add_co_u32 v82, vcc_lo, v12, v82
	s_wait_alu 0xfffd
	v_add_co_ci_u32_e64 v83, null, v13, v83, vcc_lo
	v_xor_b32_e32 v69, 0x80000000, v65
	v_add_nc_u32_e32 v64, 1, v68
	s_mov_b32 s14, exec_lo
	s_wait_loadcnt_dscnt 0x0
	v_dual_sub_f32 v24, v85, v84 :: v_dual_add_f32 v85, v19, v19
	s_delay_alu instid0(VALU_DEP_1) | instskip(NEXT) | instid1(VALU_DEP_1)
	v_mul_f32_e32 v24, v65, v24
	v_fma_f32 v24, v55, v85, -v24
	s_delay_alu instid0(VALU_DEP_1)
	v_mul_f32_e64 v86, v24, -v65
	v_fma_f32 v65, v24, -v65, v84
	v_add_co_u32 v84, vcc_lo, v82, v26
	v_fma_f32 v24, v19, v24, -v55
	s_wait_alu 0xfffd
	v_add_co_ci_u32_e64 v85, null, v83, v27, vcc_lo
	ds_store_b32 v25, v86 offset:8
	flat_store_b32 v[80:81], v65
	s_clause 0x1
	flat_store_b32 v[82:83], v19
	flat_store_b32 v[84:85], v69 offset:-4
	v_cmpx_lt_i32_e64 v64, v54
	s_cbranch_execz .LBB6_174
; %bb.158:                              ;   in Loop: Header=BB6_134 Depth=2
	v_ashrrev_i32_e32 v65, 31, v64
	s_mov_b32 s16, 1
	s_mov_b32 s15, 0
	s_delay_alu instid0(VALU_DEP_1) | instskip(NEXT) | instid1(VALU_DEP_1)
	v_lshlrev_b64_e32 v[82:83], 2, v[64:65]
	v_add_co_u32 v64, vcc_lo, v12, v82
	s_wait_alu 0xfffd
	s_delay_alu instid0(VALU_DEP_2)
	v_add_co_ci_u32_e64 v65, null, v13, v83, vcc_lo
	v_add_co_u32 v80, vcc_lo, v103, v82
	s_wait_alu 0xfffd
	v_add_co_ci_u32_e64 v81, null, v112, v83, vcc_lo
	v_add_co_u32 v82, vcc_lo, v117, v82
	s_wait_alu 0xfffd
	v_add_co_ci_u32_e64 v83, null, v118, v83, vcc_lo
	s_branch .LBB6_160
.LBB6_159:                              ;   in Loop: Header=BB6_160 Depth=3
	flat_load_b64 v[86:87], v[80:81] offset:-4
	ds_load_b32 v24, v25 offset:8
	s_add_co_i32 s16, s16, 1
	v_add_co_u32 v82, vcc_lo, v82, 4
	s_wait_alu 0xfffd
	v_add_co_ci_u32_e64 v83, null, 0, v83, vcc_lo
	v_mul_f32_e32 v19, v19, v55
	v_add_f32_e32 v55, v84, v84
	s_wait_loadcnt_dscnt 0x0
	v_sub_f32_e32 v24, v86, v24
	s_delay_alu instid0(VALU_DEP_1) | instskip(SKIP_2) | instid1(VALU_DEP_2)
	v_sub_f32_e32 v69, v87, v24
	s_wait_alu 0xfffe
	v_add_nc_u32_e32 v87, s16, v68
	v_mul_f32_e32 v69, v85, v69
	s_delay_alu instid0(VALU_DEP_1) | instskip(SKIP_1) | instid1(VALU_DEP_2)
	v_fma_f32 v55, v19, v55, -v69
	v_xor_b32_e32 v69, 0x80000000, v85
	v_mul_f32_e64 v96, v55, -v85
	v_fma_f32 v97, v55, -v85, v24
	v_add_co_u32 v85, vcc_lo, v64, v119
	s_wait_alu 0xfffd
	v_add_co_ci_u32_e64 v86, null, v65, v128, vcc_lo
	ds_store_b32 v25, v96 offset:8
	flat_store_b32 v[80:81], v97 offset:-4
	flat_store_b32 v[64:65], v84
	v_add_co_u32 v64, s3, v64, 4
	v_cmp_ge_i32_e32 vcc_lo, v87, v54
	s_wait_alu 0xf1ff
	v_add_co_ci_u32_e64 v65, null, 0, v65, s3
	v_add_co_u32 v80, s3, v80, 4
	v_fma_f32 v24, v84, v55, -v19
	s_wait_alu 0xf1ff
	v_add_co_ci_u32_e64 v81, null, 0, v81, s3
	v_mov_b32_e32 v19, v84
	s_or_b32 s15, vcc_lo, s15
	flat_store_b32 v[85:86], v69
	s_wait_alu 0xfffe
	s_and_not1_b32 exec_lo, exec_lo, s15
	s_cbranch_execz .LBB6_173
.LBB6_160:                              ;   Parent Loop BB6_6 Depth=1
                                        ;     Parent Loop BB6_134 Depth=2
                                        ; =>    This Inner Loop Header: Depth=3
	flat_load_b32 v55, v[82:83] offset:4
	v_mov_b32_e32 v85, 0
	s_mov_b32 s17, exec_lo
	s_wait_loadcnt_dscnt 0x0
	v_dual_mov_b32 v84, 1.0 :: v_dual_mul_f32 v69, v69, v55
	s_delay_alu instid0(VALU_DEP_1)
	v_cmpx_neq_f32_e32 0, v69
	s_cbranch_execz .LBB6_170
; %bb.161:                              ;   in Loop: Header=BB6_160 Depth=3
	v_xor_b32_e32 v86, 0x80000000, v69
                                        ; implicit-def: $vgpr85
                                        ; implicit-def: $vgpr84
	s_mov_b32 s3, exec_lo
	v_cmpx_neq_f32_e32 0, v24
	s_wait_alu 0xfffe
	s_xor_b32 s18, exec_lo, s3
	s_cbranch_execz .LBB6_167
; %bb.162:                              ;   in Loop: Header=BB6_160 Depth=3
	s_mov_b32 s19, exec_lo
                                        ; implicit-def: $vgpr85
                                        ; implicit-def: $vgpr84
	v_cmpx_ngt_f32_e64 |v69|, |v24|
	s_wait_alu 0xfffe
	s_xor_b32 s19, exec_lo, s19
	s_cbranch_execz .LBB6_164
; %bb.163:                              ;   in Loop: Header=BB6_160 Depth=3
	v_div_scale_f32 v84, null, v24, v24, -v69
	v_div_scale_f32 v87, vcc_lo, -v69, v24, -v69
	s_delay_alu instid0(VALU_DEP_2) | instskip(NEXT) | instid1(TRANS32_DEP_1)
	v_rcp_f32_e32 v85, v84
	v_fma_f32 v86, -v84, v85, 1.0
	s_delay_alu instid0(VALU_DEP_1) | instskip(NEXT) | instid1(VALU_DEP_1)
	v_fmac_f32_e32 v85, v86, v85
	v_mul_f32_e32 v86, v87, v85
	s_delay_alu instid0(VALU_DEP_1) | instskip(NEXT) | instid1(VALU_DEP_1)
	v_fma_f32 v96, -v84, v86, v87
	v_fmac_f32_e32 v86, v96, v85
	s_delay_alu instid0(VALU_DEP_1) | instskip(SKIP_1) | instid1(VALU_DEP_1)
	v_fma_f32 v84, -v84, v86, v87
	s_wait_alu 0xfffd
	v_div_fmas_f32 v84, v84, v85, v86
	s_delay_alu instid0(VALU_DEP_1) | instskip(NEXT) | instid1(VALU_DEP_1)
	v_div_fixup_f32 v85, v84, v24, -v69
	v_fma_f32 v84, v85, v85, 1.0
	s_delay_alu instid0(VALU_DEP_1) | instskip(SKIP_2) | instid1(VALU_DEP_2)
	v_mul_f32_e32 v86, 0x4f800000, v84
	v_cmp_gt_f32_e32 vcc_lo, 0xf800000, v84
	s_wait_alu 0xfffd
	v_cndmask_b32_e32 v84, v84, v86, vcc_lo
	s_delay_alu instid0(VALU_DEP_1) | instskip(NEXT) | instid1(TRANS32_DEP_1)
	v_sqrt_f32_e32 v86, v84
	v_add_nc_u32_e32 v87, -1, v86
	v_add_nc_u32_e32 v96, 1, v86
	s_delay_alu instid0(VALU_DEP_2) | instskip(NEXT) | instid1(VALU_DEP_2)
	v_fma_f32 v97, -v87, v86, v84
	v_fma_f32 v98, -v96, v86, v84
	s_delay_alu instid0(VALU_DEP_2) | instskip(SKIP_1) | instid1(VALU_DEP_1)
	v_cmp_ge_f32_e64 s3, 0, v97
	s_wait_alu 0xf1ff
	v_cndmask_b32_e64 v86, v86, v87, s3
	s_delay_alu instid0(VALU_DEP_3) | instskip(SKIP_1) | instid1(VALU_DEP_1)
	v_cmp_lt_f32_e64 s3, 0, v98
	s_wait_alu 0xf1ff
	v_cndmask_b32_e64 v86, v86, v96, s3
	s_delay_alu instid0(VALU_DEP_1) | instskip(NEXT) | instid1(VALU_DEP_1)
	v_mul_f32_e32 v87, 0x37800000, v86
	v_cndmask_b32_e32 v86, v86, v87, vcc_lo
	v_cmp_class_f32_e64 vcc_lo, v84, 0x260
	s_wait_alu 0xfffd
	s_delay_alu instid0(VALU_DEP_2) | instskip(NEXT) | instid1(VALU_DEP_1)
	v_cndmask_b32_e32 v84, v86, v84, vcc_lo
	v_div_scale_f32 v86, null, v84, v84, 1.0
	s_delay_alu instid0(VALU_DEP_1) | instskip(NEXT) | instid1(TRANS32_DEP_1)
	v_rcp_f32_e32 v87, v86
	v_fma_f32 v96, -v86, v87, 1.0
	s_delay_alu instid0(VALU_DEP_1) | instskip(SKIP_1) | instid1(VALU_DEP_1)
	v_fmac_f32_e32 v87, v96, v87
	v_div_scale_f32 v96, vcc_lo, 1.0, v84, 1.0
	v_mul_f32_e32 v97, v96, v87
	s_delay_alu instid0(VALU_DEP_1) | instskip(NEXT) | instid1(VALU_DEP_1)
	v_fma_f32 v98, -v86, v97, v96
	v_fmac_f32_e32 v97, v98, v87
	s_delay_alu instid0(VALU_DEP_1) | instskip(SKIP_1) | instid1(VALU_DEP_1)
	v_fma_f32 v86, -v86, v97, v96
	s_wait_alu 0xfffd
	v_div_fmas_f32 v86, v86, v87, v97
	s_delay_alu instid0(VALU_DEP_1) | instskip(NEXT) | instid1(VALU_DEP_1)
	v_div_fixup_f32 v84, v86, v84, 1.0
	v_mul_f32_e32 v85, v85, v84
.LBB6_164:                              ;   in Loop: Header=BB6_160 Depth=3
	s_wait_alu 0xfffe
	s_and_not1_saveexec_b32 s19, s19
	s_cbranch_execz .LBB6_166
; %bb.165:                              ;   in Loop: Header=BB6_160 Depth=3
	v_div_scale_f32 v84, null, v69, v69, -v24
	v_div_scale_f32 v87, vcc_lo, -v24, v69, -v24
	s_delay_alu instid0(VALU_DEP_2) | instskip(NEXT) | instid1(TRANS32_DEP_1)
	v_rcp_f32_e32 v85, v84
	v_fma_f32 v86, -v84, v85, 1.0
	s_delay_alu instid0(VALU_DEP_1) | instskip(NEXT) | instid1(VALU_DEP_1)
	v_fmac_f32_e32 v85, v86, v85
	v_mul_f32_e32 v86, v87, v85
	s_delay_alu instid0(VALU_DEP_1) | instskip(NEXT) | instid1(VALU_DEP_1)
	v_fma_f32 v96, -v84, v86, v87
	v_fmac_f32_e32 v86, v96, v85
	s_delay_alu instid0(VALU_DEP_1) | instskip(SKIP_1) | instid1(VALU_DEP_1)
	v_fma_f32 v84, -v84, v86, v87
	s_wait_alu 0xfffd
	v_div_fmas_f32 v84, v84, v85, v86
	s_delay_alu instid0(VALU_DEP_1) | instskip(NEXT) | instid1(VALU_DEP_1)
	v_div_fixup_f32 v84, v84, v69, -v24
	v_fma_f32 v85, v84, v84, 1.0
	s_delay_alu instid0(VALU_DEP_1) | instskip(SKIP_2) | instid1(VALU_DEP_2)
	v_mul_f32_e32 v86, 0x4f800000, v85
	v_cmp_gt_f32_e32 vcc_lo, 0xf800000, v85
	s_wait_alu 0xfffd
	v_cndmask_b32_e32 v85, v85, v86, vcc_lo
	s_delay_alu instid0(VALU_DEP_1) | instskip(NEXT) | instid1(TRANS32_DEP_1)
	v_sqrt_f32_e32 v86, v85
	v_add_nc_u32_e32 v87, -1, v86
	v_add_nc_u32_e32 v96, 1, v86
	s_delay_alu instid0(VALU_DEP_2) | instskip(NEXT) | instid1(VALU_DEP_2)
	v_fma_f32 v97, -v87, v86, v85
	v_fma_f32 v98, -v96, v86, v85
	s_delay_alu instid0(VALU_DEP_2) | instskip(SKIP_1) | instid1(VALU_DEP_1)
	v_cmp_ge_f32_e64 s3, 0, v97
	s_wait_alu 0xf1ff
	v_cndmask_b32_e64 v86, v86, v87, s3
	s_delay_alu instid0(VALU_DEP_3) | instskip(SKIP_1) | instid1(VALU_DEP_1)
	v_cmp_lt_f32_e64 s3, 0, v98
	s_wait_alu 0xf1ff
	v_cndmask_b32_e64 v86, v86, v96, s3
	s_delay_alu instid0(VALU_DEP_1) | instskip(NEXT) | instid1(VALU_DEP_1)
	v_mul_f32_e32 v87, 0x37800000, v86
	v_cndmask_b32_e32 v86, v86, v87, vcc_lo
	v_cmp_class_f32_e64 vcc_lo, v85, 0x260
	s_wait_alu 0xfffd
	s_delay_alu instid0(VALU_DEP_2) | instskip(NEXT) | instid1(VALU_DEP_1)
	v_cndmask_b32_e32 v85, v86, v85, vcc_lo
	v_div_scale_f32 v86, null, v85, v85, 1.0
	s_delay_alu instid0(VALU_DEP_1) | instskip(NEXT) | instid1(TRANS32_DEP_1)
	v_rcp_f32_e32 v87, v86
	v_fma_f32 v96, -v86, v87, 1.0
	s_delay_alu instid0(VALU_DEP_1) | instskip(SKIP_1) | instid1(VALU_DEP_1)
	v_fmac_f32_e32 v87, v96, v87
	v_div_scale_f32 v96, vcc_lo, 1.0, v85, 1.0
	v_mul_f32_e32 v97, v96, v87
	s_delay_alu instid0(VALU_DEP_1) | instskip(NEXT) | instid1(VALU_DEP_1)
	v_fma_f32 v98, -v86, v97, v96
	v_fmac_f32_e32 v97, v98, v87
	s_delay_alu instid0(VALU_DEP_1) | instskip(SKIP_1) | instid1(VALU_DEP_1)
	v_fma_f32 v86, -v86, v97, v96
	s_wait_alu 0xfffd
	v_div_fmas_f32 v86, v86, v87, v97
	s_delay_alu instid0(VALU_DEP_1) | instskip(NEXT) | instid1(VALU_DEP_1)
	v_div_fixup_f32 v85, v86, v85, 1.0
	v_mul_f32_e32 v84, v84, v85
.LBB6_166:                              ;   in Loop: Header=BB6_160 Depth=3
	s_wait_alu 0xfffe
	s_or_b32 exec_lo, exec_lo, s19
	v_mul_f32_e32 v69, v69, v85
	s_delay_alu instid0(VALU_DEP_1)
	v_fma_f32 v86, v24, v84, -v69
.LBB6_167:                              ;   in Loop: Header=BB6_160 Depth=3
	s_wait_alu 0xfffe
	s_and_not1_saveexec_b32 s3, s18
; %bb.168:                              ;   in Loop: Header=BB6_160 Depth=3
	v_dual_mov_b32 v84, 0 :: v_dual_mov_b32 v85, 1.0
; %bb.169:                              ;   in Loop: Header=BB6_160 Depth=3
	s_wait_alu 0xfffe
	s_or_b32 exec_lo, exec_lo, s3
	v_mov_b32_e32 v24, v86
.LBB6_170:                              ;   in Loop: Header=BB6_160 Depth=3
	s_wait_alu 0xfffe
	s_or_b32 exec_lo, exec_lo, s17
	s_cmp_eq_u32 s16, 0
	s_cbranch_scc1 .LBB6_159
; %bb.171:                              ;   in Loop: Header=BB6_160 Depth=3
	flat_store_b32 v[82:83], v24
	s_branch .LBB6_159
.LBB6_172:                              ;   in Loop: Header=BB6_134 Depth=2
	s_and_not1_b32 s3, s3, exec_lo
	ds_store_2addr_b32 v25, v68, v54 offset0:1 offset1:4
	s_wait_alu 0xfffe
	s_or_b32 exec_lo, exec_lo, s12
	s_and_saveexec_b32 s4, s3
	s_cbranch_execnz .LBB6_145
	s_branch .LBB6_146
.LBB6_173:                              ;   in Loop: Header=BB6_134 Depth=2
	s_or_b32 exec_lo, exec_lo, s15
.LBB6_174:                              ;   in Loop: Header=BB6_134 Depth=2
	s_wait_alu 0xfffe
	s_or_b32 exec_lo, exec_lo, s14
	ds_load_b32 v19, v25 offset:8
.LBB6_175:                              ;   in Loop: Header=BB6_134 Depth=2
	s_wait_alu 0xfffe
	s_or_b32 exec_lo, exec_lo, s13
	flat_load_b32 v54, v[66:67]
                                        ; implicit-def: $vgpr55
                                        ; implicit-def: $vgpr68
	s_wait_loadcnt_dscnt 0x0
	v_sub_f32_e32 v19, v54, v19
                                        ; implicit-def: $vgpr54
	flat_store_b32 v[66:67], v19
	flat_store_b32 v[70:71], v24 offset:-4
                                        ; implicit-def: $vgpr66_vgpr67
                                        ; implicit-def: $vgpr70_vgpr71
.LBB6_176:                              ;   in Loop: Header=BB6_134 Depth=2
	s_wait_alu 0xfffe
	s_and_not1_saveexec_b32 s13, s4
	s_cbranch_execz .LBB6_209
; %bb.177:                              ;   in Loop: Header=BB6_134 Depth=2
	v_ashrrev_i32_e32 v69, 31, v68
	s_mov_b32 s4, exec_lo
                                        ; implicit-def: $vgpr80
	s_delay_alu instid0(VALU_DEP_1) | instskip(NEXT) | instid1(VALU_DEP_1)
	v_lshlrev_b64_e32 v[64:65], 2, v[68:69]
	v_add_co_u32 v68, vcc_lo, v5, v64
	s_wait_alu 0xfffd
	s_delay_alu instid0(VALU_DEP_2)
	v_add_co_ci_u32_e64 v69, null, v6, v65, vcc_lo
	v_add_co_u32 v82, vcc_lo, v20, v64
	s_wait_alu 0xfffd
	v_add_co_ci_u32_e64 v83, null, v4, v65, vcc_lo
	flat_load_b32 v81, v[68:69]
	flat_load_b32 v68, v[82:83]
	s_wait_loadcnt_dscnt 0x0
	v_dual_add_f32 v19, v81, v81 :: v_dual_sub_f32 v24, v68, v55
	s_delay_alu instid0(VALU_DEP_1) | instskip(NEXT) | instid1(VALU_DEP_2)
	v_and_b32_e32 v69, 0x7fffffff, v19
	v_cmpx_ngt_f32_e64 |v24|, |v19|
	s_wait_alu 0xfffe
	s_xor_b32 s4, exec_lo, s4
	s_cbranch_execz .LBB6_183
; %bb.178:                              ;   in Loop: Header=BB6_134 Depth=2
	v_cmp_nlt_f32_e64 s3, |v24|, |v19|
                                        ; implicit-def: $vgpr80
	s_and_saveexec_b32 s14, s3
	s_wait_alu 0xfffe
	s_xor_b32 s3, exec_lo, s14
	s_cbranch_execz .LBB6_180
; %bb.179:                              ;   in Loop: Header=BB6_134 Depth=2
	v_cvt_f64_f32_e32 v[82:83], v69
                                        ; implicit-def: $vgpr69
	s_delay_alu instid0(VALU_DEP_1) | instskip(NEXT) | instid1(VALU_DEP_1)
	v_mul_f64_e32 v[82:83], s[6:7], v[82:83]
	v_cvt_f32_f64_e32 v80, v[82:83]
.LBB6_180:                              ;   in Loop: Header=BB6_134 Depth=2
	s_wait_alu 0xfffe
	s_and_not1_saveexec_b32 s14, s3
	s_cbranch_execz .LBB6_182
; %bb.181:                              ;   in Loop: Header=BB6_134 Depth=2
	v_and_b32_e32 v80, 0x7fffffff, v24
	s_delay_alu instid0(VALU_DEP_1) | instskip(NEXT) | instid1(VALU_DEP_1)
	v_div_scale_f32 v82, null, v69, v69, v80
	v_rcp_f32_e32 v83, v82
	s_delay_alu instid0(TRANS32_DEP_1) | instskip(NEXT) | instid1(VALU_DEP_1)
	v_fma_f32 v84, -v82, v83, 1.0
	v_fmac_f32_e32 v83, v84, v83
	v_div_scale_f32 v69, vcc_lo, v80, v69, v80
	s_delay_alu instid0(VALU_DEP_1) | instskip(NEXT) | instid1(VALU_DEP_1)
	v_mul_f32_e32 v80, v69, v83
	v_fma_f32 v84, -v82, v80, v69
	s_delay_alu instid0(VALU_DEP_1) | instskip(NEXT) | instid1(VALU_DEP_1)
	v_fmac_f32_e32 v80, v84, v83
	v_fma_f32 v69, -v82, v80, v69
	s_wait_alu 0xfffd
	s_delay_alu instid0(VALU_DEP_1) | instskip(NEXT) | instid1(VALU_DEP_1)
	v_div_fmas_f32 v69, v69, v83, v80
	v_div_fixup_f32 v69, v69, |v19|, |v24|
	s_delay_alu instid0(VALU_DEP_1) | instskip(NEXT) | instid1(VALU_DEP_1)
	v_fma_f32 v69, v69, v69, 1.0
	v_mul_f32_e32 v80, 0x4f800000, v69
	v_cmp_gt_f32_e32 vcc_lo, 0xf800000, v69
	s_wait_alu 0xfffd
	s_delay_alu instid0(VALU_DEP_2) | instskip(NEXT) | instid1(VALU_DEP_1)
	v_cndmask_b32_e32 v69, v69, v80, vcc_lo
	v_sqrt_f32_e32 v80, v69
	s_delay_alu instid0(TRANS32_DEP_1) | instskip(SKIP_1) | instid1(VALU_DEP_2)
	v_add_nc_u32_e32 v82, -1, v80
	v_add_nc_u32_e32 v83, 1, v80
	v_fma_f32 v84, -v82, v80, v69
	s_delay_alu instid0(VALU_DEP_2) | instskip(NEXT) | instid1(VALU_DEP_2)
	v_fma_f32 v85, -v83, v80, v69
	v_cmp_ge_f32_e64 s3, 0, v84
	s_wait_alu 0xf1ff
	s_delay_alu instid0(VALU_DEP_1) | instskip(NEXT) | instid1(VALU_DEP_3)
	v_cndmask_b32_e64 v80, v80, v82, s3
	v_cmp_lt_f32_e64 s3, 0, v85
	s_wait_alu 0xf1ff
	s_delay_alu instid0(VALU_DEP_1) | instskip(NEXT) | instid1(VALU_DEP_1)
	v_cndmask_b32_e64 v80, v80, v83, s3
	v_mul_f32_e32 v82, 0x37800000, v80
	s_delay_alu instid0(VALU_DEP_1) | instskip(SKIP_2) | instid1(VALU_DEP_2)
	v_cndmask_b32_e32 v80, v80, v82, vcc_lo
	v_cmp_class_f32_e64 vcc_lo, v69, 0x260
	s_wait_alu 0xfffd
	v_cndmask_b32_e32 v69, v80, v69, vcc_lo
	s_delay_alu instid0(VALU_DEP_1)
	v_mul_f32_e64 v80, |v19|, v69
.LBB6_182:                              ;   in Loop: Header=BB6_134 Depth=2
	s_wait_alu 0xfffe
	s_or_b32 exec_lo, exec_lo, s14
                                        ; implicit-def: $vgpr69
.LBB6_183:                              ;   in Loop: Header=BB6_134 Depth=2
	s_wait_alu 0xfffe
	s_and_not1_saveexec_b32 s4, s4
	s_cbranch_execz .LBB6_185
; %bb.184:                              ;   in Loop: Header=BB6_134 Depth=2
	v_and_b32_e32 v80, 0x7fffffff, v24
	s_delay_alu instid0(VALU_DEP_1) | instskip(NEXT) | instid1(VALU_DEP_1)
	v_div_scale_f32 v82, null, v80, v80, v69
	v_rcp_f32_e32 v83, v82
	s_delay_alu instid0(TRANS32_DEP_1) | instskip(NEXT) | instid1(VALU_DEP_1)
	v_fma_f32 v84, -v82, v83, 1.0
	v_fmac_f32_e32 v83, v84, v83
	v_div_scale_f32 v69, vcc_lo, v69, v80, v69
	s_delay_alu instid0(VALU_DEP_1) | instskip(NEXT) | instid1(VALU_DEP_1)
	v_mul_f32_e32 v80, v69, v83
	v_fma_f32 v84, -v82, v80, v69
	s_delay_alu instid0(VALU_DEP_1) | instskip(NEXT) | instid1(VALU_DEP_1)
	v_fmac_f32_e32 v80, v84, v83
	v_fma_f32 v69, -v82, v80, v69
	s_wait_alu 0xfffd
	s_delay_alu instid0(VALU_DEP_1) | instskip(NEXT) | instid1(VALU_DEP_1)
	v_div_fmas_f32 v69, v69, v83, v80
	v_div_fixup_f32 v69, v69, |v24|, |v19|
	s_delay_alu instid0(VALU_DEP_1) | instskip(NEXT) | instid1(VALU_DEP_1)
	v_fma_f32 v69, v69, v69, 1.0
	v_mul_f32_e32 v80, 0x4f800000, v69
	v_cmp_gt_f32_e32 vcc_lo, 0xf800000, v69
	s_wait_alu 0xfffd
	s_delay_alu instid0(VALU_DEP_2) | instskip(NEXT) | instid1(VALU_DEP_1)
	v_cndmask_b32_e32 v69, v69, v80, vcc_lo
	v_sqrt_f32_e32 v80, v69
	s_delay_alu instid0(TRANS32_DEP_1) | instskip(SKIP_1) | instid1(VALU_DEP_2)
	v_add_nc_u32_e32 v82, -1, v80
	v_add_nc_u32_e32 v83, 1, v80
	v_fma_f32 v84, -v82, v80, v69
	s_delay_alu instid0(VALU_DEP_2) | instskip(NEXT) | instid1(VALU_DEP_2)
	v_fma_f32 v85, -v83, v80, v69
	v_cmp_ge_f32_e64 s3, 0, v84
	s_wait_alu 0xf1ff
	s_delay_alu instid0(VALU_DEP_1) | instskip(NEXT) | instid1(VALU_DEP_3)
	v_cndmask_b32_e64 v80, v80, v82, s3
	v_cmp_lt_f32_e64 s3, 0, v85
	s_wait_alu 0xf1ff
	s_delay_alu instid0(VALU_DEP_1) | instskip(NEXT) | instid1(VALU_DEP_1)
	v_cndmask_b32_e64 v80, v80, v83, s3
	v_mul_f32_e32 v82, 0x37800000, v80
	s_delay_alu instid0(VALU_DEP_1) | instskip(SKIP_2) | instid1(VALU_DEP_2)
	v_cndmask_b32_e32 v80, v80, v82, vcc_lo
	v_cmp_class_f32_e64 vcc_lo, v69, 0x260
	s_wait_alu 0xfffd
	v_cndmask_b32_e32 v69, v80, v69, vcc_lo
	s_delay_alu instid0(VALU_DEP_1)
	v_mul_f32_e64 v80, |v24|, v69
.LBB6_185:                              ;   in Loop: Header=BB6_134 Depth=2
	s_wait_alu 0xfffe
	s_or_b32 exec_lo, exec_lo, s4
	v_cmp_gt_f32_e64 vcc_lo, |v68|, |v55|
	v_add_f32_e32 v83, v68, v55
	s_mov_b32 s3, exec_lo
	s_wait_alu 0xfffd
	v_cndmask_b32_e32 v82, v68, v55, vcc_lo
	v_cndmask_b32_e32 v84, v55, v68, vcc_lo
                                        ; implicit-def: $vgpr69
	v_cmpx_ngt_f32_e32 0, v83
	s_wait_alu 0xfffe
	s_xor_b32 s4, exec_lo, s3
	s_cbranch_execz .LBB6_191
; %bb.186:                              ;   in Loop: Header=BB6_134 Depth=2
	s_mov_b32 s3, exec_lo
                                        ; implicit-def: $vgpr69
	v_cmpx_nlt_f32_e32 0, v83
	s_wait_alu 0xfffe
	s_xor_b32 s3, exec_lo, s3
; %bb.187:                              ;   in Loop: Header=BB6_134 Depth=2
	v_mul_f32_e32 v68, 0.5, v80
	v_mul_f32_e32 v69, -0.5, v80
                                        ; implicit-def: $vgpr83
                                        ; implicit-def: $vgpr84
                                        ; implicit-def: $vgpr82
                                        ; implicit-def: $vgpr81
; %bb.188:                              ;   in Loop: Header=BB6_134 Depth=2
	s_wait_alu 0xfffe
	s_and_not1_saveexec_b32 s14, s3
	s_cbranch_execz .LBB6_190
; %bb.189:                              ;   in Loop: Header=BB6_134 Depth=2
	v_add_f32_e32 v55, v83, v80
	v_cvt_f64_f32_e32 v[83:84], v84
	v_cvt_f64_f32_e32 v[96:97], v81
	;; [unrolled: 1-line block ×3, first 2 shown]
	s_delay_alu instid0(VALU_DEP_4) | instskip(NEXT) | instid1(VALU_DEP_1)
	v_mul_f32_e32 v68, 0.5, v55
	v_cvt_f64_f32_e32 v[85:86], v68
	s_delay_alu instid0(VALU_DEP_1) | instskip(SKIP_2) | instid1(VALU_DEP_3)
	v_div_scale_f64 v[98:99], null, v[85:86], v[85:86], v[83:84]
	v_div_scale_f64 v[100:101], null, v[85:86], v[85:86], v[96:97]
	v_div_scale_f64 v[160:161], vcc_lo, v[83:84], v[85:86], v[83:84]
	v_rcp_f64_e32 v[144:145], v[98:99]
	s_delay_alu instid0(VALU_DEP_2) | instskip(NEXT) | instid1(TRANS32_DEP_2)
	v_rcp_f64_e32 v[146:147], v[100:101]
	v_fma_f64 v[148:149], -v[98:99], v[144:145], 1.0
	s_delay_alu instid0(TRANS32_DEP_1) | instskip(NEXT) | instid1(VALU_DEP_2)
	v_fma_f64 v[150:151], -v[100:101], v[146:147], 1.0
	v_fma_f64 v[144:145], v[144:145], v[148:149], v[144:145]
	s_delay_alu instid0(VALU_DEP_2) | instskip(NEXT) | instid1(VALU_DEP_2)
	v_fma_f64 v[146:147], v[146:147], v[150:151], v[146:147]
	v_fma_f64 v[148:149], -v[98:99], v[144:145], 1.0
	s_delay_alu instid0(VALU_DEP_2) | instskip(NEXT) | instid1(VALU_DEP_2)
	v_fma_f64 v[150:151], -v[100:101], v[146:147], 1.0
	v_fma_f64 v[144:145], v[144:145], v[148:149], v[144:145]
	v_div_scale_f64 v[148:149], s3, v[96:97], v[85:86], v[96:97]
	s_delay_alu instid0(VALU_DEP_3) | instskip(NEXT) | instid1(VALU_DEP_3)
	v_fma_f64 v[146:147], v[146:147], v[150:151], v[146:147]
	v_mul_f64_e32 v[150:151], v[160:161], v[144:145]
	s_delay_alu instid0(VALU_DEP_2) | instskip(NEXT) | instid1(VALU_DEP_2)
	v_mul_f64_e32 v[162:163], v[148:149], v[146:147]
	v_fma_f64 v[98:99], -v[98:99], v[150:151], v[160:161]
	s_delay_alu instid0(VALU_DEP_2) | instskip(SKIP_1) | instid1(VALU_DEP_2)
	v_fma_f64 v[100:101], -v[100:101], v[162:163], v[148:149]
	s_wait_alu 0xfffd
	v_div_fmas_f64 v[98:99], v[98:99], v[144:145], v[150:151]
	s_mov_b32 vcc_lo, s3
	s_wait_alu 0xfffe
	s_delay_alu instid0(VALU_DEP_2) | instskip(NEXT) | instid1(VALU_DEP_2)
	v_div_fmas_f64 v[100:101], v[100:101], v[146:147], v[162:163]
	v_div_fixup_f64 v[83:84], v[98:99], v[85:86], v[83:84]
	s_delay_alu instid0(VALU_DEP_2) | instskip(NEXT) | instid1(VALU_DEP_1)
	v_div_fixup_f64 v[100:101], v[100:101], v[85:86], v[96:97]
	v_mul_f64_e32 v[85:86], v[100:101], v[96:97]
	s_delay_alu instid0(VALU_DEP_1) | instskip(NEXT) | instid1(VALU_DEP_1)
	v_fma_f64 v[81:82], v[83:84], v[81:82], -v[85:86]
	v_cvt_f32_f64_e32 v69, v[81:82]
.LBB6_190:                              ;   in Loop: Header=BB6_134 Depth=2
	s_wait_alu 0xfffe
	s_or_b32 exec_lo, exec_lo, s14
                                        ; implicit-def: $vgpr83
                                        ; implicit-def: $vgpr84
                                        ; implicit-def: $vgpr82
                                        ; implicit-def: $vgpr81
.LBB6_191:                              ;   in Loop: Header=BB6_134 Depth=2
	s_wait_alu 0xfffe
	s_or_saveexec_b32 s4, s4
	v_mov_b32_e32 v55, 1
	s_wait_alu 0xfffe
	s_xor_b32 exec_lo, exec_lo, s4
	s_cbranch_execz .LBB6_193
; %bb.192:                              ;   in Loop: Header=BB6_134 Depth=2
	v_sub_f32_e32 v55, v83, v80
	v_cvt_f64_f32_e32 v[83:84], v84
	v_cvt_f64_f32_e32 v[96:97], v81
	;; [unrolled: 1-line block ×3, first 2 shown]
	s_delay_alu instid0(VALU_DEP_4) | instskip(NEXT) | instid1(VALU_DEP_1)
	v_dual_mul_f32 v68, 0.5, v55 :: v_dual_mov_b32 v55, -1
	v_cvt_f64_f32_e32 v[85:86], v68
	s_delay_alu instid0(VALU_DEP_1) | instskip(SKIP_2) | instid1(VALU_DEP_3)
	v_div_scale_f64 v[98:99], null, v[85:86], v[85:86], v[83:84]
	v_div_scale_f64 v[100:101], null, v[85:86], v[85:86], v[96:97]
	v_div_scale_f64 v[160:161], vcc_lo, v[83:84], v[85:86], v[83:84]
	v_rcp_f64_e32 v[144:145], v[98:99]
	s_delay_alu instid0(VALU_DEP_2) | instskip(NEXT) | instid1(TRANS32_DEP_2)
	v_rcp_f64_e32 v[146:147], v[100:101]
	v_fma_f64 v[148:149], -v[98:99], v[144:145], 1.0
	s_delay_alu instid0(TRANS32_DEP_1) | instskip(NEXT) | instid1(VALU_DEP_2)
	v_fma_f64 v[150:151], -v[100:101], v[146:147], 1.0
	v_fma_f64 v[144:145], v[144:145], v[148:149], v[144:145]
	s_delay_alu instid0(VALU_DEP_2) | instskip(NEXT) | instid1(VALU_DEP_2)
	v_fma_f64 v[146:147], v[146:147], v[150:151], v[146:147]
	v_fma_f64 v[148:149], -v[98:99], v[144:145], 1.0
	s_delay_alu instid0(VALU_DEP_2) | instskip(NEXT) | instid1(VALU_DEP_2)
	v_fma_f64 v[150:151], -v[100:101], v[146:147], 1.0
	v_fma_f64 v[144:145], v[144:145], v[148:149], v[144:145]
	v_div_scale_f64 v[148:149], s3, v[96:97], v[85:86], v[96:97]
	s_delay_alu instid0(VALU_DEP_3) | instskip(NEXT) | instid1(VALU_DEP_3)
	v_fma_f64 v[146:147], v[146:147], v[150:151], v[146:147]
	v_mul_f64_e32 v[150:151], v[160:161], v[144:145]
	s_delay_alu instid0(VALU_DEP_2) | instskip(NEXT) | instid1(VALU_DEP_2)
	v_mul_f64_e32 v[162:163], v[148:149], v[146:147]
	v_fma_f64 v[98:99], -v[98:99], v[150:151], v[160:161]
	s_delay_alu instid0(VALU_DEP_2) | instskip(SKIP_1) | instid1(VALU_DEP_2)
	v_fma_f64 v[100:101], -v[100:101], v[162:163], v[148:149]
	s_wait_alu 0xfffd
	v_div_fmas_f64 v[98:99], v[98:99], v[144:145], v[150:151]
	s_mov_b32 vcc_lo, s3
	s_wait_alu 0xfffe
	s_delay_alu instid0(VALU_DEP_2) | instskip(NEXT) | instid1(VALU_DEP_2)
	v_div_fmas_f64 v[100:101], v[100:101], v[146:147], v[162:163]
	v_div_fixup_f64 v[83:84], v[98:99], v[85:86], v[83:84]
	s_delay_alu instid0(VALU_DEP_2) | instskip(NEXT) | instid1(VALU_DEP_1)
	v_div_fixup_f64 v[100:101], v[100:101], v[85:86], v[96:97]
	v_mul_f64_e32 v[85:86], v[100:101], v[96:97]
	s_delay_alu instid0(VALU_DEP_1) | instskip(NEXT) | instid1(VALU_DEP_1)
	v_fma_f64 v[81:82], v[83:84], v[81:82], -v[85:86]
	v_cvt_f32_f64_e32 v69, v[81:82]
.LBB6_193:                              ;   in Loop: Header=BB6_134 Depth=2
	s_or_b32 exec_lo, exec_lo, s4
	v_cmp_nle_f32_e64 s3, 0, v24
	s_mov_b32 s14, exec_lo
                                        ; implicit-def: $vgpr81
	s_wait_alu 0xf1ff
	v_cndmask_b32_e64 v80, v80, -v80, s3
	s_delay_alu instid0(VALU_DEP_1) | instskip(NEXT) | instid1(VALU_DEP_1)
	v_add_f32_e32 v24, v24, v80
                                        ; implicit-def: $vgpr80
	v_cmpx_ngt_f32_e64 |v24|, |v19|
	s_wait_alu 0xfffe
	s_xor_b32 s14, exec_lo, s14
	s_cbranch_execz .LBB6_197
; %bb.194:                              ;   in Loop: Header=BB6_134 Depth=2
	v_dual_mov_b32 v80, 0 :: v_dual_mov_b32 v81, 1.0
	s_mov_b32 s15, exec_lo
	v_cmpx_neq_f32_e32 0, v19
	s_cbranch_execz .LBB6_196
; %bb.195:                              ;   in Loop: Header=BB6_134 Depth=2
	v_div_scale_f32 v80, null, v19, v19, -v24
	v_div_scale_f32 v83, vcc_lo, -v24, v19, -v24
	s_delay_alu instid0(VALU_DEP_2) | instskip(NEXT) | instid1(TRANS32_DEP_1)
	v_rcp_f32_e32 v81, v80
	v_fma_f32 v82, -v80, v81, 1.0
	s_delay_alu instid0(VALU_DEP_1) | instskip(NEXT) | instid1(VALU_DEP_1)
	v_fmac_f32_e32 v81, v82, v81
	v_mul_f32_e32 v82, v83, v81
	s_delay_alu instid0(VALU_DEP_1) | instskip(NEXT) | instid1(VALU_DEP_1)
	v_fma_f32 v84, -v80, v82, v83
	v_fmac_f32_e32 v82, v84, v81
	s_delay_alu instid0(VALU_DEP_1) | instskip(SKIP_1) | instid1(VALU_DEP_1)
	v_fma_f32 v80, -v80, v82, v83
	s_wait_alu 0xfffd
	v_div_fmas_f32 v80, v80, v81, v82
	s_delay_alu instid0(VALU_DEP_1) | instskip(NEXT) | instid1(VALU_DEP_1)
	v_div_fixup_f32 v19, v80, v19, -v24
	v_fma_f32 v24, v19, v19, 1.0
	s_delay_alu instid0(VALU_DEP_1) | instskip(SKIP_2) | instid1(VALU_DEP_2)
	v_mul_f32_e32 v80, 0x4f800000, v24
	v_cmp_gt_f32_e32 vcc_lo, 0xf800000, v24
	s_wait_alu 0xfffd
	v_cndmask_b32_e32 v24, v24, v80, vcc_lo
	s_delay_alu instid0(VALU_DEP_1) | instskip(NEXT) | instid1(TRANS32_DEP_1)
	v_sqrt_f32_e32 v80, v24
	v_add_nc_u32_e32 v81, -1, v80
	v_add_nc_u32_e32 v82, 1, v80
	s_delay_alu instid0(VALU_DEP_2) | instskip(NEXT) | instid1(VALU_DEP_2)
	v_fma_f32 v83, -v81, v80, v24
	v_fma_f32 v84, -v82, v80, v24
	s_delay_alu instid0(VALU_DEP_2) | instskip(SKIP_1) | instid1(VALU_DEP_1)
	v_cmp_ge_f32_e64 s4, 0, v83
	s_wait_alu 0xf1ff
	v_cndmask_b32_e64 v80, v80, v81, s4
	s_delay_alu instid0(VALU_DEP_3) | instskip(SKIP_1) | instid1(VALU_DEP_1)
	v_cmp_lt_f32_e64 s4, 0, v84
	s_wait_alu 0xf1ff
	v_cndmask_b32_e64 v80, v80, v82, s4
	s_delay_alu instid0(VALU_DEP_1) | instskip(NEXT) | instid1(VALU_DEP_1)
	v_mul_f32_e32 v81, 0x37800000, v80
	v_cndmask_b32_e32 v80, v80, v81, vcc_lo
	v_cmp_class_f32_e64 vcc_lo, v24, 0x260
	s_wait_alu 0xfffd
	s_delay_alu instid0(VALU_DEP_2) | instskip(NEXT) | instid1(VALU_DEP_1)
	v_cndmask_b32_e32 v24, v80, v24, vcc_lo
	v_div_scale_f32 v80, null, v24, v24, 1.0
	s_delay_alu instid0(VALU_DEP_1) | instskip(NEXT) | instid1(TRANS32_DEP_1)
	v_rcp_f32_e32 v81, v80
	v_fma_f32 v82, -v80, v81, 1.0
	s_delay_alu instid0(VALU_DEP_1) | instskip(SKIP_1) | instid1(VALU_DEP_1)
	v_fmac_f32_e32 v81, v82, v81
	v_div_scale_f32 v82, vcc_lo, 1.0, v24, 1.0
	v_mul_f32_e32 v83, v82, v81
	s_delay_alu instid0(VALU_DEP_1) | instskip(NEXT) | instid1(VALU_DEP_1)
	v_fma_f32 v84, -v80, v83, v82
	v_fmac_f32_e32 v83, v84, v81
	s_delay_alu instid0(VALU_DEP_1) | instskip(SKIP_1) | instid1(VALU_DEP_1)
	v_fma_f32 v80, -v80, v83, v82
	s_wait_alu 0xfffd
	v_div_fmas_f32 v80, v80, v81, v83
	s_delay_alu instid0(VALU_DEP_1) | instskip(NEXT) | instid1(VALU_DEP_1)
	v_div_fixup_f32 v81, v80, v24, 1.0
	v_mul_f32_e32 v80, v19, v81
.LBB6_196:                              ;   in Loop: Header=BB6_134 Depth=2
	s_wait_alu 0xfffe
	s_or_b32 exec_lo, exec_lo, s15
                                        ; implicit-def: $vgpr24
                                        ; implicit-def: $vgpr19
.LBB6_197:                              ;   in Loop: Header=BB6_134 Depth=2
	s_wait_alu 0xfffe
	s_and_not1_saveexec_b32 s14, s14
	s_cbranch_execz .LBB6_199
; %bb.198:                              ;   in Loop: Header=BB6_134 Depth=2
	v_div_scale_f32 v80, null, v24, v24, -v19
	v_div_scale_f32 v83, vcc_lo, -v19, v24, -v19
	s_delay_alu instid0(VALU_DEP_2) | instskip(NEXT) | instid1(TRANS32_DEP_1)
	v_rcp_f32_e32 v81, v80
	v_fma_f32 v82, -v80, v81, 1.0
	s_delay_alu instid0(VALU_DEP_1) | instskip(NEXT) | instid1(VALU_DEP_1)
	v_fmac_f32_e32 v81, v82, v81
	v_mul_f32_e32 v82, v83, v81
	s_delay_alu instid0(VALU_DEP_1) | instskip(NEXT) | instid1(VALU_DEP_1)
	v_fma_f32 v84, -v80, v82, v83
	v_fmac_f32_e32 v82, v84, v81
	s_delay_alu instid0(VALU_DEP_1) | instskip(SKIP_1) | instid1(VALU_DEP_1)
	v_fma_f32 v80, -v80, v82, v83
	s_wait_alu 0xfffd
	v_div_fmas_f32 v80, v80, v81, v82
	s_delay_alu instid0(VALU_DEP_1) | instskip(NEXT) | instid1(VALU_DEP_1)
	v_div_fixup_f32 v19, v80, v24, -v19
	v_fma_f32 v24, v19, v19, 1.0
	s_delay_alu instid0(VALU_DEP_1) | instskip(SKIP_2) | instid1(VALU_DEP_2)
	v_mul_f32_e32 v80, 0x4f800000, v24
	v_cmp_gt_f32_e32 vcc_lo, 0xf800000, v24
	s_wait_alu 0xfffd
	v_cndmask_b32_e32 v24, v24, v80, vcc_lo
	s_delay_alu instid0(VALU_DEP_1) | instskip(NEXT) | instid1(TRANS32_DEP_1)
	v_sqrt_f32_e32 v80, v24
	v_add_nc_u32_e32 v81, -1, v80
	v_add_nc_u32_e32 v82, 1, v80
	s_delay_alu instid0(VALU_DEP_2) | instskip(NEXT) | instid1(VALU_DEP_2)
	v_fma_f32 v83, -v81, v80, v24
	v_fma_f32 v84, -v82, v80, v24
	s_delay_alu instid0(VALU_DEP_2) | instskip(SKIP_1) | instid1(VALU_DEP_1)
	v_cmp_ge_f32_e64 s4, 0, v83
	s_wait_alu 0xf1ff
	v_cndmask_b32_e64 v80, v80, v81, s4
	s_delay_alu instid0(VALU_DEP_3) | instskip(SKIP_1) | instid1(VALU_DEP_1)
	v_cmp_lt_f32_e64 s4, 0, v84
	s_wait_alu 0xf1ff
	v_cndmask_b32_e64 v80, v80, v82, s4
	s_delay_alu instid0(VALU_DEP_1) | instskip(NEXT) | instid1(VALU_DEP_1)
	v_mul_f32_e32 v81, 0x37800000, v80
	v_cndmask_b32_e32 v80, v80, v81, vcc_lo
	v_cmp_class_f32_e64 vcc_lo, v24, 0x260
	s_wait_alu 0xfffd
	s_delay_alu instid0(VALU_DEP_2) | instskip(NEXT) | instid1(VALU_DEP_1)
	v_cndmask_b32_e32 v24, v80, v24, vcc_lo
	v_div_scale_f32 v80, null, v24, v24, 1.0
	s_delay_alu instid0(VALU_DEP_1) | instskip(NEXT) | instid1(TRANS32_DEP_1)
	v_rcp_f32_e32 v81, v80
	v_fma_f32 v82, -v80, v81, 1.0
	s_delay_alu instid0(VALU_DEP_1) | instskip(SKIP_1) | instid1(VALU_DEP_1)
	v_fmac_f32_e32 v81, v82, v81
	v_div_scale_f32 v82, vcc_lo, 1.0, v24, 1.0
	v_mul_f32_e32 v83, v82, v81
	s_delay_alu instid0(VALU_DEP_1) | instskip(NEXT) | instid1(VALU_DEP_1)
	v_fma_f32 v84, -v80, v83, v82
	v_fmac_f32_e32 v83, v84, v81
	s_delay_alu instid0(VALU_DEP_1) | instskip(SKIP_1) | instid1(VALU_DEP_1)
	v_fma_f32 v80, -v80, v83, v82
	s_wait_alu 0xfffd
	v_div_fmas_f32 v80, v80, v81, v83
	s_delay_alu instid0(VALU_DEP_1) | instskip(NEXT) | instid1(VALU_DEP_1)
	v_div_fixup_f32 v80, v80, v24, 1.0
	v_mul_f32_e32 v81, v19, v80
.LBB6_199:                              ;   in Loop: Header=BB6_134 Depth=2
	s_wait_alu 0xfffe
	s_or_b32 exec_lo, exec_lo, s14
	v_cndmask_b32_e64 v19, 1, -1, s3
	v_add_co_u32 v82, s3, v12, v64
	s_wait_alu 0xf1ff
	v_add_co_ci_u32_e64 v83, null, v13, v65, s3
	s_delay_alu instid0(VALU_DEP_3)
	v_cmp_eq_u32_e32 vcc_lo, v55, v19
	v_add_nc_u32_e32 v54, -2, v54
	s_wait_alu 0xfffd
	v_cndmask_b32_e64 v19, v81, -v80, vcc_lo
	v_cndmask_b32_e32 v24, v80, v81, vcc_lo
	v_add_co_u32 v64, vcc_lo, v11, v64
	s_wait_alu 0xfffd
	v_add_co_ci_u32_e64 v65, null, v102, v65, vcc_lo
	v_add_co_u32 v70, vcc_lo, v5, v70
	s_wait_alu 0xfffd
	v_add_co_ci_u32_e64 v71, null, v6, v71, vcc_lo
	s_clause 0x1
	flat_store_b32 v[82:83], v19
	flat_store_b32 v[64:65], v24 offset:-4
	flat_store_b64 v[66:67], v[68:69] offset:-4
	flat_store_b32 v[70:71], v25 offset:-4
	ds_store_b32 v25, v54
	s_or_b32 exec_lo, exec_lo, s13
                                        ; implicit-def: $vgpr66_vgpr67
                                        ; implicit-def: $vgpr55
                                        ; implicit-def: $vgpr54
.LBB6_200:                              ;   in Loop: Header=BB6_134 Depth=2
	s_wait_alu 0xfffe
	s_and_not1_saveexec_b32 s3, s12
	s_cbranch_execz .LBB6_202
.LBB6_201:                              ;   in Loop: Header=BB6_134 Depth=2
	v_add_nc_u32_e32 v19, -1, v54
	flat_store_b32 v[66:67], v55
	ds_store_b32 v25, v19
.LBB6_202:                              ;   in Loop: Header=BB6_134 Depth=2
	s_wait_alu 0xfffe
	s_or_b32 exec_lo, exec_lo, s3
.LBB6_203:                              ;   in Loop: Header=BB6_134 Depth=2
	s_wait_alu 0xfffe
	s_or_b32 exec_lo, exec_lo, s11
	s_wait_storecnt 0x0
	s_wait_loadcnt_dscnt 0x0
	s_barrier_signal -1
	s_barrier_wait -1
	global_inv scope:SCOPE_SE
	ds_load_b64 v[54:55], v25
	s_wait_dscnt 0x0
	v_cmp_eq_u32_e32 vcc_lo, v55, v54
	v_mov_b32_e32 v54, v55
	s_cbranch_vccnz .LBB6_133
; %bb.204:                              ;   in Loop: Header=BB6_134 Depth=2
	s_and_saveexec_b32 s11, s2
	s_cbranch_execz .LBB6_132
; %bb.205:                              ;   in Loop: Header=BB6_134 Depth=2
	ds_load_b32 v19, v25 offset:16
	v_mul_lo_u32 v64, v55, v9
	v_ashrrev_i32_e32 v67, 31, v55
	v_mov_b32_e32 v66, v55
	s_mov_b32 s12, 0
	s_delay_alu instid0(VALU_DEP_3) | instskip(NEXT) | instid1(VALU_DEP_1)
	v_ashrrev_i32_e32 v65, 31, v64
	v_lshlrev_b64_e32 v[64:65], 2, v[64:65]
	s_wait_dscnt 0x0
	v_readfirstlane_b32 s3, v19
	s_wait_alu 0xf1ff
	s_delay_alu instid0(VALU_DEP_1) | instskip(SKIP_1) | instid1(VALU_DEP_2)
	v_sub_nc_u32_e32 v19, s3, v55
	v_lshlrev_b64_e32 v[54:55], 2, v[66:67]
	v_mad_co_i64_i32 v[66:67], null, v19, v9, 0
	s_delay_alu instid0(VALU_DEP_2) | instskip(SKIP_1) | instid1(VALU_DEP_3)
	v_add_co_u32 v54, vcc_lo, v12, v54
	s_wait_alu 0xfffd
	v_add_co_ci_u32_e64 v55, null, v13, v55, vcc_lo
	v_add_co_u32 v24, vcc_lo, v7, v64
	s_delay_alu instid0(VALU_DEP_4)
	v_lshlrev_b64_e32 v[66:67], 2, v[66:67]
	s_wait_alu 0xfffd
	v_add_co_ci_u32_e64 v71, null, v8, v65, vcc_lo
	v_add_co_u32 v64, vcc_lo, v130, v64
	s_wait_alu 0xfffd
	v_add_co_ci_u32_e64 v65, null, v131, v65, vcc_lo
	v_add_co_u32 v82, vcc_lo, v24, v66
	v_cmp_lt_i32_e64 s3, 0, v19
	s_wait_alu 0xfffd
	v_add_co_ci_u32_e64 v83, null, v71, v67, vcc_lo
	v_mov_b32_e32 v66, v0
	s_branch .LBB6_207
.LBB6_206:                              ;   in Loop: Header=BB6_207 Depth=3
	v_add_nc_u32_e32 v66, v66, v23
	v_add_co_u32 v67, vcc_lo, v82, v67
	s_wait_alu 0xfffd
	v_add_co_ci_u32_e64 v68, null, v83, v68, vcc_lo
	s_delay_alu instid0(VALU_DEP_3)
	v_cmp_ge_i32_e32 vcc_lo, v66, v2
	v_add_co_u32 v64, s4, v64, v28
	s_wait_alu 0xf1ff
	v_add_co_ci_u32_e64 v65, null, v65, v29, s4
	s_or_b32 s12, vcc_lo, s12
	s_wait_loadcnt_dscnt 0x0
	flat_store_b32 v[67:68], v84
	s_wait_alu 0xfffe
	s_and_not1_b32 exec_lo, exec_lo, s12
	s_cbranch_execz .LBB6_132
.LBB6_207:                              ;   Parent Loop BB6_6 Depth=1
                                        ;     Parent Loop BB6_134 Depth=2
                                        ; =>    This Loop Header: Depth=3
                                        ;         Child Loop BB6_208 Depth 4
	s_delay_alu instid0(VALU_DEP_1) | instskip(SKIP_2) | instid1(VALU_DEP_3)
	v_ashrrev_i32_e32 v67, 31, v66
	v_dual_mov_b32 v81, v65 :: v_dual_mov_b32 v80, v64
	v_mov_b32_e32 v85, v19
	v_lshlrev_b64_e32 v[67:68], 2, v[66:67]
	s_delay_alu instid0(VALU_DEP_1) | instskip(SKIP_1) | instid1(VALU_DEP_2)
	v_add_co_u32 v69, vcc_lo, v24, v67
	s_wait_alu 0xfffd
	v_add_co_ci_u32_e64 v70, null, v71, v68, vcc_lo
	s_and_not1_b32 vcc_lo, exec_lo, s3
	flat_load_b32 v84, v[69:70]
	v_dual_mov_b32 v70, v55 :: v_dual_mov_b32 v69, v54
	s_wait_alu 0xfffe
	s_cbranch_vccnz .LBB6_206
.LBB6_208:                              ;   Parent Loop BB6_6 Depth=1
                                        ;     Parent Loop BB6_134 Depth=2
                                        ;       Parent Loop BB6_207 Depth=3
                                        ; =>      This Inner Loop Header: Depth=4
	s_delay_alu instid0(VALU_DEP_1)
	v_add_co_u32 v86, vcc_lo, v80, v30
	s_wait_alu 0xfffd
	v_add_co_ci_u32_e64 v87, null, v81, v31, vcc_lo
	v_add_co_u32 v96, vcc_lo, v69, v119
	s_wait_alu 0xfffd
	v_add_co_ci_u32_e64 v97, null, v70, v128, vcc_lo
	flat_load_b32 v98, v[86:87]
	s_clause 0x1
	flat_load_b32 v96, v[96:97]
	flat_load_b32 v97, v[69:70]
	v_add_nc_u32_e32 v85, -1, v85
	v_add_co_u32 v69, vcc_lo, v69, 4
	s_wait_alu 0xfffd
	v_add_co_ci_u32_e64 v70, null, 0, v70, vcc_lo
	s_wait_loadcnt_dscnt 0x101
	v_mul_f32_e32 v99, v96, v98
	v_mul_f32_e32 v96, v84, v96
	v_cmp_eq_u32_e32 vcc_lo, 0, v85
	s_wait_loadcnt_dscnt 0x0
	s_delay_alu instid0(VALU_DEP_3) | instskip(NEXT) | instid1(VALU_DEP_3)
	v_fmac_f32_e32 v99, v84, v97
	v_fma_f32 v84, v97, v98, -v96
	flat_store_b32 v[80:81], v99
	v_dual_mov_b32 v80, v86 :: v_dual_mov_b32 v81, v87
	s_cbranch_vccz .LBB6_208
	s_branch .LBB6_206
.LBB6_209:                              ;   in Loop: Header=BB6_134 Depth=2
	s_wait_alu 0xfffe
	s_or_b32 exec_lo, exec_lo, s13
                                        ; implicit-def: $vgpr66_vgpr67
                                        ; implicit-def: $vgpr55
                                        ; implicit-def: $vgpr54
	s_and_not1_saveexec_b32 s3, s12
	s_cbranch_execnz .LBB6_201
	s_branch .LBB6_202
.LBB6_210:                              ;   in Loop: Header=BB6_6 Depth=1
	v_mov_b32_e32 v34, v66
	v_mov_b32_e32 v38, v68
	v_dual_mov_b32 v134, v19 :: v_dual_mov_b32 v35, v67
	v_mov_b32_e32 v39, v69
	s_branch .LBB6_213
.LBB6_211:                              ;   in Loop: Header=BB6_6 Depth=1
	s_or_b32 exec_lo, exec_lo, s10
.LBB6_212:                              ;   in Loop: Header=BB6_6 Depth=1
	s_wait_alu 0xfffe
	s_or_b32 exec_lo, exec_lo, s5
.LBB6_213:                              ;   in Loop: Header=BB6_6 Depth=1
	s_wait_loadcnt 0x0
	s_barrier_signal -1
	s_barrier_wait -1
	global_inv scope:SCOPE_SE
	ds_load_b32 v19, v25 offset:24
	s_mov_b32 s4, exec_lo
	s_wait_dscnt 0x0
	v_cmpx_gt_f32_e32 v19, v17
	s_cbranch_execz .LBB6_219
; %bb.214:                              ;   in Loop: Header=BB6_6 Depth=1
	v_div_scale_f32 v24, null, v19, v19, v17
	v_div_scale_f32 v65, vcc_lo, v17, v19, v17
	s_delay_alu instid0(VALU_DEP_2) | instskip(NEXT) | instid1(TRANS32_DEP_1)
	v_rcp_f32_e32 v64, v24
	v_fma_f32 v54, -v24, v64, 1.0
	s_delay_alu instid0(VALU_DEP_1) | instskip(SKIP_2) | instid1(VALU_DEP_1)
	v_fmac_f32_e32 v64, v54, v64
	ds_load_2addr_b32 v[54:55], v25 offset0:4 offset1:8
	v_mul_f32_e32 v66, v65, v64
	v_fma_f32 v67, -v24, v66, v65
	s_delay_alu instid0(VALU_DEP_1) | instskip(NEXT) | instid1(VALU_DEP_1)
	v_fmac_f32_e32 v66, v67, v64
	v_fma_f32 v24, -v24, v66, v65
	s_wait_alu 0xfffd
	s_delay_alu instid0(VALU_DEP_1) | instskip(NEXT) | instid1(VALU_DEP_1)
	v_div_fmas_f32 v24, v24, v64, v66
	v_div_fixup_f32 v19, v24, v19, v17
	s_and_saveexec_b32 s3, s0
	s_cbranch_execz .LBB6_216
; %bb.215:                              ;   in Loop: Header=BB6_6 Depth=1
	s_wait_dscnt 0x0
	v_ashrrev_i32_e32 v65, 31, v55
	v_mov_b32_e32 v64, v55
	s_delay_alu instid0(VALU_DEP_1) | instskip(NEXT) | instid1(VALU_DEP_1)
	v_lshlrev_b64_e32 v[64:65], 2, v[64:65]
	v_add_co_u32 v64, vcc_lo, v20, v64
	s_wait_alu 0xfffd
	s_delay_alu instid0(VALU_DEP_2)
	v_add_co_ci_u32_e64 v65, null, v4, v65, vcc_lo
	flat_load_b32 v24, v[64:65]
	s_wait_loadcnt_dscnt 0x0
	v_mul_f32_e32 v24, v19, v24
	flat_store_b32 v[64:65], v24
.LBB6_216:                              ;   in Loop: Header=BB6_6 Depth=1
	s_wait_alu 0xfffe
	s_or_b32 exec_lo, exec_lo, s3
	s_wait_dscnt 0x0
	v_add_nc_u32_e32 v64, v54, v0
	s_delay_alu instid0(VALU_DEP_1)
	v_cmp_lt_i32_e32 vcc_lo, v64, v55
	s_and_b32 exec_lo, exec_lo, vcc_lo
	s_cbranch_execz .LBB6_219
; %bb.217:                              ;   in Loop: Header=BB6_6 Depth=1
	v_ashrrev_i32_e32 v65, 31, v64
	s_mov_b32 s5, 0
	s_delay_alu instid0(VALU_DEP_1)
	v_lshlrev_b64_e32 v[65:66], 2, v[64:65]
.LBB6_218:                              ;   Parent Loop BB6_6 Depth=1
                                        ; =>  This Inner Loop Header: Depth=2
	s_delay_alu instid0(VALU_DEP_1) | instskip(SKIP_1) | instid1(VALU_DEP_2)
	v_add_co_u32 v67, vcc_lo, v20, v65
	s_wait_alu 0xfffd
	v_add_co_ci_u32_e64 v68, null, v4, v66, vcc_lo
	v_add_co_u32 v69, vcc_lo, v5, v65
	s_wait_alu 0xfffd
	v_add_co_ci_u32_e64 v70, null, v6, v66, vcc_lo
	flat_load_b32 v24, v[67:68]
	v_add_nc_u32_e32 v64, v64, v23
	v_add_co_u32 v65, vcc_lo, v65, v28
	s_wait_alu 0xfffd
	v_add_co_ci_u32_e64 v66, null, v66, v29, vcc_lo
	s_delay_alu instid0(VALU_DEP_3)
	v_cmp_ge_i32_e64 s3, v64, v55
	s_wait_alu 0xfffe
	s_or_b32 s5, s3, s5
	s_wait_loadcnt_dscnt 0x0
	v_mul_f32_e32 v24, v19, v24
	flat_store_b32 v[67:68], v24
	flat_load_b32 v24, v[69:70]
	s_wait_loadcnt_dscnt 0x0
	v_mul_f32_e32 v24, v19, v24
	flat_store_b32 v[69:70], v24
	s_wait_alu 0xfffe
	s_and_not1_b32 exec_lo, exec_lo, s5
	s_cbranch_execnz .LBB6_218
.LBB6_219:                              ;   in Loop: Header=BB6_6 Depth=1
	s_wait_alu 0xfffe
	s_or_b32 exec_lo, exec_lo, s4
	ds_load_b32 v19, v25 offset:24
	s_mov_b32 s4, exec_lo
	s_wait_dscnt 0x0
	v_cmpx_lt_f32_e32 v19, v16
	s_cbranch_execz .LBB6_4
; %bb.220:                              ;   in Loop: Header=BB6_6 Depth=1
	v_div_scale_f32 v24, null, v19, v19, v16
	v_div_scale_f32 v65, vcc_lo, v16, v19, v16
	s_delay_alu instid0(VALU_DEP_2) | instskip(NEXT) | instid1(TRANS32_DEP_1)
	v_rcp_f32_e32 v64, v24
	v_fma_f32 v54, -v24, v64, 1.0
	s_delay_alu instid0(VALU_DEP_1) | instskip(SKIP_2) | instid1(VALU_DEP_1)
	v_fmac_f32_e32 v64, v54, v64
	ds_load_2addr_b32 v[54:55], v25 offset0:4 offset1:8
	v_mul_f32_e32 v66, v65, v64
	v_fma_f32 v67, -v24, v66, v65
	s_delay_alu instid0(VALU_DEP_1) | instskip(NEXT) | instid1(VALU_DEP_1)
	v_fmac_f32_e32 v66, v67, v64
	v_fma_f32 v24, -v24, v66, v65
	s_wait_alu 0xfffd
	s_delay_alu instid0(VALU_DEP_1) | instskip(NEXT) | instid1(VALU_DEP_1)
	v_div_fmas_f32 v24, v24, v64, v66
	v_div_fixup_f32 v19, v24, v19, v16
	s_and_saveexec_b32 s3, s0
	s_cbranch_execz .LBB6_222
; %bb.221:                              ;   in Loop: Header=BB6_6 Depth=1
	s_wait_dscnt 0x0
	v_ashrrev_i32_e32 v65, 31, v55
	v_mov_b32_e32 v64, v55
	s_delay_alu instid0(VALU_DEP_1) | instskip(NEXT) | instid1(VALU_DEP_1)
	v_lshlrev_b64_e32 v[64:65], 2, v[64:65]
	v_add_co_u32 v64, vcc_lo, v20, v64
	s_wait_alu 0xfffd
	s_delay_alu instid0(VALU_DEP_2)
	v_add_co_ci_u32_e64 v65, null, v4, v65, vcc_lo
	flat_load_b32 v24, v[64:65]
	s_wait_loadcnt_dscnt 0x0
	v_mul_f32_e32 v24, v19, v24
	flat_store_b32 v[64:65], v24
.LBB6_222:                              ;   in Loop: Header=BB6_6 Depth=1
	s_wait_alu 0xfffe
	s_or_b32 exec_lo, exec_lo, s3
	s_wait_dscnt 0x0
	v_add_nc_u32_e32 v64, v54, v0
	s_delay_alu instid0(VALU_DEP_1)
	v_cmp_lt_i32_e32 vcc_lo, v64, v55
	s_and_b32 exec_lo, exec_lo, vcc_lo
	s_cbranch_execz .LBB6_4
; %bb.223:                              ;   in Loop: Header=BB6_6 Depth=1
	v_ashrrev_i32_e32 v65, 31, v64
	s_mov_b32 s5, 0
	s_delay_alu instid0(VALU_DEP_1)
	v_lshlrev_b64_e32 v[65:66], 2, v[64:65]
.LBB6_224:                              ;   Parent Loop BB6_6 Depth=1
                                        ; =>  This Inner Loop Header: Depth=2
	s_delay_alu instid0(VALU_DEP_1) | instskip(SKIP_1) | instid1(VALU_DEP_2)
	v_add_co_u32 v67, vcc_lo, v20, v65
	s_wait_alu 0xfffd
	v_add_co_ci_u32_e64 v68, null, v4, v66, vcc_lo
	v_add_co_u32 v69, vcc_lo, v5, v65
	s_wait_alu 0xfffd
	v_add_co_ci_u32_e64 v70, null, v6, v66, vcc_lo
	flat_load_b32 v24, v[67:68]
	v_add_nc_u32_e32 v64, v64, v23
	v_add_co_u32 v65, vcc_lo, v65, v28
	s_wait_alu 0xfffd
	v_add_co_ci_u32_e64 v66, null, v66, v29, vcc_lo
	s_delay_alu instid0(VALU_DEP_3)
	v_cmp_ge_i32_e64 s3, v64, v55
	s_wait_alu 0xfffe
	s_or_b32 s5, s3, s5
	s_wait_loadcnt_dscnt 0x0
	v_mul_f32_e32 v24, v19, v24
	flat_store_b32 v[67:68], v24
	flat_load_b32 v24, v[69:70]
	s_wait_loadcnt_dscnt 0x0
	v_mul_f32_e32 v24, v19, v24
	flat_store_b32 v[69:70], v24
	s_wait_alu 0xfffe
	s_and_not1_b32 exec_lo, exec_lo, s5
	s_cbranch_execnz .LBB6_224
	s_branch .LBB6_4
.LBB6_225:
	s_wait_alu 0xfffe
	s_or_b32 exec_lo, exec_lo, s8
; %bb.226:
	s_delay_alu instid0(SALU_CYCLE_1)
	s_mov_b32 s3, exec_lo
	v_cmpx_lt_i32_e64 v0, v18
	s_cbranch_execz .LBB6_231
; %bb.227:
	v_ashrrev_i32_e32 v1, 31, v0
	v_ashrrev_i32_e32 v24, 31, v23
	s_mov_b32 s4, 0
	s_delay_alu instid0(VALU_DEP_2) | instskip(NEXT) | instid1(VALU_DEP_2)
	v_lshlrev_b64_e32 v[12:13], 2, v[0:1]
	v_lshlrev_b64_e32 v[10:11], 2, v[23:24]
	v_mov_b32_e32 v1, 1
	s_delay_alu instid0(VALU_DEP_3) | instskip(SKIP_1) | instid1(VALU_DEP_4)
	v_add_co_u32 v5, vcc_lo, v5, v12
	s_wait_alu 0xfffd
	v_add_co_ci_u32_e64 v6, null, v6, v13, vcc_lo
	s_branch .LBB6_229
.LBB6_228:                              ;   in Loop: Header=BB6_229 Depth=1
	s_wait_alu 0xfffe
	s_or_b32 exec_lo, exec_lo, s2
	v_add_nc_u32_e32 v0, v0, v23
	v_add_co_u32 v5, s2, v5, v10
	s_wait_alu 0xf1ff
	v_add_co_ci_u32_e64 v6, null, v6, v11, s2
	s_delay_alu instid0(VALU_DEP_3)
	v_cmp_ge_i32_e32 vcc_lo, v0, v18
	s_or_b32 s4, vcc_lo, s4
	s_wait_alu 0xfffe
	s_and_not1_b32 exec_lo, exec_lo, s4
	s_cbranch_execz .LBB6_231
.LBB6_229:                              ; =>This Inner Loop Header: Depth=1
	flat_load_b32 v3, v[5:6]
	s_mov_b32 s2, exec_lo
	s_wait_loadcnt_dscnt 0x0
	v_cmpx_neq_f32_e32 0, v3
	s_cbranch_execz .LBB6_228
; %bb.230:                              ;   in Loop: Header=BB6_229 Depth=1
	flat_atomic_add_u32 v[21:22], v1 scope:SCOPE_DEV
	s_branch .LBB6_228
.LBB6_231:
	s_wait_alu 0xfffe
	s_or_b32 exec_lo, exec_lo, s3
	v_cmp_lt_i32_e32 vcc_lo, 1, v2
	s_mov_b32 s2, 1
	s_and_b32 s1, s1, vcc_lo
	s_wait_alu 0xfffe
	s_and_saveexec_b32 s4, s1
	s_cbranch_execz .LBB6_245
; %bb.232:
	v_add_co_u32 v0, vcc_lo, v20, 4
	s_wait_alu 0xfffd
	v_add_co_ci_u32_e64 v1, null, 0, v4, vcc_lo
	v_mov_b32_e32 v3, 0
	s_mov_b32 s5, 0
	s_branch .LBB6_234
.LBB6_233:                              ;   in Loop: Header=BB6_234 Depth=1
	s_add_co_i32 s2, s2, 1
	v_add_co_u32 v0, s1, v0, 4
	s_wait_alu 0xfffe
	v_cmp_eq_u32_e32 vcc_lo, s2, v2
	s_wait_alu 0xf1ff
	v_add_co_ci_u32_e64 v1, null, 0, v1, s1
	s_wait_storecnt 0x0
	s_wait_loadcnt_dscnt 0x0
	s_barrier_signal -1
	s_or_b32 s5, vcc_lo, s5
	s_barrier_wait -1
	global_inv scope:SCOPE_SE
	s_wait_alu 0xfffe
	s_and_not1_b32 exec_lo, exec_lo, s5
	s_cbranch_execz .LBB6_245
.LBB6_234:                              ; =>This Loop Header: Depth=1
                                        ;     Child Loop BB6_237 Depth 2
                                        ;     Child Loop BB6_243 Depth 2
	s_and_saveexec_b32 s6, s0
	s_cbranch_execz .LBB6_241
; %bb.235:                              ;   in Loop: Header=BB6_234 Depth=1
	s_ashr_i32 s3, s2, 31
	v_dual_mov_b32 v13, v1 :: v_dual_mov_b32 v12, v0
	s_wait_alu 0xfffe
	s_lshl_b64 s[8:9], s[2:3], 2
	s_add_co_i32 s3, s2, -1
	s_wait_alu 0xfffe
	v_add_co_u32 v5, vcc_lo, v20, s8
	s_wait_alu 0xfffd
	v_add_co_ci_u32_e64 v6, null, s9, v4, vcc_lo
	v_dual_mov_b32 v10, s3 :: v_dual_mov_b32 v11, s3
	s_mov_b32 s7, 0
	flat_load_b32 v14, v[5:6] offset:-4
	s_mov_b32 s8, s2
	ds_store_b64 v3, v[10:11]
	s_wait_loadcnt_dscnt 0x1
	ds_store_b32 v3, v14 offset:8
	s_branch .LBB6_237
.LBB6_236:                              ;   in Loop: Header=BB6_237 Depth=2
	s_wait_alu 0xfffe
	s_or_b32 exec_lo, exec_lo, s1
	s_add_co_i32 s8, s8, 1
	v_add_co_u32 v12, s1, v12, 4
	s_wait_alu 0xfffe
	v_cmp_eq_u32_e32 vcc_lo, s8, v2
	s_wait_alu 0xf1ff
	v_add_co_ci_u32_e64 v13, null, 0, v13, s1
	s_or_b32 s7, vcc_lo, s7
	s_wait_alu 0xfffe
	s_and_not1_b32 exec_lo, exec_lo, s7
	s_cbranch_execz .LBB6_239
.LBB6_237:                              ;   Parent Loop BB6_234 Depth=1
                                        ; =>  This Inner Loop Header: Depth=2
	flat_load_b32 v11, v[12:13]
	s_mov_b32 s1, exec_lo
	s_wait_loadcnt_dscnt 0x0
	v_cmpx_lt_f32_e32 v11, v14
	s_cbranch_execz .LBB6_236
; %bb.238:                              ;   in Loop: Header=BB6_237 Depth=2
	s_wait_alu 0xfffe
	v_mov_b32_e32 v10, s8
	v_mov_b32_e32 v14, v11
	ds_store_2addr_b32 v3, v10, v11 offset0:1 offset1:2
	s_branch .LBB6_236
.LBB6_239:                              ;   in Loop: Header=BB6_234 Depth=1
	s_or_b32 exec_lo, exec_lo, s7
	v_cmp_ne_u32_e32 vcc_lo, s3, v10
	s_and_b32 exec_lo, exec_lo, vcc_lo
	s_cbranch_execz .LBB6_241
; %bb.240:                              ;   in Loop: Header=BB6_234 Depth=1
	flat_load_b32 v12, v[5:6] offset:-4
	v_ashrrev_i32_e32 v11, 31, v10
	s_delay_alu instid0(VALU_DEP_1) | instskip(NEXT) | instid1(VALU_DEP_1)
	v_lshlrev_b64_e32 v[10:11], 2, v[10:11]
	v_add_co_u32 v10, vcc_lo, v20, v10
	s_wait_alu 0xfffd
	s_delay_alu instid0(VALU_DEP_2)
	v_add_co_ci_u32_e64 v11, null, v4, v11, vcc_lo
	s_wait_loadcnt_dscnt 0x0
	flat_store_b32 v[10:11], v12
	ds_load_b32 v10, v3 offset:8
	s_wait_dscnt 0x0
	flat_store_b32 v[5:6], v10 offset:-4
.LBB6_241:                              ;   in Loop: Header=BB6_234 Depth=1
	s_wait_alu 0xfffe
	s_or_b32 exec_lo, exec_lo, s6
	s_wait_storecnt 0x0
	s_wait_loadcnt_dscnt 0x0
	s_barrier_signal -1
	s_barrier_wait -1
	global_inv scope:SCOPE_SE
	ds_load_b64 v[5:6], v3
	s_wait_dscnt 0x0
	v_cmp_eq_u32_e32 vcc_lo, v6, v5
	s_cbranch_vccnz .LBB6_233
; %bb.242:                              ;   in Loop: Header=BB6_234 Depth=1
	v_mul_lo_u32 v10, v6, v9
	v_mul_lo_u32 v5, v5, v9
	s_mov_b32 s3, 0
	s_delay_alu instid0(VALU_DEP_2) | instskip(NEXT) | instid1(VALU_DEP_2)
	v_ashrrev_i32_e32 v11, 31, v10
	v_ashrrev_i32_e32 v6, 31, v5
	s_delay_alu instid0(VALU_DEP_2) | instskip(NEXT) | instid1(VALU_DEP_2)
	v_lshlrev_b64_e32 v[10:11], 2, v[10:11]
	v_lshlrev_b64_e32 v[12:13], 2, v[5:6]
	s_delay_alu instid0(VALU_DEP_2) | instskip(SKIP_1) | instid1(VALU_DEP_3)
	v_add_co_u32 v5, vcc_lo, v7, v10
	s_wait_alu 0xfffd
	v_add_co_ci_u32_e64 v6, null, v8, v11, vcc_lo
	s_delay_alu instid0(VALU_DEP_3)
	v_add_co_u32 v10, vcc_lo, v7, v12
	s_wait_alu 0xfffd
	v_add_co_ci_u32_e64 v11, null, v8, v13, vcc_lo
	v_mov_b32_e32 v12, v2
.LBB6_243:                              ;   Parent Loop BB6_234 Depth=1
                                        ; =>  This Inner Loop Header: Depth=2
	flat_load_b32 v13, v[5:6]
	flat_load_b32 v14, v[10:11]
	v_add_nc_u32_e32 v12, -1, v12
	s_wait_loadcnt_dscnt 0x101
	flat_store_b32 v[10:11], v13
	s_wait_loadcnt_dscnt 0x1
	flat_store_b32 v[5:6], v14
	v_add_co_u32 v5, s1, v5, 4
	v_cmp_eq_u32_e32 vcc_lo, 0, v12
	s_wait_alu 0xf1ff
	v_add_co_ci_u32_e64 v6, null, 0, v6, s1
	v_add_co_u32 v10, s1, v10, 4
	s_wait_alu 0xf1ff
	v_add_co_ci_u32_e64 v11, null, 0, v11, s1
	s_wait_alu 0xfffe
	s_or_b32 s3, vcc_lo, s3
	s_wait_alu 0xfffe
	s_and_not1_b32 exec_lo, exec_lo, s3
	s_cbranch_execnz .LBB6_243
; %bb.244:                              ;   in Loop: Header=BB6_234 Depth=1
	s_or_b32 exec_lo, exec_lo, s3
	s_branch .LBB6_233
.LBB6_245:
	s_wait_alu 0xfffe
	s_or_b32 exec_lo, exec_lo, s4
	s_wait_loadcnt_dscnt 0x0
	s_setpc_b64 s[30:31]
.Lfunc_end6:
	.size	_ZN9rocsolver6v331009run_steqrIffEEviiiPT0_S3_PT_iPiS3_iS2_S2_S2_b, .Lfunc_end6-_ZN9rocsolver6v331009run_steqrIffEEviiiPT0_S3_PT_iPiS3_iS2_S2_S2_b
                                        ; -- End function
	.set .L_ZN9rocsolver6v331009run_steqrIffEEviiiPT0_S3_PT_iPiS3_iS2_S2_S2_b.num_vgpr, 180
	.set .L_ZN9rocsolver6v331009run_steqrIffEEviiiPT0_S3_PT_iPiS3_iS2_S2_S2_b.num_agpr, 0
	.set .L_ZN9rocsolver6v331009run_steqrIffEEviiiPT0_S3_PT_iPiS3_iS2_S2_S2_b.numbered_sgpr, 32
	.set .L_ZN9rocsolver6v331009run_steqrIffEEviiiPT0_S3_PT_iPiS3_iS2_S2_S2_b.num_named_barrier, 0
	.set .L_ZN9rocsolver6v331009run_steqrIffEEviiiPT0_S3_PT_iPiS3_iS2_S2_S2_b.private_seg_size, 0
	.set .L_ZN9rocsolver6v331009run_steqrIffEEviiiPT0_S3_PT_iPiS3_iS2_S2_S2_b.uses_vcc, 1
	.set .L_ZN9rocsolver6v331009run_steqrIffEEviiiPT0_S3_PT_iPiS3_iS2_S2_S2_b.uses_flat_scratch, 1
	.set .L_ZN9rocsolver6v331009run_steqrIffEEviiiPT0_S3_PT_iPiS3_iS2_S2_S2_b.has_dyn_sized_stack, 0
	.set .L_ZN9rocsolver6v331009run_steqrIffEEviiiPT0_S3_PT_iPiS3_iS2_S2_S2_b.has_recursion, 0
	.set .L_ZN9rocsolver6v331009run_steqrIffEEviiiPT0_S3_PT_iPiS3_iS2_S2_S2_b.has_indirect_call, 0
	.section	.AMDGPU.csdata,"",@progbits
; Function info:
; codeLenInByte = 18052
; TotalNumSgprs: 34
; NumVgprs: 180
; ScratchSize: 0
; MemoryBound: 0
	.section	.text._ZN9rocsolver6v33100L12steqr_kernelIffPfEEviPT0_lS4_lT1_iilPiS4_iS3_S3_S3_,"axG",@progbits,_ZN9rocsolver6v33100L12steqr_kernelIffPfEEviPT0_lS4_lT1_iilPiS4_iS3_S3_S3_,comdat
	.globl	_ZN9rocsolver6v33100L12steqr_kernelIffPfEEviPT0_lS4_lT1_iilPiS4_iS3_S3_S3_ ; -- Begin function _ZN9rocsolver6v33100L12steqr_kernelIffPfEEviPT0_lS4_lT1_iilPiS4_iS3_S3_S3_
	.p2align	8
	.type	_ZN9rocsolver6v33100L12steqr_kernelIffPfEEviPT0_lS4_lT1_iilPiS4_iS3_S3_S3_,@function
_ZN9rocsolver6v33100L12steqr_kernelIffPfEEviPT0_lS4_lT1_iilPiS4_iS3_S3_S3_: ; @_ZN9rocsolver6v33100L12steqr_kernelIffPfEEviPT0_lS4_lT1_iilPiS4_iS3_S3_S3_
; %bb.0:
	s_clause 0x6
	s_load_b32 s28, s[0:1], 0x6c
	s_load_b32 s33, s[0:1], 0x0
	s_load_b256 s[12:19], s[0:1], 0x8
	s_load_b256 s[4:11], s[0:1], 0x28
	s_load_b32 s29, s[0:1], 0x60
	s_load_b64 s[24:25], s[0:1], 0x48
	s_load_b128 s[20:23], s[0:1], 0x50
	s_mov_b32 s2, ttmp7
	s_ashr_i32 s3, ttmp7, 31
	s_mov_b32 s32, 0
	s_lshl_b64 s[26:27], s[2:3], 2
	v_mov_b32_e32 v18, 1
	s_wait_kmcnt 0x0
	s_and_b32 s34, s28, 0xffff
	s_lshl_b32 s28, s33, 1
	s_mul_u64 s[14:15], s[14:15], s[2:3]
	s_ashr_i32 s31, s6, 31
	s_mov_b32 s30, s6
	s_mul_u64 s[8:9], s[8:9], s[2:3]
	s_mul_i32 s6, s29, s34
	s_ashr_i32 s29, s28, 31
	s_mul_u64 s[18:19], s[18:19], s[2:3]
	s_lshl_b64 s[8:9], s[8:9], 2
	s_mul_u64 s[2:3], s[28:29], s[2:3]
	s_lshl_b64 s[14:15], s[14:15], 2
	s_lshl_b64 s[18:19], s[18:19], 2
	;; [unrolled: 1-line block ×3, first 2 shown]
	s_add_nc_u64 s[4:5], s[4:5], s[8:9]
	s_lshl_b64 s[2:3], s[2:3], 2
	v_mad_co_u64_u32 v[0:1], null, ttmp9, s34, v[0:1]
	s_add_nc_u64 s[12:13], s[12:13], s[14:15]
	s_add_nc_u64 s[14:15], s[16:17], s[18:19]
	;; [unrolled: 1-line block ×5, first 2 shown]
	v_dual_mov_b32 v1, s6 :: v_dual_mov_b32 v2, s33
	v_dual_mov_b32 v3, s12 :: v_dual_mov_b32 v4, s13
	;; [unrolled: 1-line block ×8, first 2 shown]
	v_mov_b32_e32 v17, s23
	s_add_nc_u64 s[8:9], s[0:1], 0x60
	s_getpc_b64 s[0:1]
	s_wait_alu 0xfffe
	s_sext_i32_i16 s1, s1
	s_add_co_u32 s0, s0, _ZN9rocsolver6v331009run_steqrIffEEviiiPT0_S3_PT_iPiS3_iS2_S2_S2_b@rel32@lo+12
	s_wait_alu 0xfffe
	s_add_co_ci_u32 s1, s1, _ZN9rocsolver6v331009run_steqrIffEEviiiPT0_S3_PT_iPiS3_iS2_S2_S2_b@rel32@hi+24
	s_wait_alu 0xfffe
	s_swappc_b64 s[30:31], s[0:1]
	s_endpgm
	.section	.rodata,"a",@progbits
	.p2align	6, 0x0
	.amdhsa_kernel _ZN9rocsolver6v33100L12steqr_kernelIffPfEEviPT0_lS4_lT1_iilPiS4_iS3_S3_S3_
		.amdhsa_group_segment_fixed_size 36
		.amdhsa_private_segment_fixed_size 0
		.amdhsa_kernarg_size 352
		.amdhsa_user_sgpr_count 2
		.amdhsa_user_sgpr_dispatch_ptr 0
		.amdhsa_user_sgpr_queue_ptr 0
		.amdhsa_user_sgpr_kernarg_segment_ptr 1
		.amdhsa_user_sgpr_dispatch_id 0
		.amdhsa_user_sgpr_private_segment_size 0
		.amdhsa_wavefront_size32 1
		.amdhsa_uses_dynamic_stack 0
		.amdhsa_enable_private_segment 0
		.amdhsa_system_sgpr_workgroup_id_x 1
		.amdhsa_system_sgpr_workgroup_id_y 1
		.amdhsa_system_sgpr_workgroup_id_z 0
		.amdhsa_system_sgpr_workgroup_info 0
		.amdhsa_system_vgpr_workitem_id 0
		.amdhsa_next_free_vgpr 180
		.amdhsa_next_free_sgpr 35
		.amdhsa_reserve_vcc 1
		.amdhsa_float_round_mode_32 0
		.amdhsa_float_round_mode_16_64 0
		.amdhsa_float_denorm_mode_32 3
		.amdhsa_float_denorm_mode_16_64 3
		.amdhsa_fp16_overflow 0
		.amdhsa_workgroup_processor_mode 1
		.amdhsa_memory_ordered 1
		.amdhsa_forward_progress 1
		.amdhsa_inst_pref_size 3
		.amdhsa_round_robin_scheduling 0
		.amdhsa_exception_fp_ieee_invalid_op 0
		.amdhsa_exception_fp_denorm_src 0
		.amdhsa_exception_fp_ieee_div_zero 0
		.amdhsa_exception_fp_ieee_overflow 0
		.amdhsa_exception_fp_ieee_underflow 0
		.amdhsa_exception_fp_ieee_inexact 0
		.amdhsa_exception_int_div_zero 0
	.end_amdhsa_kernel
	.section	.text._ZN9rocsolver6v33100L12steqr_kernelIffPfEEviPT0_lS4_lT1_iilPiS4_iS3_S3_S3_,"axG",@progbits,_ZN9rocsolver6v33100L12steqr_kernelIffPfEEviPT0_lS4_lT1_iilPiS4_iS3_S3_S3_,comdat
.Lfunc_end7:
	.size	_ZN9rocsolver6v33100L12steqr_kernelIffPfEEviPT0_lS4_lT1_iilPiS4_iS3_S3_S3_, .Lfunc_end7-_ZN9rocsolver6v33100L12steqr_kernelIffPfEEviPT0_lS4_lT1_iilPiS4_iS3_S3_S3_
                                        ; -- End function
	.set _ZN9rocsolver6v33100L12steqr_kernelIffPfEEviPT0_lS4_lT1_iilPiS4_iS3_S3_S3_.num_vgpr, max(19, .L_ZN9rocsolver6v331009run_steqrIffEEviiiPT0_S3_PT_iPiS3_iS2_S2_S2_b.num_vgpr)
	.set _ZN9rocsolver6v33100L12steqr_kernelIffPfEEviPT0_lS4_lT1_iilPiS4_iS3_S3_S3_.num_agpr, max(0, .L_ZN9rocsolver6v331009run_steqrIffEEviiiPT0_S3_PT_iPiS3_iS2_S2_S2_b.num_agpr)
	.set _ZN9rocsolver6v33100L12steqr_kernelIffPfEEviPT0_lS4_lT1_iilPiS4_iS3_S3_S3_.numbered_sgpr, max(35, .L_ZN9rocsolver6v331009run_steqrIffEEviiiPT0_S3_PT_iPiS3_iS2_S2_S2_b.numbered_sgpr)
	.set _ZN9rocsolver6v33100L12steqr_kernelIffPfEEviPT0_lS4_lT1_iilPiS4_iS3_S3_S3_.num_named_barrier, max(0, .L_ZN9rocsolver6v331009run_steqrIffEEviiiPT0_S3_PT_iPiS3_iS2_S2_S2_b.num_named_barrier)
	.set _ZN9rocsolver6v33100L12steqr_kernelIffPfEEviPT0_lS4_lT1_iilPiS4_iS3_S3_S3_.private_seg_size, 0+max(.L_ZN9rocsolver6v331009run_steqrIffEEviiiPT0_S3_PT_iPiS3_iS2_S2_S2_b.private_seg_size)
	.set _ZN9rocsolver6v33100L12steqr_kernelIffPfEEviPT0_lS4_lT1_iilPiS4_iS3_S3_S3_.uses_vcc, or(1, .L_ZN9rocsolver6v331009run_steqrIffEEviiiPT0_S3_PT_iPiS3_iS2_S2_S2_b.uses_vcc)
	.set _ZN9rocsolver6v33100L12steqr_kernelIffPfEEviPT0_lS4_lT1_iilPiS4_iS3_S3_S3_.uses_flat_scratch, or(0, .L_ZN9rocsolver6v331009run_steqrIffEEviiiPT0_S3_PT_iPiS3_iS2_S2_S2_b.uses_flat_scratch)
	.set _ZN9rocsolver6v33100L12steqr_kernelIffPfEEviPT0_lS4_lT1_iilPiS4_iS3_S3_S3_.has_dyn_sized_stack, or(0, .L_ZN9rocsolver6v331009run_steqrIffEEviiiPT0_S3_PT_iPiS3_iS2_S2_S2_b.has_dyn_sized_stack)
	.set _ZN9rocsolver6v33100L12steqr_kernelIffPfEEviPT0_lS4_lT1_iilPiS4_iS3_S3_S3_.has_recursion, or(0, .L_ZN9rocsolver6v331009run_steqrIffEEviiiPT0_S3_PT_iPiS3_iS2_S2_S2_b.has_recursion)
	.set _ZN9rocsolver6v33100L12steqr_kernelIffPfEEviPT0_lS4_lT1_iilPiS4_iS3_S3_S3_.has_indirect_call, or(0, .L_ZN9rocsolver6v331009run_steqrIffEEviiiPT0_S3_PT_iPiS3_iS2_S2_S2_b.has_indirect_call)
	.section	.AMDGPU.csdata,"",@progbits
; Kernel info:
; codeLenInByte = 300
; TotalNumSgprs: 37
; NumVgprs: 180
; ScratchSize: 0
; MemoryBound: 0
; FloatMode: 240
; IeeeMode: 1
; LDSByteSize: 36 bytes/workgroup (compile time only)
; SGPRBlocks: 0
; VGPRBlocks: 22
; NumSGPRsForWavesPerEU: 37
; NumVGPRsForWavesPerEU: 180
; Occupancy: 8
; WaveLimiterHint : 0
; COMPUTE_PGM_RSRC2:SCRATCH_EN: 0
; COMPUTE_PGM_RSRC2:USER_SGPR: 2
; COMPUTE_PGM_RSRC2:TRAP_HANDLER: 0
; COMPUTE_PGM_RSRC2:TGID_X_EN: 1
; COMPUTE_PGM_RSRC2:TGID_Y_EN: 1
; COMPUTE_PGM_RSRC2:TGID_Z_EN: 0
; COMPUTE_PGM_RSRC2:TIDIG_COMP_CNT: 0
	.section	.text._ZN9rocsolver6v33100L10init_identIfPfEEviiT0_iil,"axG",@progbits,_ZN9rocsolver6v33100L10init_identIfPfEEviiT0_iil,comdat
	.globl	_ZN9rocsolver6v33100L10init_identIfPfEEviiT0_iil ; -- Begin function _ZN9rocsolver6v33100L10init_identIfPfEEviiT0_iil
	.p2align	8
	.type	_ZN9rocsolver6v33100L10init_identIfPfEEviiT0_iil,@function
_ZN9rocsolver6v33100L10init_identIfPfEEviiT0_iil: ; @_ZN9rocsolver6v33100L10init_identIfPfEEviiT0_iil
; %bb.0:
	s_clause 0x1
	s_load_b32 s4, s[0:1], 0x2c
	s_load_b64 s[2:3], s[0:1], 0x0
	v_and_b32_e32 v1, 0x3ff, v0
	v_bfe_u32 v0, v0, 10, 10
	s_and_b32 s5, ttmp7, 0xffff
	s_wait_kmcnt 0x0
	s_lshr_b32 s6, s4, 16
	s_and_b32 s4, s4, 0xffff
	s_delay_alu instid0(SALU_CYCLE_1) | instskip(SKIP_1) | instid1(VALU_DEP_2)
	v_mad_co_u64_u32 v[2:3], null, ttmp9, s4, v[1:2]
	v_mad_co_u64_u32 v[3:4], null, s5, s6, v[0:1]
	v_cmp_gt_u32_e32 vcc_lo, s2, v2
	s_delay_alu instid0(VALU_DEP_2)
	v_cmp_gt_u32_e64 s2, s3, v3
	s_and_b32 s2, vcc_lo, s2
	s_wait_alu 0xfffe
	s_and_saveexec_b32 s3, s2
	s_cbranch_execz .LBB8_6
; %bb.1:
	s_load_b64 s[2:3], s[0:1], 0x10
	s_mov_b32 s4, exec_lo
                                        ; implicit-def: $vgpr0
	v_cmpx_ne_u32_e64 v2, v3
	s_wait_alu 0xfffe
	s_xor_b32 s4, exec_lo, s4
	s_cbranch_execz .LBB8_3
; %bb.2:
	s_wait_kmcnt 0x0
	v_mad_co_u64_u32 v[0:1], null, v3, s3, v[2:3]
                                        ; implicit-def: $vgpr2_vgpr3
.LBB8_3:
	s_wait_alu 0xfffe
	s_or_saveexec_b32 s4, s4
	v_mov_b32_e32 v1, 0
	v_mov_b32_e32 v3, 0
	s_wait_alu 0xfffe
	s_xor_b32 exec_lo, exec_lo, s4
	s_cbranch_execz .LBB8_5
; %bb.4:
	s_wait_kmcnt 0x0
	v_mad_co_u64_u32 v[2:3], null, v2, s3, v[2:3]
	s_delay_alu instid0(VALU_DEP_1)
	v_dual_mov_b32 v3, 1.0 :: v_dual_mov_b32 v0, v2
.LBB8_5:
	s_or_b32 exec_lo, exec_lo, s4
	s_clause 0x1
	s_load_b64 s[4:5], s[0:1], 0x18
	s_load_b64 s[0:1], s[0:1], 0x8
	s_mov_b32 s7, 0
	s_lshr_b32 s6, ttmp7, 16
	s_wait_kmcnt 0x0
	s_ashr_i32 s3, s2, 31
	v_lshlrev_b64_e32 v[0:1], 2, v[0:1]
	s_wait_alu 0xfffe
	s_lshl_b64 s[2:3], s[2:3], 2
	s_mul_u64 s[4:5], s[4:5], s[6:7]
	s_wait_alu 0xfffe
	s_lshl_b64 s[4:5], s[4:5], 2
	s_wait_alu 0xfffe
	s_add_nc_u64 s[0:1], s[0:1], s[4:5]
	s_wait_alu 0xfffe
	s_add_nc_u64 s[0:1], s[0:1], s[2:3]
	s_wait_alu 0xfffe
	v_add_co_u32 v0, vcc_lo, s0, v0
	s_delay_alu instid0(VALU_DEP_1)
	v_add_co_ci_u32_e64 v1, null, s1, v1, vcc_lo
	global_store_b32 v[0:1], v3, off
.LBB8_6:
	s_endpgm
	.section	.rodata,"a",@progbits
	.p2align	6, 0x0
	.amdhsa_kernel _ZN9rocsolver6v33100L10init_identIfPfEEviiT0_iil
		.amdhsa_group_segment_fixed_size 0
		.amdhsa_private_segment_fixed_size 0
		.amdhsa_kernarg_size 288
		.amdhsa_user_sgpr_count 2
		.amdhsa_user_sgpr_dispatch_ptr 0
		.amdhsa_user_sgpr_queue_ptr 0
		.amdhsa_user_sgpr_kernarg_segment_ptr 1
		.amdhsa_user_sgpr_dispatch_id 0
		.amdhsa_user_sgpr_private_segment_size 0
		.amdhsa_wavefront_size32 1
		.amdhsa_uses_dynamic_stack 0
		.amdhsa_enable_private_segment 0
		.amdhsa_system_sgpr_workgroup_id_x 1
		.amdhsa_system_sgpr_workgroup_id_y 1
		.amdhsa_system_sgpr_workgroup_id_z 1
		.amdhsa_system_sgpr_workgroup_info 0
		.amdhsa_system_vgpr_workitem_id 1
		.amdhsa_next_free_vgpr 5
		.amdhsa_next_free_sgpr 8
		.amdhsa_reserve_vcc 1
		.amdhsa_float_round_mode_32 0
		.amdhsa_float_round_mode_16_64 0
		.amdhsa_float_denorm_mode_32 3
		.amdhsa_float_denorm_mode_16_64 3
		.amdhsa_fp16_overflow 0
		.amdhsa_workgroup_processor_mode 1
		.amdhsa_memory_ordered 1
		.amdhsa_forward_progress 1
		.amdhsa_inst_pref_size 3
		.amdhsa_round_robin_scheduling 0
		.amdhsa_exception_fp_ieee_invalid_op 0
		.amdhsa_exception_fp_denorm_src 0
		.amdhsa_exception_fp_ieee_div_zero 0
		.amdhsa_exception_fp_ieee_overflow 0
		.amdhsa_exception_fp_ieee_underflow 0
		.amdhsa_exception_fp_ieee_inexact 0
		.amdhsa_exception_int_div_zero 0
	.end_amdhsa_kernel
	.section	.text._ZN9rocsolver6v33100L10init_identIfPfEEviiT0_iil,"axG",@progbits,_ZN9rocsolver6v33100L10init_identIfPfEEviiT0_iil,comdat
.Lfunc_end8:
	.size	_ZN9rocsolver6v33100L10init_identIfPfEEviiT0_iil, .Lfunc_end8-_ZN9rocsolver6v33100L10init_identIfPfEEviiT0_iil
                                        ; -- End function
	.set _ZN9rocsolver6v33100L10init_identIfPfEEviiT0_iil.num_vgpr, 5
	.set _ZN9rocsolver6v33100L10init_identIfPfEEviiT0_iil.num_agpr, 0
	.set _ZN9rocsolver6v33100L10init_identIfPfEEviiT0_iil.numbered_sgpr, 8
	.set _ZN9rocsolver6v33100L10init_identIfPfEEviiT0_iil.num_named_barrier, 0
	.set _ZN9rocsolver6v33100L10init_identIfPfEEviiT0_iil.private_seg_size, 0
	.set _ZN9rocsolver6v33100L10init_identIfPfEEviiT0_iil.uses_vcc, 1
	.set _ZN9rocsolver6v33100L10init_identIfPfEEviiT0_iil.uses_flat_scratch, 0
	.set _ZN9rocsolver6v33100L10init_identIfPfEEviiT0_iil.has_dyn_sized_stack, 0
	.set _ZN9rocsolver6v33100L10init_identIfPfEEviiT0_iil.has_recursion, 0
	.set _ZN9rocsolver6v33100L10init_identIfPfEEviiT0_iil.has_indirect_call, 0
	.section	.AMDGPU.csdata,"",@progbits
; Kernel info:
; codeLenInByte = 328
; TotalNumSgprs: 10
; NumVgprs: 5
; ScratchSize: 0
; MemoryBound: 0
; FloatMode: 240
; IeeeMode: 1
; LDSByteSize: 0 bytes/workgroup (compile time only)
; SGPRBlocks: 0
; VGPRBlocks: 0
; NumSGPRsForWavesPerEU: 10
; NumVGPRsForWavesPerEU: 5
; Occupancy: 16
; WaveLimiterHint : 0
; COMPUTE_PGM_RSRC2:SCRATCH_EN: 0
; COMPUTE_PGM_RSRC2:USER_SGPR: 2
; COMPUTE_PGM_RSRC2:TRAP_HANDLER: 0
; COMPUTE_PGM_RSRC2:TGID_X_EN: 1
; COMPUTE_PGM_RSRC2:TGID_Y_EN: 1
; COMPUTE_PGM_RSRC2:TGID_Z_EN: 1
; COMPUTE_PGM_RSRC2:TIDIG_COMP_CNT: 1
	.section	.text._ZN9rocsolver6v33100L19stedc_divide_kernelIfEEviiiPT_lS3_liPi,"axG",@progbits,_ZN9rocsolver6v33100L19stedc_divide_kernelIfEEviiiPT_lS3_liPi,comdat
	.globl	_ZN9rocsolver6v33100L19stedc_divide_kernelIfEEviiiPT_lS3_liPi ; -- Begin function _ZN9rocsolver6v33100L19stedc_divide_kernelIfEEviiiPT_lS3_liPi
	.p2align	8
	.type	_ZN9rocsolver6v33100L19stedc_divide_kernelIfEEviiiPT_lS3_liPi,@function
_ZN9rocsolver6v33100L19stedc_divide_kernelIfEEviiiPT_lS3_liPi: ; @_ZN9rocsolver6v33100L19stedc_divide_kernelIfEEviiiPT_lS3_liPi
; %bb.0:
	s_clause 0x1
	s_load_b32 s2, s[0:1], 0x4c
	s_load_b32 s3, s[0:1], 0x30
	s_wait_kmcnt 0x0
	s_and_b32 s2, s2, 0xffff
	s_delay_alu instid0(SALU_CYCLE_1)
	v_mad_co_u64_u32 v[2:3], null, ttmp9, s2, v[0:1]
	s_mov_b32 s2, exec_lo
	v_cmpx_gt_i32_e64 s3, v2
	s_cbranch_execz .LBB9_10
; %bb.1:
	s_clause 0x1
	s_load_b96 s[4:6], s[0:1], 0x0
	s_load_b64 s[2:3], s[0:1], 0x38
	s_wait_kmcnt 0x0
	s_mul_i32 s7, s6, 13
	v_mov_b32_e32 v3, s6
	v_mul_lo_u32 v0, s7, v2
	s_cmp_lt_i32 s4, 1
	s_delay_alu instid0(VALU_DEP_1) | instskip(NEXT) | instid1(VALU_DEP_1)
	v_ashrrev_i32_e32 v1, 31, v0
	v_lshlrev_b64_e32 v[0:1], 2, v[0:1]
	s_delay_alu instid0(VALU_DEP_1) | instskip(NEXT) | instid1(VALU_DEP_1)
	v_add_co_u32 v0, vcc_lo, s2, v0
	v_add_co_ci_u32_e64 v1, null, s3, v1, vcc_lo
	global_store_b32 v[0:1], v3, off
	s_cbranch_scc1 .LBB9_7
; %bb.2:
	v_add_co_u32 v5, vcc_lo, v0, -4
	s_wait_alu 0xfffd
	v_add_co_ci_u32_e64 v6, null, -1, v1, vcc_lo
	s_mov_b32 s9, 0
	s_mov_b32 s3, 0
	s_branch .LBB9_4
.LBB9_3:                                ;   in Loop: Header=BB9_4 Depth=1
	s_add_co_i32 s3, s3, 1
	s_wait_alu 0xfffe
	s_cmp_eq_u32 s3, s4
	s_cbranch_scc1 .LBB9_7
.LBB9_4:                                ; =>This Loop Header: Depth=1
                                        ;     Child Loop BB9_6 Depth 2
	s_wait_alu 0xfffe
	s_cmp_eq_u32 s3, 31
	s_cbranch_scc1 .LBB9_3
; %bb.5:                                ;   in Loop: Header=BB9_4 Depth=1
	s_lshl_b32 s8, 1, s3
	s_delay_alu instid0(SALU_CYCLE_1)
	s_lshl_b64 s[10:11], s[8:9], 2
	s_add_co_i32 s7, s8, 1
	s_wait_alu 0xfffe
	v_add_co_u32 v3, vcc_lo, v5, s10
	s_wait_alu 0xfffd
	v_add_co_ci_u32_e64 v4, null, s11, v6, vcc_lo
	s_lshl_b32 s8, s8, 1
.LBB9_6:                                ;   Parent Loop BB9_4 Depth=1
                                        ; =>  This Inner Loop Header: Depth=2
	global_load_b32 v7, v[3:4], off
	s_lshl_b64 s[10:11], s[8:9], 2
	v_add_co_u32 v3, vcc_lo, v3, -4
	s_wait_alu 0xfffe
	v_add_co_u32 v9, s2, v0, s10
	s_wait_alu 0xf1ff
	v_add_co_ci_u32_e64 v10, null, s11, v1, s2
	s_wait_alu 0xfffd
	v_add_co_ci_u32_e64 v4, null, -1, v4, vcc_lo
	s_add_co_i32 s7, s7, -1
	s_add_co_i32 s8, s8, -2
	s_wait_alu 0xfffe
	s_cmp_lt_u32 s7, 2
	s_wait_loadcnt 0x0
	v_lshrrev_b32_e32 v8, 31, v7
	v_and_b32_e32 v11, 1, v7
	s_delay_alu instid0(VALU_DEP_2) | instskip(NEXT) | instid1(VALU_DEP_1)
	v_add_nc_u32_e32 v8, v7, v8
	v_ashrrev_i32_e32 v7, 1, v8
	s_delay_alu instid0(VALU_DEP_1)
	v_add_nc_u32_e32 v8, v7, v11
	global_store_b64 v[9:10], v[7:8], off offset:-8
	s_cbranch_scc0 .LBB9_6
	s_branch .LBB9_3
.LBB9_7:
	s_ashr_i32 s3, s6, 31
	s_mov_b32 s2, s6
	v_mov_b32_e32 v3, 0
	s_wait_alu 0xfffe
	s_lshl_b64 s[2:3], s[2:3], 2
	s_cmp_lt_i32 s5, 2
	s_wait_alu 0xfffe
	v_add_co_u32 v4, vcc_lo, v0, s2
	s_wait_alu 0xfffd
	v_add_co_ci_u32_e64 v5, null, s3, v1, vcc_lo
	global_store_b32 v[4:5], v3, off
	s_cbranch_scc1 .LBB9_10
; %bb.8:
	s_load_b256 s[8:15], s[0:1], 0x10
	v_ashrrev_i32_e32 v6, 31, v2
	s_add_co_i32 s4, s5, -1
	s_add_nc_u64 s[0:1], s[2:3], 4
	s_wait_kmcnt 0x0
	v_mul_lo_u32 v8, s11, v2
	v_mul_lo_u32 v9, s10, v6
	v_mad_co_u64_u32 v[4:5], null, s10, v2, 0
	v_mul_lo_u32 v10, s15, v2
	v_mul_lo_u32 v11, s14, v6
	v_mad_co_u64_u32 v[6:7], null, s14, v2, 0
	s_delay_alu instid0(VALU_DEP_4) | instskip(NEXT) | instid1(VALU_DEP_2)
	v_add3_u32 v5, v5, v9, v8
	v_add3_u32 v7, v7, v11, v10
	s_delay_alu instid0(VALU_DEP_2) | instskip(NEXT) | instid1(VALU_DEP_2)
	v_lshlrev_b64_e32 v[4:5], 2, v[4:5]
	v_lshlrev_b64_e32 v[6:7], 2, v[6:7]
	s_delay_alu instid0(VALU_DEP_2) | instskip(SKIP_1) | instid1(VALU_DEP_3)
	v_add_co_u32 v2, vcc_lo, s8, v4
	s_wait_alu 0xfffd
	v_add_co_ci_u32_e64 v5, null, s9, v5, vcc_lo
	s_delay_alu instid0(VALU_DEP_3)
	v_add_co_u32 v6, vcc_lo, s12, v6
	s_wait_alu 0xfffd
	v_add_co_ci_u32_e64 v7, null, s13, v7, vcc_lo
.LBB9_9:                                ; =>This Inner Loop Header: Depth=1
	global_load_b32 v4, v[0:1], off
	s_add_co_i32 s4, s4, -1
	s_delay_alu instid0(SALU_CYCLE_1) | instskip(SKIP_2) | instid1(VALU_DEP_1)
	s_cmp_lg_u32 s4, 0
	s_wait_loadcnt 0x0
	v_add_nc_u32_e32 v3, v4, v3
	v_ashrrev_i32_e32 v4, 31, v3
	s_delay_alu instid0(VALU_DEP_1) | instskip(NEXT) | instid1(VALU_DEP_1)
	v_lshlrev_b64_e32 v[8:9], 2, v[3:4]
	v_add_co_u32 v10, vcc_lo, v6, v8
	s_wait_alu 0xfffd
	s_delay_alu instid0(VALU_DEP_2)
	v_add_co_ci_u32_e64 v11, null, v7, v9, vcc_lo
	v_add_co_u32 v8, vcc_lo, v2, v8
	s_wait_alu 0xfffd
	v_add_co_ci_u32_e64 v9, null, v5, v9, vcc_lo
	global_load_b32 v4, v[10:11], off offset:-4
	global_load_b64 v[10:11], v[8:9], off offset:-4
	s_wait_alu 0xfffe
	v_add_co_u32 v12, vcc_lo, v0, s0
	s_wait_alu 0xfffd
	v_add_co_ci_u32_e64 v13, null, s1, v1, vcc_lo
	v_add_co_u32 v0, vcc_lo, v0, 4
	s_wait_alu 0xfffd
	v_add_co_ci_u32_e64 v1, null, 0, v1, vcc_lo
	s_wait_loadcnt 0x0
	v_sub_f32_e32 v11, v11, v4
	v_sub_f32_e32 v10, v10, v4
	global_store_b32 v[12:13], v3, off
	global_store_b64 v[8:9], v[10:11], off offset:-4
	s_cbranch_scc1 .LBB9_9
.LBB9_10:
	s_endpgm
	.section	.rodata,"a",@progbits
	.p2align	6, 0x0
	.amdhsa_kernel _ZN9rocsolver6v33100L19stedc_divide_kernelIfEEviiiPT_lS3_liPi
		.amdhsa_group_segment_fixed_size 0
		.amdhsa_private_segment_fixed_size 0
		.amdhsa_kernarg_size 320
		.amdhsa_user_sgpr_count 2
		.amdhsa_user_sgpr_dispatch_ptr 0
		.amdhsa_user_sgpr_queue_ptr 0
		.amdhsa_user_sgpr_kernarg_segment_ptr 1
		.amdhsa_user_sgpr_dispatch_id 0
		.amdhsa_user_sgpr_private_segment_size 0
		.amdhsa_wavefront_size32 1
		.amdhsa_uses_dynamic_stack 0
		.amdhsa_enable_private_segment 0
		.amdhsa_system_sgpr_workgroup_id_x 1
		.amdhsa_system_sgpr_workgroup_id_y 0
		.amdhsa_system_sgpr_workgroup_id_z 0
		.amdhsa_system_sgpr_workgroup_info 0
		.amdhsa_system_vgpr_workitem_id 0
		.amdhsa_next_free_vgpr 14
		.amdhsa_next_free_sgpr 16
		.amdhsa_reserve_vcc 1
		.amdhsa_float_round_mode_32 0
		.amdhsa_float_round_mode_16_64 0
		.amdhsa_float_denorm_mode_32 3
		.amdhsa_float_denorm_mode_16_64 3
		.amdhsa_fp16_overflow 0
		.amdhsa_workgroup_processor_mode 1
		.amdhsa_memory_ordered 1
		.amdhsa_forward_progress 1
		.amdhsa_inst_pref_size 7
		.amdhsa_round_robin_scheduling 0
		.amdhsa_exception_fp_ieee_invalid_op 0
		.amdhsa_exception_fp_denorm_src 0
		.amdhsa_exception_fp_ieee_div_zero 0
		.amdhsa_exception_fp_ieee_overflow 0
		.amdhsa_exception_fp_ieee_underflow 0
		.amdhsa_exception_fp_ieee_inexact 0
		.amdhsa_exception_int_div_zero 0
	.end_amdhsa_kernel
	.section	.text._ZN9rocsolver6v33100L19stedc_divide_kernelIfEEviiiPT_lS3_liPi,"axG",@progbits,_ZN9rocsolver6v33100L19stedc_divide_kernelIfEEviiiPT_lS3_liPi,comdat
.Lfunc_end9:
	.size	_ZN9rocsolver6v33100L19stedc_divide_kernelIfEEviiiPT_lS3_liPi, .Lfunc_end9-_ZN9rocsolver6v33100L19stedc_divide_kernelIfEEviiiPT_lS3_liPi
                                        ; -- End function
	.set _ZN9rocsolver6v33100L19stedc_divide_kernelIfEEviiiPT_lS3_liPi.num_vgpr, 14
	.set _ZN9rocsolver6v33100L19stedc_divide_kernelIfEEviiiPT_lS3_liPi.num_agpr, 0
	.set _ZN9rocsolver6v33100L19stedc_divide_kernelIfEEviiiPT_lS3_liPi.numbered_sgpr, 16
	.set _ZN9rocsolver6v33100L19stedc_divide_kernelIfEEviiiPT_lS3_liPi.num_named_barrier, 0
	.set _ZN9rocsolver6v33100L19stedc_divide_kernelIfEEviiiPT_lS3_liPi.private_seg_size, 0
	.set _ZN9rocsolver6v33100L19stedc_divide_kernelIfEEviiiPT_lS3_liPi.uses_vcc, 1
	.set _ZN9rocsolver6v33100L19stedc_divide_kernelIfEEviiiPT_lS3_liPi.uses_flat_scratch, 0
	.set _ZN9rocsolver6v33100L19stedc_divide_kernelIfEEviiiPT_lS3_liPi.has_dyn_sized_stack, 0
	.set _ZN9rocsolver6v33100L19stedc_divide_kernelIfEEviiiPT_lS3_liPi.has_recursion, 0
	.set _ZN9rocsolver6v33100L19stedc_divide_kernelIfEEviiiPT_lS3_liPi.has_indirect_call, 0
	.section	.AMDGPU.csdata,"",@progbits
; Kernel info:
; codeLenInByte = 800
; TotalNumSgprs: 18
; NumVgprs: 14
; ScratchSize: 0
; MemoryBound: 0
; FloatMode: 240
; IeeeMode: 1
; LDSByteSize: 0 bytes/workgroup (compile time only)
; SGPRBlocks: 0
; VGPRBlocks: 1
; NumSGPRsForWavesPerEU: 18
; NumVGPRsForWavesPerEU: 14
; Occupancy: 16
; WaveLimiterHint : 1
; COMPUTE_PGM_RSRC2:SCRATCH_EN: 0
; COMPUTE_PGM_RSRC2:USER_SGPR: 2
; COMPUTE_PGM_RSRC2:TRAP_HANDLER: 0
; COMPUTE_PGM_RSRC2:TGID_X_EN: 1
; COMPUTE_PGM_RSRC2:TGID_Y_EN: 0
; COMPUTE_PGM_RSRC2:TGID_Z_EN: 0
; COMPUTE_PGM_RSRC2:TIDIG_COMP_CNT: 0
	.section	.text._ZN9rocsolver6v33100L18stedc_solve_kernelIfEEviiPT_lS3_lS3_iilPiS3_S4_S2_S2_S2_,"axG",@progbits,_ZN9rocsolver6v33100L18stedc_solve_kernelIfEEviiPT_lS3_lS3_iilPiS3_S4_S2_S2_S2_,comdat
	.globl	_ZN9rocsolver6v33100L18stedc_solve_kernelIfEEviiPT_lS3_lS3_iilPiS3_S4_S2_S2_S2_ ; -- Begin function _ZN9rocsolver6v33100L18stedc_solve_kernelIfEEviiPT_lS3_lS3_iilPiS3_S4_S2_S2_S2_
	.p2align	8
	.type	_ZN9rocsolver6v33100L18stedc_solve_kernelIfEEviiPT_lS3_lS3_iilPiS3_S4_S2_S2_S2_,@function
_ZN9rocsolver6v33100L18stedc_solve_kernelIfEEviiPT_lS3_lS3_iilPiS3_S4_S2_S2_S2_: ; @_ZN9rocsolver6v33100L18stedc_solve_kernelIfEEviiPT_lS3_lS3_iilPiS3_S4_S2_S2_S2_
; %bb.0:
	s_clause 0x1
	s_load_b32 s6, s[0:1], 0x4
	s_load_b256 s[12:19], s[0:1], 0x38
	s_mov_b32 s4, ttmp9
	s_ashr_i32 s5, ttmp9, 31
	v_mov_b32_e32 v1, 0
	s_lshl_b64 s[4:5], s[4:5], 2
	s_mov_b32 s2, ttmp7
	s_ashr_i32 s3, ttmp7, 31
	s_mov_b32 s32, 0
	v_mov_b32_e32 v18, 0
	s_wait_kmcnt 0x0
	s_mul_i32 s31, ttmp7, s6
	s_ashr_i32 s7, s6, 31
	s_mul_i32 s8, s31, 13
	s_lshl_b64 s[6:7], s[6:7], 2
	s_ashr_i32 s9, s8, 31
	s_mul_u64 s[12:13], s[12:13], s[2:3]
	s_lshl_b64 s[8:9], s[8:9], 2
	s_getpc_b64 s[10:11]
	s_sext_i32_i16 s11, s11
	s_add_co_u32 s10, s10, _ZN9rocsolver6v331009run_steqrIffEEviiiPT0_S3_PT_iPiS3_iS2_S2_S2_b@rel32@lo+8
	s_add_co_ci_u32 s11, s11, _ZN9rocsolver6v331009run_steqrIffEEviiiPT0_S3_PT_iPiS3_iS2_S2_S2_b@rel32@hi+16
	s_add_nc_u64 s[8:9], s[18:19], s[8:9]
	s_lshl_b64 s[18:19], s[2:3], 2
	s_add_nc_u64 s[6:7], s[8:9], s[6:7]
	s_add_nc_u64 s[14:15], s[14:15], s[18:19]
	;; [unrolled: 1-line block ×4, first 2 shown]
	s_clause 0x1
	global_load_b32 v3, v1, s[6:7]
	global_load_b32 v2, v1, s[4:5]
	s_clause 0x3
	s_load_b32 s33, s[0:1], 0x74
	s_load_b128 s[4:7], s[0:1], 0x28
	s_load_b256 s[20:27], s[0:1], 0x8
	s_load_b96 s[28:30], s[0:1], 0x58
	s_lshl_b64 s[12:13], s[12:13], 2
	s_add_nc_u64 s[8:9], s[0:1], 0x68
	v_mov_b32_e32 v11, s15
	s_wait_kmcnt 0x0
	s_and_b32 s33, s33, 0xffff
	s_ashr_i32 s1, s6, 31
	s_mul_u64 s[22:23], s[22:23], s[2:3]
	s_mul_u64 s[2:3], s[26:27], s[2:3]
	s_lshl_b64 s[18:19], s[22:23], 2
	s_mov_b32 s0, s6
	s_lshl_b64 s[2:3], s[2:3], 2
	s_add_nc_u64 s[4:5], s[4:5], s[12:13]
	s_add_nc_u64 s[12:13], s[20:21], s[18:19]
	s_lshl_b32 s22, s31, 1
	s_lshl_b64 s[0:1], s[0:1], 2
	s_add_nc_u64 s[2:3], s[24:25], s[2:3]
	s_ashr_i32 s23, s22, 31
	s_add_nc_u64 s[0:1], s[4:5], s[0:1]
	s_lshl_b64 s[18:19], s[22:23], 2
	v_mov_b32_e32 v15, s28
	s_add_nc_u64 s[4:5], s[16:17], s[18:19]
	v_dual_mov_b32 v16, s29 :: v_dual_mov_b32 v17, s30
	s_wait_loadcnt 0x1
	v_ashrrev_i32_e32 v4, 31, v3
	v_mul_lo_u32 v7, v3, s7
	v_lshlrev_b32_e32 v5, 1, v3
	s_wait_loadcnt 0x0
	v_mul_lo_u32 v14, v2, 30
	v_lshlrev_b64_e32 v[9:10], 2, v[3:4]
	s_delay_alu instid0(VALU_DEP_3) | instskip(SKIP_1) | instid1(VALU_DEP_3)
	v_ashrrev_i32_e32 v6, 31, v5
	v_ashrrev_i32_e32 v8, 31, v7
	v_add_co_u32 v3, vcc_lo, s12, v9
	s_delay_alu instid0(VALU_DEP_3)
	v_lshlrev_b64_e32 v[12:13], 2, v[5:6]
	v_add_co_ci_u32_e64 v4, null, s13, v10, vcc_lo
	v_add_co_u32 v5, vcc_lo, s2, v9
	v_lshlrev_b64_e32 v[7:8], 2, v[7:8]
	s_wait_alu 0xfffd
	v_add_co_ci_u32_e64 v6, null, s3, v10, vcc_lo
	v_add_co_u32 v1, vcc_lo, s0, v9
	s_wait_alu 0xfffd
	v_add_co_ci_u32_e64 v9, null, s1, v10, vcc_lo
	v_add_co_u32 v12, vcc_lo, s4, v12
	;; [unrolled: 3-line block ×3, first 2 shown]
	s_wait_alu 0xfffd
	v_add_co_ci_u32_e64 v8, null, v9, v8, vcc_lo
	v_mov_b32_e32 v9, s7
	v_dual_mov_b32 v1, s33 :: v_dual_mov_b32 v10, s14
	s_swappc_b64 s[30:31], s[10:11]
	s_endpgm
	.section	.rodata,"a",@progbits
	.p2align	6, 0x0
	.amdhsa_kernel _ZN9rocsolver6v33100L18stedc_solve_kernelIfEEviiPT_lS3_lS3_iilPiS3_S4_S2_S2_S2_
		.amdhsa_group_segment_fixed_size 36
		.amdhsa_private_segment_fixed_size 0
		.amdhsa_kernarg_size 360
		.amdhsa_user_sgpr_count 2
		.amdhsa_user_sgpr_dispatch_ptr 0
		.amdhsa_user_sgpr_queue_ptr 0
		.amdhsa_user_sgpr_kernarg_segment_ptr 1
		.amdhsa_user_sgpr_dispatch_id 0
		.amdhsa_user_sgpr_private_segment_size 0
		.amdhsa_wavefront_size32 1
		.amdhsa_uses_dynamic_stack 0
		.amdhsa_enable_private_segment 0
		.amdhsa_system_sgpr_workgroup_id_x 1
		.amdhsa_system_sgpr_workgroup_id_y 1
		.amdhsa_system_sgpr_workgroup_id_z 0
		.amdhsa_system_sgpr_workgroup_info 0
		.amdhsa_system_vgpr_workitem_id 0
		.amdhsa_next_free_vgpr 180
		.amdhsa_next_free_sgpr 34
		.amdhsa_reserve_vcc 1
		.amdhsa_float_round_mode_32 0
		.amdhsa_float_round_mode_16_64 0
		.amdhsa_float_denorm_mode_32 3
		.amdhsa_float_denorm_mode_16_64 3
		.amdhsa_fp16_overflow 0
		.amdhsa_workgroup_processor_mode 1
		.amdhsa_memory_ordered 1
		.amdhsa_forward_progress 1
		.amdhsa_inst_pref_size 4
		.amdhsa_round_robin_scheduling 0
		.amdhsa_exception_fp_ieee_invalid_op 0
		.amdhsa_exception_fp_denorm_src 0
		.amdhsa_exception_fp_ieee_div_zero 0
		.amdhsa_exception_fp_ieee_overflow 0
		.amdhsa_exception_fp_ieee_underflow 0
		.amdhsa_exception_fp_ieee_inexact 0
		.amdhsa_exception_int_div_zero 0
	.end_amdhsa_kernel
	.section	.text._ZN9rocsolver6v33100L18stedc_solve_kernelIfEEviiPT_lS3_lS3_iilPiS3_S4_S2_S2_S2_,"axG",@progbits,_ZN9rocsolver6v33100L18stedc_solve_kernelIfEEviiPT_lS3_lS3_iilPiS3_S4_S2_S2_S2_,comdat
.Lfunc_end10:
	.size	_ZN9rocsolver6v33100L18stedc_solve_kernelIfEEviiPT_lS3_lS3_iilPiS3_S4_S2_S2_S2_, .Lfunc_end10-_ZN9rocsolver6v33100L18stedc_solve_kernelIfEEviiPT_lS3_lS3_iilPiS3_S4_S2_S2_S2_
                                        ; -- End function
	.set _ZN9rocsolver6v33100L18stedc_solve_kernelIfEEviiPT_lS3_lS3_iilPiS3_S4_S2_S2_S2_.num_vgpr, max(19, .L_ZN9rocsolver6v331009run_steqrIffEEviiiPT0_S3_PT_iPiS3_iS2_S2_S2_b.num_vgpr)
	.set _ZN9rocsolver6v33100L18stedc_solve_kernelIfEEviiPT_lS3_lS3_iilPiS3_S4_S2_S2_S2_.num_agpr, max(0, .L_ZN9rocsolver6v331009run_steqrIffEEviiiPT0_S3_PT_iPiS3_iS2_S2_S2_b.num_agpr)
	.set _ZN9rocsolver6v33100L18stedc_solve_kernelIfEEviiPT_lS3_lS3_iilPiS3_S4_S2_S2_S2_.numbered_sgpr, max(34, .L_ZN9rocsolver6v331009run_steqrIffEEviiiPT0_S3_PT_iPiS3_iS2_S2_S2_b.numbered_sgpr)
	.set _ZN9rocsolver6v33100L18stedc_solve_kernelIfEEviiPT_lS3_lS3_iilPiS3_S4_S2_S2_S2_.num_named_barrier, max(0, .L_ZN9rocsolver6v331009run_steqrIffEEviiiPT0_S3_PT_iPiS3_iS2_S2_S2_b.num_named_barrier)
	.set _ZN9rocsolver6v33100L18stedc_solve_kernelIfEEviiPT_lS3_lS3_iilPiS3_S4_S2_S2_S2_.private_seg_size, 0+max(.L_ZN9rocsolver6v331009run_steqrIffEEviiiPT0_S3_PT_iPiS3_iS2_S2_S2_b.private_seg_size)
	.set _ZN9rocsolver6v33100L18stedc_solve_kernelIfEEviiPT_lS3_lS3_iilPiS3_S4_S2_S2_S2_.uses_vcc, or(1, .L_ZN9rocsolver6v331009run_steqrIffEEviiiPT0_S3_PT_iPiS3_iS2_S2_S2_b.uses_vcc)
	.set _ZN9rocsolver6v33100L18stedc_solve_kernelIfEEviiPT_lS3_lS3_iilPiS3_S4_S2_S2_S2_.uses_flat_scratch, or(0, .L_ZN9rocsolver6v331009run_steqrIffEEviiiPT0_S3_PT_iPiS3_iS2_S2_S2_b.uses_flat_scratch)
	.set _ZN9rocsolver6v33100L18stedc_solve_kernelIfEEviiPT_lS3_lS3_iilPiS3_S4_S2_S2_S2_.has_dyn_sized_stack, or(0, .L_ZN9rocsolver6v331009run_steqrIffEEviiiPT0_S3_PT_iPiS3_iS2_S2_S2_b.has_dyn_sized_stack)
	.set _ZN9rocsolver6v33100L18stedc_solve_kernelIfEEviiPT_lS3_lS3_iilPiS3_S4_S2_S2_S2_.has_recursion, or(0, .L_ZN9rocsolver6v331009run_steqrIffEEviiiPT0_S3_PT_iPiS3_iS2_S2_S2_b.has_recursion)
	.set _ZN9rocsolver6v33100L18stedc_solve_kernelIfEEviiPT_lS3_lS3_iilPiS3_S4_S2_S2_S2_.has_indirect_call, or(0, .L_ZN9rocsolver6v331009run_steqrIffEEviiiPT0_S3_PT_iPiS3_iS2_S2_S2_b.has_indirect_call)
	.section	.AMDGPU.csdata,"",@progbits
; Kernel info:
; codeLenInByte = 472
; TotalNumSgprs: 36
; NumVgprs: 180
; ScratchSize: 0
; MemoryBound: 0
; FloatMode: 240
; IeeeMode: 1
; LDSByteSize: 36 bytes/workgroup (compile time only)
; SGPRBlocks: 0
; VGPRBlocks: 22
; NumSGPRsForWavesPerEU: 36
; NumVGPRsForWavesPerEU: 180
; Occupancy: 8
; WaveLimiterHint : 0
; COMPUTE_PGM_RSRC2:SCRATCH_EN: 0
; COMPUTE_PGM_RSRC2:USER_SGPR: 2
; COMPUTE_PGM_RSRC2:TRAP_HANDLER: 0
; COMPUTE_PGM_RSRC2:TGID_X_EN: 1
; COMPUTE_PGM_RSRC2:TGID_Y_EN: 1
; COMPUTE_PGM_RSRC2:TGID_Z_EN: 0
; COMPUTE_PGM_RSRC2:TIDIG_COMP_CNT: 0
	.section	.text._ZN9rocsolver6v33100L37stedc_mergePrepare_DeflateZero_kernelIfEEviiPT_lS3_lS3_iilS3_PiS2_,"axG",@progbits,_ZN9rocsolver6v33100L37stedc_mergePrepare_DeflateZero_kernelIfEEviiPT_lS3_lS3_iilS3_PiS2_,comdat
	.globl	_ZN9rocsolver6v33100L37stedc_mergePrepare_DeflateZero_kernelIfEEviiPT_lS3_lS3_iilS3_PiS2_ ; -- Begin function _ZN9rocsolver6v33100L37stedc_mergePrepare_DeflateZero_kernelIfEEviiPT_lS3_lS3_iilS3_PiS2_
	.p2align	8
	.type	_ZN9rocsolver6v33100L37stedc_mergePrepare_DeflateZero_kernelIfEEviiPT_lS3_lS3_iilS3_PiS2_,@function
_ZN9rocsolver6v33100L37stedc_mergePrepare_DeflateZero_kernelIfEEviiPT_lS3_lS3_iilS3_PiS2_: ; @_ZN9rocsolver6v33100L37stedc_mergePrepare_DeflateZero_kernelIfEEviiPT_lS3_lS3_iilS3_PiS2_
; %bb.0:
	s_clause 0x1
	s_load_b32 s22, s[0:1], 0x4
	s_load_b64 s[2:3], s[0:1], 0x48
	s_movk_i32 s4, 0xffe8
	s_mov_b32 s5, -1
	s_lshl_b32 s16, ttmp9, 1
	s_load_b256 s[8:15], s[0:1], 0x8
	s_ashr_i32 s17, s16, 31
	s_mov_b32 s26, ttmp7
	s_ashr_i32 s27, ttmp7, 31
	s_wait_kmcnt 0x0
	s_mul_i32 s33, s22, ttmp7
	s_lshl_b32 s6, s22, 3
	s_mul_i32 s18, s33, 13
	s_ashr_i32 s7, s6, 31
	s_ashr_i32 s19, s18, 31
	;; [unrolled: 1-line block ×3, first 2 shown]
	s_lshl_b64 s[18:19], s[18:19], 2
	s_lshl_b64 s[6:7], s[6:7], 2
	s_add_nc_u64 s[2:3], s[2:3], s[18:19]
	s_mul_u64 s[4:5], s[22:23], s[4:5]
	s_add_nc_u64 s[6:7], s[2:3], s[6:7]
	s_lshl_b64 s[24:25], s[22:23], 2
	s_add_nc_u64 s[2:3], s[6:7], s[4:5]
	s_lshl_b64 s[4:5], s[16:17], 2
	s_add_nc_u64 s[16:17], s[2:3], s[24:25]
	s_mul_u64 s[14:15], s[14:15], s[26:27]
	s_add_nc_u64 s[16:17], s[16:17], s[4:5]
	s_add_nc_u64 s[2:3], s[2:3], s[4:5]
	s_clause 0x1
	s_load_b64 s[20:21], s[16:17], 0x0
	s_load_b64 s[30:31], s[2:3], 0x0
	s_lshl_b64 s[14:15], s[14:15], 2
	s_load_b128 s[16:19], s[0:1], 0x38
	s_add_nc_u64 s[12:13], s[12:13], s[14:15]
	s_wait_kmcnt 0x0
	s_ashr_i32 s29, s21, 31
	s_mov_b32 s28, s21
	s_add_co_i32 s21, s31, s30
	s_lshl_b64 s[4:5], s[28:29], 2
	s_delay_alu instid0(SALU_CYCLE_1)
	s_add_nc_u64 s[2:3], s[12:13], s[4:5]
	s_mul_i32 s4, s22, 9
	s_add_nc_u64 s[2:3], s[2:3], -4
	s_load_b32 s14, s[2:3], 0x0
	s_load_b64 s[34:35], s[0:1], 0x28
	s_mul_i32 s2, s33, 10
	s_ashr_i32 s5, s4, 31
	s_ashr_i32 s3, s2, 31
	s_lshl_b64 s[4:5], s[4:5], 2
	s_lshl_b64 s[2:3], s[2:3], 2
	s_delay_alu instid0(SALU_CYCLE_1)
	s_add_nc_u64 s[12:13], s[18:19], s[2:3]
	v_cmp_le_i32_e64 s3, s21, v0
	v_cmp_gt_i32_e64 s2, s21, v0
	s_wait_kmcnt 0x0
	s_add_f32 s33, s14, s14
	s_add_nc_u64 s[14:15], s[12:13], s[4:5]
	s_and_saveexec_b32 s5, s2
	s_cbranch_execz .LBB11_3
; %bb.1:
	s_load_b32 s4, s[0:1], 0x64
	v_dual_mov_b32 v1, s33 :: v_dual_mov_b32 v2, v0
	s_mov_b32 s19, 0
	s_wait_kmcnt 0x0
	s_and_b32 s18, s4, 0xffff
.LBB11_2:                               ; =>This Inner Loop Header: Depth=1
	s_delay_alu instid0(VALU_DEP_1) | instskip(SKIP_1) | instid1(VALU_DEP_2)
	v_add_nc_u32_e32 v3, s20, v2
	v_add_nc_u32_e32 v2, s18, v2
	v_ashrrev_i32_e32 v4, 31, v3
	s_delay_alu instid0(VALU_DEP_2) | instskip(NEXT) | instid1(VALU_DEP_2)
	v_cmp_le_i32_e32 vcc_lo, s21, v2
	v_lshlrev_b64_e32 v[3:4], 2, v[3:4]
	s_or_b32 s19, vcc_lo, s19
	s_delay_alu instid0(VALU_DEP_1) | instskip(SKIP_1) | instid1(VALU_DEP_2)
	v_add_co_u32 v3, s4, s14, v3
	s_wait_alu 0xf1ff
	v_add_co_ci_u32_e64 v4, null, s15, v4, s4
	global_store_b32 v[3:4], v1, off
	s_wait_alu 0xfffe
	s_and_not1_b32 exec_lo, exec_lo, s19
	s_cbranch_execnz .LBB11_2
.LBB11_3:
	s_or_b32 exec_lo, exec_lo, s5
	s_load_b64 s[4:5], s[0:1], 0x30
	s_mul_u64 s[16:17], s[16:17], s[26:27]
	v_mov_b32_e32 v3, 0
	s_lshl_b64 s[16:17], s[16:17], 2
	s_delay_alu instid0(SALU_CYCLE_1)
	s_add_nc_u64 s[16:17], s[34:35], s[16:17]
	s_mov_b32 s34, exec_lo
	s_wait_kmcnt 0x0
	s_ashr_i32 s19, s4, 31
	s_mov_b32 s18, s4
	s_wait_alu 0xfffe
	s_lshl_b64 s[18:19], s[18:19], 2
	s_wait_alu 0xfffe
	s_add_nc_u64 s[16:17], s[16:17], s[18:19]
	v_cmpx_gt_i32_e64 s30, v0
	s_cbranch_execz .LBB11_7
; %bb.4:
	s_load_b32 s4, s[0:1], 0x64
	v_dual_mov_b32 v2, v0 :: v_dual_add_nc_u32 v1, s20, v0
	v_mov_b32_e32 v3, 0
	s_mov_b32 s18, 0x667f3bcd
	s_mov_b32 s35, 0
	s_delay_alu instid0(VALU_DEP_2) | instskip(SKIP_3) | instid1(SALU_CYCLE_1)
	v_mul_lo_u32 v1, s5, v1
	s_mov_b32 s19, 0x3ff6a09e
	s_wait_kmcnt 0x0
	s_and_b32 s36, s4, 0xffff
	s_mul_i32 s37, s5, s36
.LBB11_5:                               ; =>This Inner Loop Header: Depth=1
	s_delay_alu instid0(VALU_DEP_1) | instskip(SKIP_3) | instid1(VALU_DEP_3)
	v_ashrrev_i32_e32 v5, 31, v1
	v_add_co_u32 v4, vcc_lo, v1, s28
	v_add_nc_u32_e32 v1, s37, v1
	s_wait_alu 0xfffd
	v_add_co_ci_u32_e64 v5, null, s29, v5, vcc_lo
	s_delay_alu instid0(VALU_DEP_1) | instskip(NEXT) | instid1(VALU_DEP_1)
	v_lshlrev_b64_e32 v[4:5], 2, v[4:5]
	v_add_co_u32 v4, vcc_lo, s16, v4
	s_wait_alu 0xfffd
	s_delay_alu instid0(VALU_DEP_2) | instskip(SKIP_4) | instid1(VALU_DEP_1)
	v_add_co_ci_u32_e64 v5, null, s17, v5, vcc_lo
	global_load_b32 v4, v[4:5], off offset:-4
	s_wait_loadcnt 0x0
	v_cvt_f64_f32_e32 v[4:5], v4
	s_wait_alu 0xfffe
	v_div_scale_f64 v[6:7], null, s[18:19], s[18:19], v[4:5]
	v_div_scale_f64 v[12:13], vcc_lo, v[4:5], s[18:19], v[4:5]
	s_delay_alu instid0(VALU_DEP_2) | instskip(NEXT) | instid1(TRANS32_DEP_1)
	v_rcp_f64_e32 v[8:9], v[6:7]
	v_fma_f64 v[10:11], -v[6:7], v[8:9], 1.0
	s_delay_alu instid0(VALU_DEP_1) | instskip(NEXT) | instid1(VALU_DEP_1)
	v_fma_f64 v[8:9], v[8:9], v[10:11], v[8:9]
	v_fma_f64 v[10:11], -v[6:7], v[8:9], 1.0
	s_delay_alu instid0(VALU_DEP_1) | instskip(NEXT) | instid1(VALU_DEP_1)
	v_fma_f64 v[8:9], v[8:9], v[10:11], v[8:9]
	v_mul_f64_e32 v[10:11], v[12:13], v[8:9]
	s_delay_alu instid0(VALU_DEP_1) | instskip(SKIP_1) | instid1(VALU_DEP_1)
	v_fma_f64 v[6:7], -v[6:7], v[10:11], v[12:13]
	s_wait_alu 0xfffd
	v_div_fmas_f64 v[6:7], v[6:7], v[8:9], v[10:11]
	s_delay_alu instid0(VALU_DEP_1) | instskip(NEXT) | instid1(VALU_DEP_1)
	v_div_fixup_f64 v[4:5], v[6:7], s[18:19], v[4:5]
	v_cvt_f32_f64_e32 v6, v[4:5]
	v_add_nc_u32_e32 v4, s20, v2
	v_add_nc_u32_e32 v2, s36, v2
	s_delay_alu instid0(VALU_DEP_2) | instskip(NEXT) | instid1(VALU_DEP_2)
	v_ashrrev_i32_e32 v5, 31, v4
	v_cmp_le_i32_e32 vcc_lo, s30, v2
	s_delay_alu instid0(VALU_DEP_2) | instskip(SKIP_1) | instid1(VALU_DEP_1)
	v_lshlrev_b64_e32 v[4:5], 2, v[4:5]
	s_or_b32 s35, vcc_lo, s35
	v_add_co_u32 v4, s4, s12, v4
	s_wait_alu 0xf1ff
	s_delay_alu instid0(VALU_DEP_2)
	v_add_co_ci_u32_e64 v5, null, s13, v5, s4
	v_cmp_lt_f32_e64 s4, v3, |v6|
	global_store_b32 v[4:5], v6, off
	s_wait_alu 0xf1ff
	v_cndmask_b32_e64 v3, v3, |v6|, s4
	s_and_not1_b32 exec_lo, exec_lo, s35
	s_cbranch_execnz .LBB11_5
; %bb.6:
	s_or_b32 exec_lo, exec_lo, s35
.LBB11_7:
	s_delay_alu instid0(SALU_CYCLE_1)
	s_or_b32 exec_lo, exec_lo, s34
	s_add_nc_u64 s[18:19], s[0:1], 0x58
	s_mov_b32 s4, exec_lo
	v_cmpx_le_i32_e64 s31, v0
	s_wait_alu 0xfffe
	s_xor_b32 s4, exec_lo, s4
	s_wait_alu 0xfffe
	s_or_saveexec_b32 s29, s4
	v_dual_mov_b32 v1, s18 :: v_dual_mov_b32 v2, s19
	s_wait_alu 0xfffe
	s_xor_b32 exec_lo, exec_lo, s29
	s_cbranch_execz .LBB11_11
; %bb.8:
	s_load_b32 s4, s[0:1], 0x64
	v_dual_mov_b32 v2, v0 :: v_dual_add_nc_u32 v1, s28, v0
	s_mov_b32 s34, 0x667f3bcd
	s_mov_b32 s30, 0
	;; [unrolled: 1-line block ×3, first 2 shown]
	s_delay_alu instid0(VALU_DEP_1)
	v_mul_lo_u32 v1, s5, v1
	s_wait_kmcnt 0x0
	s_and_b32 s36, s4, 0xffff
	s_wait_alu 0xfffe
	s_mul_i32 s5, s5, s36
.LBB11_9:                               ; =>This Inner Loop Header: Depth=1
	s_delay_alu instid0(VALU_DEP_1) | instskip(SKIP_2) | instid1(VALU_DEP_2)
	v_add_nc_u32_e32 v4, s28, v1
	s_wait_alu 0xfffe
	v_add_nc_u32_e32 v1, s5, v1
	v_ashrrev_i32_e32 v5, 31, v4
	s_delay_alu instid0(VALU_DEP_1) | instskip(NEXT) | instid1(VALU_DEP_1)
	v_lshlrev_b64_e32 v[4:5], 2, v[4:5]
	v_add_co_u32 v4, vcc_lo, s16, v4
	s_wait_alu 0xfffd
	s_delay_alu instid0(VALU_DEP_2) | instskip(SKIP_3) | instid1(VALU_DEP_1)
	v_add_co_ci_u32_e64 v5, null, s17, v5, vcc_lo
	global_load_b32 v4, v[4:5], off
	s_wait_loadcnt 0x0
	v_cvt_f64_f32_e32 v[4:5], v4
	v_div_scale_f64 v[6:7], null, s[34:35], s[34:35], v[4:5]
	v_div_scale_f64 v[12:13], vcc_lo, v[4:5], s[34:35], v[4:5]
	s_delay_alu instid0(VALU_DEP_2) | instskip(NEXT) | instid1(TRANS32_DEP_1)
	v_rcp_f64_e32 v[8:9], v[6:7]
	v_fma_f64 v[10:11], -v[6:7], v[8:9], 1.0
	s_delay_alu instid0(VALU_DEP_1) | instskip(NEXT) | instid1(VALU_DEP_1)
	v_fma_f64 v[8:9], v[8:9], v[10:11], v[8:9]
	v_fma_f64 v[10:11], -v[6:7], v[8:9], 1.0
	s_delay_alu instid0(VALU_DEP_1) | instskip(NEXT) | instid1(VALU_DEP_1)
	v_fma_f64 v[8:9], v[8:9], v[10:11], v[8:9]
	v_mul_f64_e32 v[10:11], v[12:13], v[8:9]
	s_delay_alu instid0(VALU_DEP_1) | instskip(SKIP_1) | instid1(VALU_DEP_1)
	v_fma_f64 v[6:7], -v[6:7], v[10:11], v[12:13]
	s_wait_alu 0xfffd
	v_div_fmas_f64 v[6:7], v[6:7], v[8:9], v[10:11]
	s_delay_alu instid0(VALU_DEP_1) | instskip(NEXT) | instid1(VALU_DEP_1)
	v_div_fixup_f64 v[4:5], v[6:7], s[34:35], v[4:5]
	v_cvt_f32_f64_e32 v6, v[4:5]
	v_add_nc_u32_e32 v4, s28, v2
	v_add_nc_u32_e32 v2, s36, v2
	s_delay_alu instid0(VALU_DEP_2) | instskip(NEXT) | instid1(VALU_DEP_2)
	v_ashrrev_i32_e32 v5, 31, v4
	v_cmp_le_i32_e32 vcc_lo, s31, v2
	s_delay_alu instid0(VALU_DEP_2) | instskip(SKIP_1) | instid1(VALU_DEP_1)
	v_lshlrev_b64_e32 v[4:5], 2, v[4:5]
	s_or_b32 s30, vcc_lo, s30
	v_add_co_u32 v4, s4, s12, v4
	s_wait_alu 0xf1ff
	s_delay_alu instid0(VALU_DEP_2)
	v_add_co_ci_u32_e64 v5, null, s13, v5, s4
	v_cmp_lt_f32_e64 s4, v3, |v6|
	global_store_b32 v[4:5], v6, off
	s_wait_alu 0xf1ff
	v_cndmask_b32_e64 v3, v3, |v6|, s4
	s_wait_alu 0xfffe
	s_and_not1_b32 exec_lo, exec_lo, s30
	s_cbranch_execnz .LBB11_9
; %bb.10:
	s_or_b32 exec_lo, exec_lo, s30
	v_dual_mov_b32 v1, s18 :: v_dual_mov_b32 v2, s19
.LBB11_11:
	s_or_b32 exec_lo, exec_lo, s29
                                        ; implicit-def: $vgpr6
                                        ; implicit-def: $vgpr4
	s_and_saveexec_b32 s4, s3
	s_wait_alu 0xfffe
	s_xor_b32 s3, exec_lo, s4
	s_cbranch_execz .LBB11_13
; %bb.12:
	global_load_u16 v6, v[1:2], off offset:12
                                        ; implicit-def: $vgpr1_vgpr2
	s_wait_loadcnt 0x0
	v_and_b32_e32 v4, 0xffff, v6
	s_or_saveexec_b32 s3, s3
	v_mov_b32_e32 v5, 0
	s_xor_b32 exec_lo, exec_lo, s3
	s_cbranch_execz .LBB11_17
	s_branch .LBB11_14
.LBB11_13:
	s_or_saveexec_b32 s3, s3
	v_mov_b32_e32 v5, 0
	s_xor_b32 exec_lo, exec_lo, s3
	s_cbranch_execz .LBB11_17
.LBB11_14:
	global_load_u16 v6, v[1:2], off offset:12
	s_mul_u64 s[4:5], s[10:11], s[26:27]
	v_mov_b32_e32 v5, 0
	v_mov_b32_e32 v1, v0
	s_wait_alu 0xfffe
	s_lshl_b64 s[4:5], s[4:5], 2
	s_wait_alu 0xfffe
	s_add_nc_u64 s[4:5], s[8:9], s[4:5]
	s_mov_b32 s8, 0
	s_wait_loadcnt 0x0
	v_and_b32_e32 v4, 0xffff, v6
.LBB11_15:                              ; =>This Inner Loop Header: Depth=1
	v_add_nc_u32_e32 v7, s20, v1
	s_delay_alu instid0(VALU_DEP_2) | instskip(NEXT) | instid1(VALU_DEP_2)
	v_add_nc_u32_e32 v1, v1, v4
	v_ashrrev_i32_e32 v8, 31, v7
	s_delay_alu instid0(VALU_DEP_1) | instskip(SKIP_1) | instid1(VALU_DEP_1)
	v_lshlrev_b64_e32 v[7:8], 2, v[7:8]
	s_wait_alu 0xfffe
	v_add_co_u32 v7, vcc_lo, s4, v7
	s_wait_alu 0xfffd
	s_delay_alu instid0(VALU_DEP_2)
	v_add_co_ci_u32_e64 v8, null, s5, v8, vcc_lo
	v_cmp_le_i32_e32 vcc_lo, s21, v1
	global_load_b32 v2, v[7:8], off
	s_or_b32 s8, vcc_lo, s8
	s_wait_loadcnt 0x0
	v_cmp_lt_f32_e64 s9, v5, |v2|
	s_wait_alu 0xf1ff
	s_delay_alu instid0(VALU_DEP_1)
	v_cndmask_b32_e64 v5, v5, |v2|, s9
	s_wait_alu 0xfffe
	s_and_not1_b32 exec_lo, exec_lo, s8
	s_cbranch_execnz .LBB11_15
; %bb.16:
	s_or_b32 exec_lo, exec_lo, s8
.LBB11_17:
	s_delay_alu instid0(SALU_CYCLE_1)
	s_or_b32 exec_lo, exec_lo, s3
	v_lshlrev_b32_e32 v1, 2, v0
	s_mov_b32 s3, exec_lo
	ds_store_2addr_stride64_b32 v1, v5, v3 offset1:8
	s_wait_storecnt_dscnt 0x0
	s_barrier_signal -1
	s_barrier_wait -1
	global_inv scope:SCOPE_SE
	v_cmpx_lt_u16_e32 1, v6
	s_cbranch_execz .LBB11_22
; %bb.18:
	v_or_b32_e32 v2, 0x800, v1
	v_mov_b32_e32 v6, v4
	s_mov_b32 s4, 0
	s_branch .LBB11_20
.LBB11_19:                              ;   in Loop: Header=BB11_20 Depth=1
	s_wait_alu 0xfffe
	s_or_b32 exec_lo, exec_lo, s5
	v_cmp_gt_u32_e32 vcc_lo, 4, v6
	v_mov_b32_e32 v6, v7
	s_wait_loadcnt_dscnt 0x0
	s_barrier_signal -1
	s_barrier_wait -1
	s_or_b32 s4, vcc_lo, s4
	global_inv scope:SCOPE_SE
	s_wait_alu 0xfffe
	s_and_not1_b32 exec_lo, exec_lo, s4
	s_cbranch_execz .LBB11_22
.LBB11_20:                              ; =>This Inner Loop Header: Depth=1
	s_delay_alu instid0(VALU_DEP_1) | instskip(SKIP_1) | instid1(VALU_DEP_1)
	v_lshrrev_b32_e32 v7, 1, v6
	s_mov_b32 s5, exec_lo
	v_cmpx_lt_u32_e64 v0, v7
	s_cbranch_execz .LBB11_19
; %bb.21:                               ;   in Loop: Header=BB11_20 Depth=1
	v_lshlrev_b32_e32 v8, 2, v7
	s_delay_alu instid0(VALU_DEP_1)
	v_add_nc_u32_e32 v9, v1, v8
	v_add_nc_u32_e32 v8, v2, v8
	ds_load_b32 v9, v9
	ds_load_b32 v8, v8
	s_wait_dscnt 0x1
	v_cmp_lt_f32_e32 vcc_lo, v5, v9
	s_wait_alu 0xfffd
	v_cndmask_b32_e32 v5, v5, v9, vcc_lo
	s_wait_dscnt 0x0
	v_cmp_lt_f32_e32 vcc_lo, v3, v8
	s_wait_alu 0xfffd
	v_cndmask_b32_e32 v3, v3, v8, vcc_lo
	ds_store_b32 v1, v5
	ds_store_b32 v2, v3
	s_branch .LBB11_19
.LBB11_22:
	s_or_b32 exec_lo, exec_lo, s3
	s_and_saveexec_b32 s3, s2
	s_cbranch_execz .LBB11_27
; %bb.23:
	v_mov_b32_e32 v1, 0
	s_load_b32 s2, s[0:1], 0x50
	s_movk_i32 s0, 0xffec
	s_mov_b32 s1, -1
	s_delay_alu instid0(SALU_CYCLE_1)
	s_mul_u64 s[0:1], s[22:23], s[0:1]
	ds_load_2addr_stride64_b32 v[1:2], v1 offset1:8
	s_wait_kmcnt 0x0
	s_mul_f32 s4, s2, 0x41000000
	s_add_nc_u64 s[2:3], s[14:15], s[0:1]
	s_mov_b32 s1, 0
	s_wait_dscnt 0x0
	v_cmp_lt_f32_e32 vcc_lo, v1, v2
	s_wait_alu 0xfffd
	v_dual_cndmask_b32 v1, v1, v2 :: v_dual_mov_b32 v2, v0
	s_wait_alu 0xfffe
	s_delay_alu instid0(VALU_DEP_1)
	v_mul_f32_e32 v1, s4, v1
	s_add_nc_u64 s[4:5], s[2:3], s[24:25]
.LBB11_24:                              ; =>This Inner Loop Header: Depth=1
	s_delay_alu instid0(VALU_DEP_2) | instskip(SKIP_1) | instid1(VALU_DEP_2)
	v_add_nc_u32_e32 v5, s20, v2
	v_add_nc_u32_e32 v2, v2, v4
	v_ashrrev_i32_e32 v6, 31, v5
	s_delay_alu instid0(VALU_DEP_2) | instskip(NEXT) | instid1(VALU_DEP_2)
	v_cmp_le_i32_e32 vcc_lo, s21, v2
	v_lshlrev_b64_e32 v[5:6], 2, v[5:6]
	s_or_b32 s1, vcc_lo, s1
	s_delay_alu instid0(VALU_DEP_1) | instskip(SKIP_1) | instid1(VALU_DEP_2)
	v_add_co_u32 v7, s0, s2, v5
	s_wait_alu 0xf1ff
	v_add_co_ci_u32_e64 v8, null, s3, v6, s0
	s_wait_alu 0xfffe
	v_add_co_u32 v5, s0, s4, v5
	s_wait_alu 0xf1ff
	v_add_co_ci_u32_e64 v6, null, s5, v6, s0
	s_clause 0x1
	global_store_b32 v[7:8], v1, off
	global_store_b32 v[5:6], v1, off
	s_and_not1_b32 exec_lo, exec_lo, s1
	s_cbranch_execnz .LBB11_24
; %bb.25:
	s_or_b32 exec_lo, exec_lo, s1
	s_mov_b32 s1, 0
.LBB11_26:                              ; =>This Inner Loop Header: Depth=1
	v_add_nc_u32_e32 v2, s20, v0
	v_add_nc_u32_e32 v0, v0, v4
	s_delay_alu instid0(VALU_DEP_2) | instskip(NEXT) | instid1(VALU_DEP_1)
	v_ashrrev_i32_e32 v3, 31, v2
	v_lshlrev_b64_e32 v[2:3], 2, v[2:3]
	s_delay_alu instid0(VALU_DEP_1) | instskip(SKIP_1) | instid1(VALU_DEP_2)
	v_add_co_u32 v5, vcc_lo, s12, v2
	s_wait_alu 0xfffd
	v_add_co_ci_u32_e64 v6, null, s13, v3, vcc_lo
	v_add_co_u32 v2, s0, s6, v2
	s_wait_alu 0xf1ff
	v_add_co_ci_u32_e64 v3, null, s7, v3, s0
	global_load_b32 v5, v[5:6], off
	v_cmp_le_i32_e32 vcc_lo, s21, v0
	s_wait_alu 0xfffe
	s_or_b32 s1, vcc_lo, s1
	s_wait_loadcnt 0x0
	v_mul_f32_e32 v5, s33, v5
	s_delay_alu instid0(VALU_DEP_1) | instskip(SKIP_1) | instid1(VALU_DEP_1)
	v_cmp_nle_f32_e64 s0, |v5|, v1
	s_wait_alu 0xf1ff
	v_cndmask_b32_e64 v5, 0, 1, s0
	global_store_b32 v[2:3], v5, off
	s_wait_alu 0xfffe
	s_and_not1_b32 exec_lo, exec_lo, s1
	s_cbranch_execnz .LBB11_26
.LBB11_27:
	s_endpgm
	.section	.rodata,"a",@progbits
	.p2align	6, 0x0
	.amdhsa_kernel _ZN9rocsolver6v33100L37stedc_mergePrepare_DeflateZero_kernelIfEEviiPT_lS3_lS3_iilS3_PiS2_
		.amdhsa_group_segment_fixed_size 4096
		.amdhsa_private_segment_fixed_size 0
		.amdhsa_kernarg_size 344
		.amdhsa_user_sgpr_count 2
		.amdhsa_user_sgpr_dispatch_ptr 0
		.amdhsa_user_sgpr_queue_ptr 0
		.amdhsa_user_sgpr_kernarg_segment_ptr 1
		.amdhsa_user_sgpr_dispatch_id 0
		.amdhsa_user_sgpr_private_segment_size 0
		.amdhsa_wavefront_size32 1
		.amdhsa_uses_dynamic_stack 0
		.amdhsa_enable_private_segment 0
		.amdhsa_system_sgpr_workgroup_id_x 1
		.amdhsa_system_sgpr_workgroup_id_y 1
		.amdhsa_system_sgpr_workgroup_id_z 0
		.amdhsa_system_sgpr_workgroup_info 0
		.amdhsa_system_vgpr_workitem_id 0
		.amdhsa_next_free_vgpr 14
		.amdhsa_next_free_sgpr 38
		.amdhsa_reserve_vcc 1
		.amdhsa_float_round_mode_32 0
		.amdhsa_float_round_mode_16_64 0
		.amdhsa_float_denorm_mode_32 3
		.amdhsa_float_denorm_mode_16_64 3
		.amdhsa_fp16_overflow 0
		.amdhsa_workgroup_processor_mode 1
		.amdhsa_memory_ordered 1
		.amdhsa_forward_progress 1
		.amdhsa_inst_pref_size 17
		.amdhsa_round_robin_scheduling 0
		.amdhsa_exception_fp_ieee_invalid_op 0
		.amdhsa_exception_fp_denorm_src 0
		.amdhsa_exception_fp_ieee_div_zero 0
		.amdhsa_exception_fp_ieee_overflow 0
		.amdhsa_exception_fp_ieee_underflow 0
		.amdhsa_exception_fp_ieee_inexact 0
		.amdhsa_exception_int_div_zero 0
	.end_amdhsa_kernel
	.section	.text._ZN9rocsolver6v33100L37stedc_mergePrepare_DeflateZero_kernelIfEEviiPT_lS3_lS3_iilS3_PiS2_,"axG",@progbits,_ZN9rocsolver6v33100L37stedc_mergePrepare_DeflateZero_kernelIfEEviiPT_lS3_lS3_iilS3_PiS2_,comdat
.Lfunc_end11:
	.size	_ZN9rocsolver6v33100L37stedc_mergePrepare_DeflateZero_kernelIfEEviiPT_lS3_lS3_iilS3_PiS2_, .Lfunc_end11-_ZN9rocsolver6v33100L37stedc_mergePrepare_DeflateZero_kernelIfEEviiPT_lS3_lS3_iilS3_PiS2_
                                        ; -- End function
	.set _ZN9rocsolver6v33100L37stedc_mergePrepare_DeflateZero_kernelIfEEviiPT_lS3_lS3_iilS3_PiS2_.num_vgpr, 14
	.set _ZN9rocsolver6v33100L37stedc_mergePrepare_DeflateZero_kernelIfEEviiPT_lS3_lS3_iilS3_PiS2_.num_agpr, 0
	.set _ZN9rocsolver6v33100L37stedc_mergePrepare_DeflateZero_kernelIfEEviiPT_lS3_lS3_iilS3_PiS2_.numbered_sgpr, 38
	.set _ZN9rocsolver6v33100L37stedc_mergePrepare_DeflateZero_kernelIfEEviiPT_lS3_lS3_iilS3_PiS2_.num_named_barrier, 0
	.set _ZN9rocsolver6v33100L37stedc_mergePrepare_DeflateZero_kernelIfEEviiPT_lS3_lS3_iilS3_PiS2_.private_seg_size, 0
	.set _ZN9rocsolver6v33100L37stedc_mergePrepare_DeflateZero_kernelIfEEviiPT_lS3_lS3_iilS3_PiS2_.uses_vcc, 1
	.set _ZN9rocsolver6v33100L37stedc_mergePrepare_DeflateZero_kernelIfEEviiPT_lS3_lS3_iilS3_PiS2_.uses_flat_scratch, 0
	.set _ZN9rocsolver6v33100L37stedc_mergePrepare_DeflateZero_kernelIfEEviiPT_lS3_lS3_iilS3_PiS2_.has_dyn_sized_stack, 0
	.set _ZN9rocsolver6v33100L37stedc_mergePrepare_DeflateZero_kernelIfEEviiPT_lS3_lS3_iilS3_PiS2_.has_recursion, 0
	.set _ZN9rocsolver6v33100L37stedc_mergePrepare_DeflateZero_kernelIfEEviiPT_lS3_lS3_iilS3_PiS2_.has_indirect_call, 0
	.section	.AMDGPU.csdata,"",@progbits
; Kernel info:
; codeLenInByte = 2124
; TotalNumSgprs: 40
; NumVgprs: 14
; ScratchSize: 0
; MemoryBound: 0
; FloatMode: 240
; IeeeMode: 1
; LDSByteSize: 4096 bytes/workgroup (compile time only)
; SGPRBlocks: 0
; VGPRBlocks: 1
; NumSGPRsForWavesPerEU: 40
; NumVGPRsForWavesPerEU: 14
; Occupancy: 16
; WaveLimiterHint : 1
; COMPUTE_PGM_RSRC2:SCRATCH_EN: 0
; COMPUTE_PGM_RSRC2:USER_SGPR: 2
; COMPUTE_PGM_RSRC2:TRAP_HANDLER: 0
; COMPUTE_PGM_RSRC2:TGID_X_EN: 1
; COMPUTE_PGM_RSRC2:TGID_Y_EN: 1
; COMPUTE_PGM_RSRC2:TGID_Z_EN: 0
; COMPUTE_PGM_RSRC2:TIDIG_COMP_CNT: 0
	.section	.text._ZN9rocsolver6v33100L31stedc_mergePrepare_SortD_kernelIfEEviiPT_lS3_Pi,"axG",@progbits,_ZN9rocsolver6v33100L31stedc_mergePrepare_SortD_kernelIfEEviiPT_lS3_Pi,comdat
	.globl	_ZN9rocsolver6v33100L31stedc_mergePrepare_SortD_kernelIfEEviiPT_lS3_Pi ; -- Begin function _ZN9rocsolver6v33100L31stedc_mergePrepare_SortD_kernelIfEEviiPT_lS3_Pi
	.p2align	8
	.type	_ZN9rocsolver6v33100L31stedc_mergePrepare_SortD_kernelIfEEviiPT_lS3_Pi,@function
_ZN9rocsolver6v33100L31stedc_mergePrepare_SortD_kernelIfEEviiPT_lS3_Pi: ; @_ZN9rocsolver6v33100L31stedc_mergePrepare_SortD_kernelIfEEviiPT_lS3_Pi
; %bb.0:
	s_clause 0x2
	s_load_b32 s16, s[0:1], 0x4
	s_load_b32 s3, s[0:1], 0x34
	s_load_b256 s[8:15], s[0:1], 0x8
	s_movk_i32 s0, 0xffec
	s_mov_b32 s1, -1
	s_mov_b32 s4, ttmp9
	s_ashr_i32 s5, ttmp9, 31
	s_mov_b32 s2, ttmp7
	v_mov_b32_e32 v2, 0
	s_wait_kmcnt 0x0
	s_mul_i32 s26, ttmp7, s16
	s_lshl_b32 s6, s16, 3
	s_mul_i32 s18, s26, 13
	s_ashr_i32 s17, s16, 31
	s_ashr_i32 s19, s18, 31
	;; [unrolled: 1-line block ×3, first 2 shown]
	s_lshl_b64 s[18:19], s[18:19], 2
	s_and_b32 s27, s3, 0xffff
	s_lshl_b64 s[30:31], s[16:17], 2
	s_lshl_b64 s[6:7], s[6:7], 2
	s_add_nc_u64 s[14:15], s[14:15], s[18:19]
	s_lshl_b32 s28, s27, 3
	s_sub_nc_u64 s[24:25], 0, s[30:31]
	s_add_nc_u64 s[22:23], s[14:15], s[6:7]
	s_cvt_f32_u32 s3, s28
	s_mul_u64 s[20:21], s[16:17], 12
	s_add_nc_u64 s[18:19], s[22:23], s[24:25]
	s_mul_u64 s[0:1], s[16:17], s[0:1]
	s_add_nc_u64 s[20:21], s[18:19], s[20:21]
	v_rcp_iflag_f32_e32 v1, s3
	s_lshl_b64 s[14:15], s[4:5], 2
	s_add_nc_u64 s[0:1], s[20:21], s[0:1]
	s_ashr_i32 s3, ttmp7, 31
	s_add_nc_u64 s[4:5], s[0:1], s[14:15]
	s_add_nc_u64 s[0:1], s[0:1], s[30:31]
	s_load_b32 s29, s[4:5], 0x0
	s_add_nc_u64 s[0:1], s[0:1], s[14:15]
	s_mul_u64 s[2:3], s[10:11], s[2:3]
	s_load_b32 s17, s[0:1], 0x0
	v_readfirstlane_b32 s4, v1
	s_lshl_b64 s[2:3], s[2:3], 2
	v_mov_b32_e32 v1, 0
	s_wait_alu 0xfffe
	s_add_nc_u64 s[24:25], s[8:9], s[2:3]
	s_sub_co_i32 s3, 0, s28
	s_mul_f32 s4, s4, 0x4f7ffffe
	s_delay_alu instid0(SALU_CYCLE_3) | instskip(SKIP_1) | instid1(SALU_CYCLE_2)
	s_cvt_u32_f32 s2, s4
	s_wait_alu 0xfffe
	s_mul_i32 s3, s3, s2
	s_wait_alu 0xfffe
	s_mul_hi_u32 s0, s2, s3
	s_wait_kmcnt 0x0
	s_add_co_i32 s3, s29, -1
	s_add_co_i32 s2, s2, s0
	s_wait_alu 0xfffe
	s_abs_i32 s4, s3
	s_add_nc_u64 s[0:1], s[24:25], s[14:15]
	s_mul_hi_u32 s2, s4, s2
	s_load_b32 s11, s[0:1], 0x0
	s_mul_i32 s0, s2, s28
	s_ashr_i32 s1, s3, 31
	s_sub_co_i32 s0, s4, s0
	s_add_co_i32 s3, s2, 1
	s_sub_co_i32 s4, s0, s28
	s_cmp_ge_u32 s0, s28
	s_wait_alu 0xfffe
	s_cselect_b32 s2, s3, s2
	s_cselect_b32 s0, s4, s0
	s_wait_alu 0xfffe
	s_add_co_i32 s3, s2, 1
	s_cmp_ge_u32 s0, s28
	s_wait_alu 0xfffe
	s_cselect_b32 s0, s3, s2
	s_delay_alu instid0(SALU_CYCLE_1) | instskip(NEXT) | instid1(SALU_CYCLE_1)
	s_xor_b32 s0, s0, s1
	s_sub_co_i32 s1, s0, s1
	s_mov_b32 s0, -1
	s_cmp_lt_i32 s1, 0
	s_cbranch_scc1 .LBB12_36
; %bb.1:
	s_add_nc_u64 s[2:3], s[22:23], s[14:15]
	v_dual_mov_b32 v1, 0 :: v_dual_mov_b32 v26, v0
	s_load_b32 s31, s[2:3], 0x0
	s_add_co_i32 s30, s1, 1
	s_lshl_b32 s0, s27, 1
	s_delay_alu instid0(VALU_DEP_1)
	v_dual_mov_b32 v8, v1 :: v_dual_mov_b32 v25, v1
	s_mul_i32 s1, s27, 3
	v_dual_mov_b32 v2, v1 :: v_dual_mov_b32 v3, v1
	v_dual_mov_b32 v4, v1 :: v_dual_mov_b32 v5, v1
	;; [unrolled: 1-line block ×3, first 2 shown]
	s_add_co_i32 s33, s17, s0
	s_add_co_i32 s34, s17, s1
	s_lshl_b32 s0, s27, 2
	s_mul_i32 s1, s27, 5
	v_mov_b32_e32 v9, v8
	v_dual_mov_b32 v23, v1 :: v_dual_mov_b32 v28, v1
	v_dual_mov_b32 v21, v1 :: v_dual_mov_b32 v8, v7
	v_mov_b32_e32 v13, v1
	v_mov_b32_e32 v11, v1
	;; [unrolled: 1-line block ×5, first 2 shown]
	v_dual_mov_b32 v19, v1 :: v_dual_mov_b32 v6, v5
	v_mov_b32_e32 v5, v4
	v_dual_mov_b32 v17, v1 :: v_dual_mov_b32 v4, v3
	v_mov_b32_e32 v3, v2
	v_dual_mov_b32 v15, v1 :: v_dual_mov_b32 v2, v1
	s_add_co_i32 s35, s17, s0
	s_add_co_i32 s36, s17, s1
	s_mul_i32 s0, s27, 6
	s_mul_i32 s1, s27, 7
	s_add_co_i32 s37, s17, s0
	s_add_co_i32 s38, s17, s1
	;; [unrolled: 1-line block ×3, first 2 shown]
	s_branch .LBB12_3
.LBB12_2:                               ;   in Loop: Header=BB12_3 Depth=1
	s_wait_alu 0xfffe
	s_or_b32 exec_lo, exec_lo, s4
	v_add_nc_u32_e32 v26, s28, v26
	s_add_co_i32 s30, s30, -1
	s_wait_alu 0xfffe
	s_cmp_eq_u32 s30, 0
	s_cbranch_scc1 .LBB12_35
.LBB12_3:                               ; =>This Inner Loop Header: Depth=1
	v_cmp_gt_i32_e64 s6, s29, v26
	v_add_nc_u32_e32 v24, s17, v26
	s_and_saveexec_b32 s0, s6
	s_cbranch_execz .LBB12_5
; %bb.4:                                ;   in Loop: Header=BB12_3 Depth=1
	s_wait_loadcnt 0x1
	s_delay_alu instid0(VALU_DEP_1) | instskip(NEXT) | instid1(VALU_DEP_1)
	v_ashrrev_i32_e32 v25, 31, v24
	v_lshlrev_b64_e32 v[30:31], 2, v[24:25]
	s_delay_alu instid0(VALU_DEP_1) | instskip(SKIP_1) | instid1(VALU_DEP_2)
	v_add_co_u32 v32, vcc_lo, s24, v30
	s_wait_alu 0xfffd
	v_add_co_ci_u32_e64 v33, null, s25, v31, vcc_lo
	v_add_co_u32 v30, vcc_lo, s22, v30
	s_wait_alu 0xfffd
	v_add_co_ci_u32_e64 v31, null, s23, v31, vcc_lo
	global_load_b32 v25, v[32:33], off
	s_wait_loadcnt 0x1
	global_load_b32 v2, v[30:31], off
.LBB12_5:                               ;   in Loop: Header=BB12_3 Depth=1
	s_wait_alu 0xfffe
	s_or_b32 exec_lo, exec_lo, s0
	v_add_nc_u32_e32 v10, s27, v26
	v_add_nc_u32_e32 v22, s39, v26
	s_delay_alu instid0(VALU_DEP_2)
	v_cmp_gt_i32_e64 s5, s29, v10
	s_and_saveexec_b32 s0, s5
	s_cbranch_execz .LBB12_7
; %bb.6:                                ;   in Loop: Header=BB12_3 Depth=1
	s_wait_loadcnt 0x1
	v_ashrrev_i32_e32 v23, 31, v22
	s_delay_alu instid0(VALU_DEP_1) | instskip(NEXT) | instid1(VALU_DEP_1)
	v_lshlrev_b64_e32 v[30:31], 2, v[22:23]
	v_add_co_u32 v32, vcc_lo, s24, v30
	s_wait_alu 0xfffd
	s_delay_alu instid0(VALU_DEP_2)
	v_add_co_ci_u32_e64 v33, null, s25, v31, vcc_lo
	v_add_co_u32 v30, vcc_lo, s22, v30
	s_wait_alu 0xfffd
	v_add_co_ci_u32_e64 v31, null, s23, v31, vcc_lo
	global_load_b32 v23, v[32:33], off
	s_wait_loadcnt 0x1
	global_load_b32 v3, v[30:31], off
.LBB12_7:                               ;   in Loop: Header=BB12_3 Depth=1
	s_wait_alu 0xfffe
	s_or_b32 exec_lo, exec_lo, s0
	v_add_nc_u32_e32 v10, s27, v10
	v_add_nc_u32_e32 v20, s33, v26
	s_delay_alu instid0(VALU_DEP_2)
	v_cmp_gt_i32_e64 s4, s29, v10
	s_and_saveexec_b32 s0, s4
	s_cbranch_execz .LBB12_9
; %bb.8:                                ;   in Loop: Header=BB12_3 Depth=1
	s_wait_loadcnt 0x1
	v_ashrrev_i32_e32 v21, 31, v20
	s_delay_alu instid0(VALU_DEP_1) | instskip(NEXT) | instid1(VALU_DEP_1)
	v_lshlrev_b64_e32 v[30:31], 2, v[20:21]
	v_add_co_u32 v32, vcc_lo, s24, v30
	s_wait_alu 0xfffd
	s_delay_alu instid0(VALU_DEP_2)
	v_add_co_ci_u32_e64 v33, null, s25, v31, vcc_lo
	v_add_co_u32 v30, vcc_lo, s22, v30
	s_wait_alu 0xfffd
	v_add_co_ci_u32_e64 v31, null, s23, v31, vcc_lo
	global_load_b32 v21, v[32:33], off
	s_wait_loadcnt 0x1
	global_load_b32 v4, v[30:31], off
.LBB12_9:                               ;   in Loop: Header=BB12_3 Depth=1
	s_wait_alu 0xfffe
	s_or_b32 exec_lo, exec_lo, s0
	v_add_nc_u32_e32 v10, s27, v10
	v_add_nc_u32_e32 v18, s34, v26
	s_delay_alu instid0(VALU_DEP_2)
	v_cmp_gt_i32_e64 s3, s29, v10
	s_and_saveexec_b32 s0, s3
	s_cbranch_execz .LBB12_11
; %bb.10:                               ;   in Loop: Header=BB12_3 Depth=1
	s_wait_loadcnt 0x1
	v_ashrrev_i32_e32 v19, 31, v18
	s_delay_alu instid0(VALU_DEP_1) | instskip(NEXT) | instid1(VALU_DEP_1)
	v_lshlrev_b64_e32 v[30:31], 2, v[18:19]
	v_add_co_u32 v32, vcc_lo, s24, v30
	s_wait_alu 0xfffd
	s_delay_alu instid0(VALU_DEP_2)
	v_add_co_ci_u32_e64 v33, null, s25, v31, vcc_lo
	v_add_co_u32 v30, vcc_lo, s22, v30
	s_wait_alu 0xfffd
	v_add_co_ci_u32_e64 v31, null, s23, v31, vcc_lo
	global_load_b32 v19, v[32:33], off
	s_wait_loadcnt 0x1
	global_load_b32 v5, v[30:31], off
.LBB12_11:                              ;   in Loop: Header=BB12_3 Depth=1
	s_wait_alu 0xfffe
	s_or_b32 exec_lo, exec_lo, s0
	v_add_nc_u32_e32 v10, s27, v10
	v_add_nc_u32_e32 v16, s35, v26
	s_delay_alu instid0(VALU_DEP_2)
	v_cmp_gt_i32_e64 s2, s29, v10
	s_and_saveexec_b32 s0, s2
	s_cbranch_execz .LBB12_13
; %bb.12:                               ;   in Loop: Header=BB12_3 Depth=1
	s_wait_loadcnt 0x1
	v_ashrrev_i32_e32 v17, 31, v16
	s_delay_alu instid0(VALU_DEP_1) | instskip(NEXT) | instid1(VALU_DEP_1)
	v_lshlrev_b64_e32 v[30:31], 2, v[16:17]
	v_add_co_u32 v32, vcc_lo, s24, v30
	s_wait_alu 0xfffd
	s_delay_alu instid0(VALU_DEP_2)
	v_add_co_ci_u32_e64 v33, null, s25, v31, vcc_lo
	v_add_co_u32 v30, vcc_lo, s22, v30
	s_wait_alu 0xfffd
	v_add_co_ci_u32_e64 v31, null, s23, v31, vcc_lo
	global_load_b32 v17, v[32:33], off
	s_wait_loadcnt 0x1
	global_load_b32 v6, v[30:31], off
.LBB12_13:                              ;   in Loop: Header=BB12_3 Depth=1
	;; [unrolled: 24-line block ×4, first 2 shown]
	s_wait_alu 0xfffe
	s_or_b32 exec_lo, exec_lo, s7
	v_add_nc_u32_e32 v10, s27, v10
	s_delay_alu instid0(VALU_DEP_1)
	v_cmp_gt_i32_e32 vcc_lo, s29, v10
	v_add_nc_u32_e32 v10, s38, v26
	s_and_saveexec_b32 s8, vcc_lo
	s_cbranch_execnz .LBB12_26
; %bb.18:                               ;   in Loop: Header=BB12_3 Depth=1
	s_wait_alu 0xfffe
	s_or_b32 exec_lo, exec_lo, s8
	s_and_saveexec_b32 s40, s6
	s_cbranch_execnz .LBB12_27
.LBB12_19:                              ;   in Loop: Header=BB12_3 Depth=1
	s_or_b32 exec_lo, exec_lo, s40
	s_and_saveexec_b32 s10, s5
	s_cbranch_execnz .LBB12_28
.LBB12_20:                              ;   in Loop: Header=BB12_3 Depth=1
	s_wait_alu 0xfffe
	s_or_b32 exec_lo, exec_lo, s10
	s_and_saveexec_b32 s9, s4
	s_cbranch_execnz .LBB12_29
.LBB12_21:                              ;   in Loop: Header=BB12_3 Depth=1
	s_wait_alu 0xfffe
	s_or_b32 exec_lo, exec_lo, s9
	s_and_saveexec_b32 s8, s3
	s_cbranch_execnz .LBB12_30
.LBB12_22:                              ;   in Loop: Header=BB12_3 Depth=1
	s_wait_alu 0xfffe
	s_or_b32 exec_lo, exec_lo, s8
	s_and_saveexec_b32 s7, s2
	s_cbranch_execnz .LBB12_31
.LBB12_23:                              ;   in Loop: Header=BB12_3 Depth=1
	s_wait_alu 0xfffe
	s_or_b32 exec_lo, exec_lo, s7
	s_and_saveexec_b32 s6, s1
	s_cbranch_execnz .LBB12_32
.LBB12_24:                              ;   in Loop: Header=BB12_3 Depth=1
	s_wait_alu 0xfffe
	s_or_b32 exec_lo, exec_lo, s6
	s_and_saveexec_b32 s5, s0
	s_cbranch_execnz .LBB12_33
.LBB12_25:                              ;   in Loop: Header=BB12_3 Depth=1
	s_wait_alu 0xfffe
	s_or_b32 exec_lo, exec_lo, s5
	s_and_saveexec_b32 s4, vcc_lo
	s_cbranch_execz .LBB12_2
	s_branch .LBB12_34
.LBB12_26:                              ;   in Loop: Header=BB12_3 Depth=1
	s_wait_loadcnt 0x1
	s_delay_alu instid0(VALU_DEP_1) | instskip(NEXT) | instid1(VALU_DEP_1)
	v_ashrrev_i32_e32 v11, 31, v10
	v_lshlrev_b64_e32 v[30:31], 2, v[10:11]
	s_delay_alu instid0(VALU_DEP_1) | instskip(SKIP_1) | instid1(VALU_DEP_2)
	v_add_co_u32 v32, s7, s24, v30
	s_wait_alu 0xf1ff
	v_add_co_ci_u32_e64 v33, null, s25, v31, s7
	v_add_co_u32 v30, s7, s22, v30
	s_wait_alu 0xf1ff
	v_add_co_ci_u32_e64 v31, null, s23, v31, s7
	global_load_b32 v11, v[32:33], off
	s_wait_loadcnt 0x1
	global_load_b32 v9, v[30:31], off
	s_wait_alu 0xfffe
	s_or_b32 exec_lo, exec_lo, s8
	s_and_saveexec_b32 s40, s6
	s_cbranch_execz .LBB12_19
.LBB12_27:                              ;   in Loop: Header=BB12_3 Depth=1
	s_wait_loadcnt 0x1
	v_cmp_u_f32_e64 s6, v25, v25
	s_wait_loadcnt 0x0
	s_wait_kmcnt 0x0
	v_cmp_eq_u32_e64 s7, s31, v2
	v_cmp_gt_f32_e64 s8, s11, v25
	v_cmp_lt_i32_e64 s10, 0, v2
	v_cmp_eq_f32_e64 s9, s11, v25
	s_wait_alu 0xf1ff
	v_add_co_ci_u32_e64 v27, null, 0, v27, s6
	v_cmp_lt_i32_e64 s6, s31, v2
	v_add_co_ci_u32_e64 v1, null, 0, v1, s10
	s_and_b32 s10, s7, s8
	v_cmp_gt_i32_e64 s8, ttmp9, v24
	s_and_b32 s7, s7, s9
	s_wait_alu 0xfffe
	s_or_b32 s6, s6, s10
	s_wait_alu 0xfffe
	v_add_co_ci_u32_e64 v29, null, 0, v29, s6
	s_and_b32 s6, s7, s8
	s_wait_alu 0xfffe
	v_add_co_ci_u32_e64 v28, null, 0, v28, s6
	s_or_b32 exec_lo, exec_lo, s40
	s_and_saveexec_b32 s10, s5
	s_cbranch_execz .LBB12_20
.LBB12_28:                              ;   in Loop: Header=BB12_3 Depth=1
	s_wait_loadcnt 0x1
	v_cmp_u_f32_e64 s5, v23, v23
	s_wait_loadcnt 0x0
	s_wait_kmcnt 0x0
	v_cmp_eq_u32_e64 s6, s31, v3
	v_cmp_gt_f32_e64 s7, s11, v23
	v_cmp_lt_i32_e64 s9, 0, v3
	v_cmp_eq_f32_e64 s8, s11, v23
	s_wait_alu 0xf1ff
	v_add_co_ci_u32_e64 v27, null, 0, v27, s5
	v_cmp_lt_i32_e64 s5, s31, v3
	v_add_co_ci_u32_e64 v1, null, 0, v1, s9
	s_and_b32 s9, s6, s7
	v_cmp_gt_i32_e64 s7, ttmp9, v22
	s_and_b32 s6, s6, s8
	s_wait_alu 0xfffe
	s_or_b32 s5, s5, s9
	s_wait_alu 0xfffe
	v_add_co_ci_u32_e64 v29, null, 0, v29, s5
	s_and_b32 s5, s6, s7
	s_wait_alu 0xfffe
	v_add_co_ci_u32_e64 v28, null, 0, v28, s5
	s_or_b32 exec_lo, exec_lo, s10
	s_and_saveexec_b32 s9, s4
	s_cbranch_execz .LBB12_21
.LBB12_29:                              ;   in Loop: Header=BB12_3 Depth=1
	s_wait_loadcnt 0x1
	v_cmp_u_f32_e64 s4, v21, v21
	s_wait_loadcnt 0x0
	s_wait_kmcnt 0x0
	v_cmp_eq_u32_e64 s5, s31, v4
	v_cmp_gt_f32_e64 s6, s11, v21
	v_cmp_lt_i32_e64 s8, 0, v4
	v_cmp_eq_f32_e64 s7, s11, v21
	s_wait_alu 0xf1ff
	v_add_co_ci_u32_e64 v27, null, 0, v27, s4
	v_cmp_lt_i32_e64 s4, s31, v4
	v_add_co_ci_u32_e64 v1, null, 0, v1, s8
	s_and_b32 s8, s5, s6
	v_cmp_gt_i32_e64 s6, ttmp9, v20
	s_and_b32 s5, s5, s7
	s_wait_alu 0xfffe
	s_or_b32 s4, s4, s8
	s_wait_alu 0xfffe
	v_add_co_ci_u32_e64 v29, null, 0, v29, s4
	s_and_b32 s4, s5, s6
	s_wait_alu 0xfffe
	v_add_co_ci_u32_e64 v28, null, 0, v28, s4
	s_or_b32 exec_lo, exec_lo, s9
	s_and_saveexec_b32 s8, s3
	s_cbranch_execz .LBB12_22
.LBB12_30:                              ;   in Loop: Header=BB12_3 Depth=1
	s_wait_loadcnt 0x1
	v_cmp_u_f32_e64 s3, v19, v19
	s_wait_loadcnt 0x0
	s_wait_kmcnt 0x0
	v_cmp_eq_u32_e64 s4, s31, v5
	v_cmp_gt_f32_e64 s5, s11, v19
	v_cmp_lt_i32_e64 s7, 0, v5
	v_cmp_eq_f32_e64 s6, s11, v19
	s_wait_alu 0xf1ff
	v_add_co_ci_u32_e64 v27, null, 0, v27, s3
	v_cmp_lt_i32_e64 s3, s31, v5
	v_add_co_ci_u32_e64 v1, null, 0, v1, s7
	s_and_b32 s7, s4, s5
	v_cmp_gt_i32_e64 s5, ttmp9, v18
	s_and_b32 s4, s4, s6
	s_wait_alu 0xfffe
	s_or_b32 s3, s3, s7
	s_wait_alu 0xfffe
	v_add_co_ci_u32_e64 v29, null, 0, v29, s3
	s_and_b32 s3, s4, s5
	s_wait_alu 0xfffe
	v_add_co_ci_u32_e64 v28, null, 0, v28, s3
	s_or_b32 exec_lo, exec_lo, s8
	s_and_saveexec_b32 s7, s2
	s_cbranch_execz .LBB12_23
.LBB12_31:                              ;   in Loop: Header=BB12_3 Depth=1
	s_wait_loadcnt 0x1
	v_cmp_u_f32_e64 s2, v17, v17
	s_wait_loadcnt 0x0
	s_wait_kmcnt 0x0
	v_cmp_eq_u32_e64 s3, s31, v6
	v_cmp_gt_f32_e64 s4, s11, v17
	v_cmp_lt_i32_e64 s6, 0, v6
	v_cmp_eq_f32_e64 s5, s11, v17
	s_wait_alu 0xf1ff
	v_add_co_ci_u32_e64 v27, null, 0, v27, s2
	v_cmp_lt_i32_e64 s2, s31, v6
	v_add_co_ci_u32_e64 v1, null, 0, v1, s6
	s_and_b32 s6, s3, s4
	v_cmp_gt_i32_e64 s4, ttmp9, v16
	s_and_b32 s3, s3, s5
	s_wait_alu 0xfffe
	s_or_b32 s2, s2, s6
	s_wait_alu 0xfffe
	v_add_co_ci_u32_e64 v29, null, 0, v29, s2
	s_and_b32 s2, s3, s4
	s_wait_alu 0xfffe
	v_add_co_ci_u32_e64 v28, null, 0, v28, s2
	s_or_b32 exec_lo, exec_lo, s7
	s_and_saveexec_b32 s6, s1
	s_cbranch_execz .LBB12_24
.LBB12_32:                              ;   in Loop: Header=BB12_3 Depth=1
	s_wait_loadcnt 0x1
	v_cmp_u_f32_e64 s1, v15, v15
	s_wait_loadcnt 0x0
	s_wait_kmcnt 0x0
	v_cmp_eq_u32_e64 s2, s31, v7
	v_cmp_gt_f32_e64 s3, s11, v15
	v_cmp_lt_i32_e64 s5, 0, v7
	v_cmp_eq_f32_e64 s4, s11, v15
	s_wait_alu 0xf1ff
	v_add_co_ci_u32_e64 v27, null, 0, v27, s1
	v_cmp_lt_i32_e64 s1, s31, v7
	v_add_co_ci_u32_e64 v1, null, 0, v1, s5
	s_and_b32 s5, s2, s3
	v_cmp_gt_i32_e64 s3, ttmp9, v14
	s_and_b32 s2, s2, s4
	s_wait_alu 0xfffe
	s_or_b32 s1, s1, s5
	s_wait_alu 0xfffe
	v_add_co_ci_u32_e64 v29, null, 0, v29, s1
	s_and_b32 s1, s2, s3
	s_wait_alu 0xfffe
	v_add_co_ci_u32_e64 v28, null, 0, v28, s1
	s_or_b32 exec_lo, exec_lo, s6
	s_and_saveexec_b32 s5, s0
	s_cbranch_execz .LBB12_25
.LBB12_33:                              ;   in Loop: Header=BB12_3 Depth=1
	s_wait_loadcnt 0x1
	v_cmp_u_f32_e64 s0, v13, v13
	s_wait_loadcnt 0x0
	s_wait_kmcnt 0x0
	v_cmp_eq_u32_e64 s1, s31, v8
	v_cmp_gt_f32_e64 s2, s11, v13
	v_cmp_lt_i32_e64 s4, 0, v8
	v_cmp_eq_f32_e64 s3, s11, v13
	s_wait_alu 0xf1ff
	v_add_co_ci_u32_e64 v27, null, 0, v27, s0
	v_cmp_lt_i32_e64 s0, s31, v8
	v_add_co_ci_u32_e64 v1, null, 0, v1, s4
	s_and_b32 s4, s1, s2
	v_cmp_gt_i32_e64 s2, ttmp9, v12
	s_and_b32 s1, s1, s3
	s_wait_alu 0xfffe
	s_or_b32 s0, s0, s4
	s_wait_alu 0xfffe
	v_add_co_ci_u32_e64 v29, null, 0, v29, s0
	s_and_b32 s0, s1, s2
	s_wait_alu 0xfffe
	v_add_co_ci_u32_e64 v28, null, 0, v28, s0
	s_or_b32 exec_lo, exec_lo, s5
	s_and_saveexec_b32 s4, vcc_lo
	s_cbranch_execz .LBB12_2
.LBB12_34:                              ;   in Loop: Header=BB12_3 Depth=1
	s_wait_loadcnt 0x1
	v_cmp_u_f32_e32 vcc_lo, v11, v11
	s_wait_loadcnt 0x0
	s_wait_kmcnt 0x0
	v_cmp_eq_u32_e64 s0, s31, v9
	v_cmp_gt_f32_e64 s1, s11, v11
	v_cmp_lt_i32_e64 s3, 0, v9
	v_cmp_eq_f32_e64 s2, s11, v11
	s_wait_alu 0xfffd
	v_add_co_ci_u32_e64 v27, null, 0, v27, vcc_lo
	v_cmp_lt_i32_e32 vcc_lo, s31, v9
	s_wait_alu 0xf1ff
	v_add_co_ci_u32_e64 v1, null, 0, v1, s3
	s_and_b32 s3, s0, s1
	v_cmp_gt_i32_e64 s1, ttmp9, v10
	s_and_b32 s0, s0, s2
	s_wait_alu 0xfffe
	s_or_b32 vcc_lo, vcc_lo, s3
	s_wait_alu 0xfffe
	v_add_co_ci_u32_e64 v29, null, 0, v29, vcc_lo
	s_and_b32 vcc_lo, s0, s1
	s_wait_alu 0xfffe
	v_add_co_ci_u32_e64 v28, null, 0, v28, vcc_lo
	s_branch .LBB12_2
.LBB12_35:
	s_wait_loadcnt 0x0
	v_add_nc_u32_e32 v2, v28, v29
	v_cmp_eq_u32_e64 s0, 0, v27
.LBB12_36:
	v_lshlrev_b32_e32 v3, 2, v0
	s_cmp_lt_u32 s27, 2
	ds_store_2addr_stride64_b32 v3, v1, v2 offset1:8
	s_cbranch_scc1 .LBB12_42
; %bb.37:
	v_or_b32_e32 v4, 0x800, v3
.LBB12_38:                              ; =>This Inner Loop Header: Depth=1
	s_wait_alu 0xfffe
	s_lshr_b32 s1, s27, 1
	s_mov_b32 s2, exec_lo
	s_wait_dscnt 0x0
	s_barrier_signal -1
	s_barrier_wait -1
	global_inv scope:SCOPE_SE
	s_wait_alu 0xfffe
	v_cmpx_gt_u32_e64 s1, v0
	s_cbranch_execz .LBB12_40
; %bb.39:                               ;   in Loop: Header=BB12_38 Depth=1
	s_lshl_b32 s3, s1, 2
	s_wait_alu 0xfffe
	v_add_nc_u32_e32 v5, s3, v4
	v_add_nc_u32_e32 v6, s3, v3
	ds_load_b32 v5, v5
	ds_load_b32 v6, v6
	s_wait_dscnt 0x1
	v_add_nc_u32_e32 v2, v5, v2
	s_wait_dscnt 0x0
	v_add_nc_u32_e32 v1, v6, v1
	ds_store_b32 v4, v2
	ds_store_b32 v3, v1
.LBB12_40:                              ;   in Loop: Header=BB12_38 Depth=1
	s_or_b32 exec_lo, exec_lo, s2
	s_cmp_lt_u32 s27, 4
	s_cbranch_scc1 .LBB12_42
; %bb.41:                               ;   in Loop: Header=BB12_38 Depth=1
	s_mov_b32 s27, s1
	s_branch .LBB12_38
.LBB12_42:
	s_xor_b32 s2, s0, -1
	s_mul_i32 s0, s26, 10
	s_mul_i32 s4, s16, 6
	s_wait_alu 0xfffe
	s_ashr_i32 s1, s0, 31
	s_ashr_i32 s5, s4, 31
	s_wait_alu 0xfffe
	s_lshl_b64 s[0:1], s[0:1], 2
	s_lshl_b64 s[4:5], s[4:5], 2
	s_wait_alu 0xfffe
	s_add_nc_u64 s[0:1], s[12:13], s[0:1]
	s_mov_b32 s3, exec_lo
	s_wait_alu 0xfffe
	s_add_nc_u64 s[0:1], s[0:1], s[4:5]
	v_cmpx_eq_u32_e32 0, v0
	s_cbranch_execz .LBB12_44
; %bb.43:
	v_add_nc_u32_e32 v2, s17, v2
	s_wait_alu 0xfffe
	v_mov_b32_e32 v0, ttmp9
	s_wait_kmcnt 0x0
	v_mov_b32_e32 v8, s11
	v_ashrrev_i32_e32 v3, 31, v2
	s_delay_alu instid0(VALU_DEP_1) | instskip(NEXT) | instid1(VALU_DEP_1)
	v_lshlrev_b64_e32 v[2:3], 2, v[2:3]
	v_add_co_u32 v4, vcc_lo, s20, v2
	s_wait_alu 0xfffd
	s_delay_alu instid0(VALU_DEP_2)
	v_add_co_ci_u32_e64 v5, null, s21, v3, vcc_lo
	v_add_co_u32 v6, vcc_lo, s18, v2
	s_wait_alu 0xfffd
	v_add_co_ci_u32_e64 v7, null, s19, v3, vcc_lo
	v_add_co_u32 v2, vcc_lo, s0, v2
	s_wait_alu 0xfffd
	v_add_co_ci_u32_e64 v3, null, s1, v3, vcc_lo
	s_clause 0x1
	global_store_b32 v[6:7], v1, off
	global_store_b32 v[4:5], v0, off
	;; [unrolled: 1-line block ×3, first 2 shown]
.LBB12_44:
	s_or_b32 exec_lo, exec_lo, s3
	s_wait_storecnt 0x0
	s_wait_loadcnt_dscnt 0x0
	s_barrier_signal -1
	s_barrier_wait -1
	global_inv scope:SCOPE_SE
	s_and_saveexec_b32 s3, s2
	s_cbranch_execz .LBB12_46
; %bb.45:
	v_dual_mov_b32 v0, 0 :: v_dual_mov_b32 v1, 0x7fc00000
	s_wait_alu 0xfffe
	s_add_nc_u64 s[0:1], s[0:1], s[14:15]
	global_store_b32 v0, v1, s[0:1]
.LBB12_46:
	s_endpgm
	.section	.rodata,"a",@progbits
	.p2align	6, 0x0
	.amdhsa_kernel _ZN9rocsolver6v33100L31stedc_mergePrepare_SortD_kernelIfEEviiPT_lS3_Pi
		.amdhsa_group_segment_fixed_size 4096
		.amdhsa_private_segment_fixed_size 0
		.amdhsa_kernarg_size 296
		.amdhsa_user_sgpr_count 2
		.amdhsa_user_sgpr_dispatch_ptr 0
		.amdhsa_user_sgpr_queue_ptr 0
		.amdhsa_user_sgpr_kernarg_segment_ptr 1
		.amdhsa_user_sgpr_dispatch_id 0
		.amdhsa_user_sgpr_private_segment_size 0
		.amdhsa_wavefront_size32 1
		.amdhsa_uses_dynamic_stack 0
		.amdhsa_enable_private_segment 0
		.amdhsa_system_sgpr_workgroup_id_x 1
		.amdhsa_system_sgpr_workgroup_id_y 1
		.amdhsa_system_sgpr_workgroup_id_z 0
		.amdhsa_system_sgpr_workgroup_info 0
		.amdhsa_system_vgpr_workitem_id 0
		.amdhsa_next_free_vgpr 34
		.amdhsa_next_free_sgpr 41
		.amdhsa_reserve_vcc 1
		.amdhsa_float_round_mode_32 0
		.amdhsa_float_round_mode_16_64 0
		.amdhsa_float_denorm_mode_32 3
		.amdhsa_float_denorm_mode_16_64 3
		.amdhsa_fp16_overflow 0
		.amdhsa_workgroup_processor_mode 1
		.amdhsa_memory_ordered 1
		.amdhsa_forward_progress 1
		.amdhsa_inst_pref_size 26
		.amdhsa_round_robin_scheduling 0
		.amdhsa_exception_fp_ieee_invalid_op 0
		.amdhsa_exception_fp_denorm_src 0
		.amdhsa_exception_fp_ieee_div_zero 0
		.amdhsa_exception_fp_ieee_overflow 0
		.amdhsa_exception_fp_ieee_underflow 0
		.amdhsa_exception_fp_ieee_inexact 0
		.amdhsa_exception_int_div_zero 0
	.end_amdhsa_kernel
	.section	.text._ZN9rocsolver6v33100L31stedc_mergePrepare_SortD_kernelIfEEviiPT_lS3_Pi,"axG",@progbits,_ZN9rocsolver6v33100L31stedc_mergePrepare_SortD_kernelIfEEviiPT_lS3_Pi,comdat
.Lfunc_end12:
	.size	_ZN9rocsolver6v33100L31stedc_mergePrepare_SortD_kernelIfEEviiPT_lS3_Pi, .Lfunc_end12-_ZN9rocsolver6v33100L31stedc_mergePrepare_SortD_kernelIfEEviiPT_lS3_Pi
                                        ; -- End function
	.set _ZN9rocsolver6v33100L31stedc_mergePrepare_SortD_kernelIfEEviiPT_lS3_Pi.num_vgpr, 34
	.set _ZN9rocsolver6v33100L31stedc_mergePrepare_SortD_kernelIfEEviiPT_lS3_Pi.num_agpr, 0
	.set _ZN9rocsolver6v33100L31stedc_mergePrepare_SortD_kernelIfEEviiPT_lS3_Pi.numbered_sgpr, 41
	.set _ZN9rocsolver6v33100L31stedc_mergePrepare_SortD_kernelIfEEviiPT_lS3_Pi.num_named_barrier, 0
	.set _ZN9rocsolver6v33100L31stedc_mergePrepare_SortD_kernelIfEEviiPT_lS3_Pi.private_seg_size, 0
	.set _ZN9rocsolver6v33100L31stedc_mergePrepare_SortD_kernelIfEEviiPT_lS3_Pi.uses_vcc, 1
	.set _ZN9rocsolver6v33100L31stedc_mergePrepare_SortD_kernelIfEEviiPT_lS3_Pi.uses_flat_scratch, 0
	.set _ZN9rocsolver6v33100L31stedc_mergePrepare_SortD_kernelIfEEviiPT_lS3_Pi.has_dyn_sized_stack, 0
	.set _ZN9rocsolver6v33100L31stedc_mergePrepare_SortD_kernelIfEEviiPT_lS3_Pi.has_recursion, 0
	.set _ZN9rocsolver6v33100L31stedc_mergePrepare_SortD_kernelIfEEviiPT_lS3_Pi.has_indirect_call, 0
	.section	.AMDGPU.csdata,"",@progbits
; Kernel info:
; codeLenInByte = 3284
; TotalNumSgprs: 43
; NumVgprs: 34
; ScratchSize: 0
; MemoryBound: 0
; FloatMode: 240
; IeeeMode: 1
; LDSByteSize: 4096 bytes/workgroup (compile time only)
; SGPRBlocks: 0
; VGPRBlocks: 4
; NumSGPRsForWavesPerEU: 43
; NumVGPRsForWavesPerEU: 34
; Occupancy: 16
; WaveLimiterHint : 1
; COMPUTE_PGM_RSRC2:SCRATCH_EN: 0
; COMPUTE_PGM_RSRC2:USER_SGPR: 2
; COMPUTE_PGM_RSRC2:TRAP_HANDLER: 0
; COMPUTE_PGM_RSRC2:TGID_X_EN: 1
; COMPUTE_PGM_RSRC2:TGID_Y_EN: 1
; COMPUTE_PGM_RSRC2:TGID_Z_EN: 0
; COMPUTE_PGM_RSRC2:TIDIG_COMP_CNT: 0
	.section	.text._ZN9rocsolver6v33100L38stedc_mergePrepare_SetCandFlags_kernelIfEEviiPT_lS3_Pi,"axG",@progbits,_ZN9rocsolver6v33100L38stedc_mergePrepare_SetCandFlags_kernelIfEEviiPT_lS3_Pi,comdat
	.globl	_ZN9rocsolver6v33100L38stedc_mergePrepare_SetCandFlags_kernelIfEEviiPT_lS3_Pi ; -- Begin function _ZN9rocsolver6v33100L38stedc_mergePrepare_SetCandFlags_kernelIfEEviiPT_lS3_Pi
	.p2align	8
	.type	_ZN9rocsolver6v33100L38stedc_mergePrepare_SetCandFlags_kernelIfEEviiPT_lS3_Pi,@function
_ZN9rocsolver6v33100L38stedc_mergePrepare_SetCandFlags_kernelIfEEviiPT_lS3_Pi: ; @_ZN9rocsolver6v33100L38stedc_mergePrepare_SetCandFlags_kernelIfEEviiPT_lS3_Pi
; %bb.0:
	s_clause 0x1
	s_load_b32 s2, s[0:1], 0x34
	s_load_b32 s4, s[0:1], 0x4
	s_wait_kmcnt 0x0
	s_and_b32 s2, s2, 0xffff
	s_delay_alu instid0(SALU_CYCLE_1)
	v_mad_co_u64_u32 v[0:1], null, ttmp9, s2, v[0:1]
	s_mov_b32 s2, exec_lo
	v_cmpx_gt_i32_e64 s4, v0
	s_cbranch_execz .LBB13_6
; %bb.1:
	s_load_b128 s[0:3], s[0:1], 0x18
	s_mul_i32 s9, s4, ttmp7
	v_ashrrev_i32_e32 v1, 31, v0
	s_mul_i32 s10, s9, 13
	s_mul_i32 s6, s4, 6
	;; [unrolled: 1-line block ×3, first 2 shown]
	s_ashr_i32 s11, s10, 31
	s_lshl_b32 s8, s4, 2
	s_ashr_i32 s7, s6, 31
	s_ashr_i32 s15, s14, 31
	s_lshl_b64 s[10:11], s[10:11], 2
	s_ashr_i32 s5, s4, 31
	v_max_i32_e32 v3, 1, v0
	s_ashr_i32 s9, s8, 31
	s_lshl_b64 s[6:7], s[6:7], 2
	s_lshl_b64 s[14:15], s[14:15], 2
	v_lshlrev_b64_e32 v[1:2], 2, v[0:1]
	s_wait_alu 0xfffe
	s_mul_u64 s[12:13], s[4:5], 20
	s_lshl_b64 s[18:19], s[4:5], 4
	s_lshl_b64 s[8:9], s[8:9], 2
	s_wait_kmcnt 0x0
	s_add_nc_u64 s[2:3], s[2:3], s[10:11]
	s_add_nc_u64 s[10:11], s[0:1], s[14:15]
	s_wait_alu 0xfffe
	s_add_nc_u64 s[0:1], s[2:3], s[6:7]
	s_add_nc_u64 s[8:9], s[10:11], s[8:9]
	s_wait_alu 0xfffe
	s_add_nc_u64 s[2:3], s[0:1], s[12:13]
	s_sub_nc_u64 s[10:11], 0, s[18:19]
	v_dual_mov_b32 v4, 0 :: v_dual_add_nc_u32 v3, -1, v3
	s_wait_alu 0xfffe
	s_add_nc_u64 s[10:11], s[2:3], s[10:11]
	v_add_co_u32 v6, vcc_lo, s8, v1
	s_delay_alu instid0(VALU_DEP_1)
	v_add_co_ci_u32_e64 v7, null, s9, v2, vcc_lo
	v_add_co_u32 v10, vcc_lo, s10, v1
	s_lshl_b64 s[16:17], s[4:5], 3
	v_lshlrev_b64_e32 v[8:9], 2, v[3:4]
	s_wait_alu 0xfffd
	v_add_co_ci_u32_e64 v11, null, s11, v2, vcc_lo
	v_add_co_u32 v12, vcc_lo, s0, v1
	s_add_nc_u64 s[6:7], s[8:9], s[16:17]
	s_wait_alu 0xfffd
	v_add_co_ci_u32_e64 v13, null, s1, v2, vcc_lo
	v_add_co_u32 v14, vcc_lo, s6, v1
	s_wait_alu 0xfffd
	v_add_co_ci_u32_e64 v15, null, s7, v2, vcc_lo
	s_clause 0x1
	global_load_b32 v3, v[10:11], off
	global_load_b32 v5, v[12:13], off
	v_add_co_u32 v10, vcc_lo, s6, v8
	s_wait_alu 0xfffd
	v_add_co_ci_u32_e64 v11, null, s7, v9, vcc_lo
	v_add_co_u32 v12, vcc_lo, s0, v8
	s_wait_alu 0xfffd
	v_add_co_ci_u32_e64 v13, null, s1, v9, vcc_lo
	s_clause 0x2
	global_load_b32 v6, v[6:7], off
	global_load_b32 v7, v[14:15], off
	;; [unrolled: 1-line block ×4, first 2 shown]
	s_mov_b32 s5, exec_lo
	s_wait_loadcnt 0x5
	v_add_nc_u32_e32 v11, -1, v3
	s_wait_loadcnt 0x4
	v_sub_nc_u32_e32 v10, v0, v5
	s_delay_alu instid0(VALU_DEP_1)
	v_cmpx_lt_i32_e64 v10, v11
	s_cbranch_execz .LBB13_5
; %bb.2:
	v_add_nc_u32_e32 v4, 1, v0
	s_delay_alu instid0(VALU_DEP_1) | instskip(SKIP_2) | instid1(VALU_DEP_1)
	v_cmp_gt_i32_e32 vcc_lo, s4, v4
	s_wait_alu 0xfffd
	v_cndmask_b32_e32 v11, v0, v4, vcc_lo
	v_ashrrev_i32_e32 v12, 31, v11
	s_delay_alu instid0(VALU_DEP_1) | instskip(NEXT) | instid1(VALU_DEP_1)
	v_lshlrev_b64_e32 v[11:12], 2, v[11:12]
	v_add_co_u32 v13, vcc_lo, s6, v11
	s_wait_alu 0xfffd
	s_delay_alu instid0(VALU_DEP_2)
	v_add_co_ci_u32_e64 v14, null, s7, v12, vcc_lo
	v_add_co_u32 v11, vcc_lo, s0, v11
	s_wait_alu 0xfffd
	v_add_co_ci_u32_e64 v12, null, s1, v12, vcc_lo
	global_load_b32 v4, v[13:14], off
	global_load_b32 v11, v[11:12], off
	s_wait_loadcnt 0x1
	v_sub_f32_e32 v4, v7, v4
	s_wait_loadcnt 0x0
	v_cmp_eq_u32_e32 vcc_lo, v5, v11
	s_delay_alu instid0(VALU_DEP_2)
	v_cmp_le_f32_e64 s0, |v4|, v6
	v_mov_b32_e32 v4, 0
	s_and_b32 s1, vcc_lo, s0
	s_wait_alu 0xfffe
	s_and_saveexec_b32 s0, s1
; %bb.3:
	s_add_co_i32 s1, s4, -1
	s_wait_alu 0xfffe
	v_cmp_ne_u32_e32 vcc_lo, s1, v0
	s_wait_alu 0xfffd
	v_cndmask_b32_e64 v4, 0, 1, vcc_lo
; %bb.4:
	s_or_b32 exec_lo, exec_lo, s0
.LBB13_5:
	s_wait_alu 0xfffe
	s_or_b32 exec_lo, exec_lo, s5
	s_wait_loadcnt 0x1
	v_sub_f32_e32 v7, v7, v8
	v_cmp_lt_i32_e64 s1, 0, v0
	v_cmp_ge_i32_e32 vcc_lo, v10, v3
	s_wait_loadcnt 0x0
	v_cmp_ne_u32_e64 s0, v5, v9
	v_cmp_nle_f32_e64 s4, |v7|, v6
	s_wait_alu 0xf1ff
	v_cndmask_b32_e64 v0, 0, 2, s1
	s_or_b32 s0, vcc_lo, s0
	s_wait_alu 0xfffe
	s_or_b32 s0, s0, s4
	s_wait_alu 0xfffe
	v_cndmask_b32_e64 v0, v0, 0, s0
	s_delay_alu instid0(VALU_DEP_1)
	v_or_b32_e32 v3, v4, v0
	v_add_co_u32 v0, vcc_lo, s2, v1
	s_wait_alu 0xfffd
	v_add_co_ci_u32_e64 v1, null, s3, v2, vcc_lo
	global_store_b32 v[0:1], v3, off
.LBB13_6:
	s_endpgm
	.section	.rodata,"a",@progbits
	.p2align	6, 0x0
	.amdhsa_kernel _ZN9rocsolver6v33100L38stedc_mergePrepare_SetCandFlags_kernelIfEEviiPT_lS3_Pi
		.amdhsa_group_segment_fixed_size 0
		.amdhsa_private_segment_fixed_size 0
		.amdhsa_kernarg_size 296
		.amdhsa_user_sgpr_count 2
		.amdhsa_user_sgpr_dispatch_ptr 0
		.amdhsa_user_sgpr_queue_ptr 0
		.amdhsa_user_sgpr_kernarg_segment_ptr 1
		.amdhsa_user_sgpr_dispatch_id 0
		.amdhsa_user_sgpr_private_segment_size 0
		.amdhsa_wavefront_size32 1
		.amdhsa_uses_dynamic_stack 0
		.amdhsa_enable_private_segment 0
		.amdhsa_system_sgpr_workgroup_id_x 1
		.amdhsa_system_sgpr_workgroup_id_y 1
		.amdhsa_system_sgpr_workgroup_id_z 0
		.amdhsa_system_sgpr_workgroup_info 0
		.amdhsa_system_vgpr_workitem_id 0
		.amdhsa_next_free_vgpr 16
		.amdhsa_next_free_sgpr 20
		.amdhsa_reserve_vcc 1
		.amdhsa_float_round_mode_32 0
		.amdhsa_float_round_mode_16_64 0
		.amdhsa_float_denorm_mode_32 3
		.amdhsa_float_denorm_mode_16_64 3
		.amdhsa_fp16_overflow 0
		.amdhsa_workgroup_processor_mode 1
		.amdhsa_memory_ordered 1
		.amdhsa_forward_progress 1
		.amdhsa_inst_pref_size 6
		.amdhsa_round_robin_scheduling 0
		.amdhsa_exception_fp_ieee_invalid_op 0
		.amdhsa_exception_fp_denorm_src 0
		.amdhsa_exception_fp_ieee_div_zero 0
		.amdhsa_exception_fp_ieee_overflow 0
		.amdhsa_exception_fp_ieee_underflow 0
		.amdhsa_exception_fp_ieee_inexact 0
		.amdhsa_exception_int_div_zero 0
	.end_amdhsa_kernel
	.section	.text._ZN9rocsolver6v33100L38stedc_mergePrepare_SetCandFlags_kernelIfEEviiPT_lS3_Pi,"axG",@progbits,_ZN9rocsolver6v33100L38stedc_mergePrepare_SetCandFlags_kernelIfEEviiPT_lS3_Pi,comdat
.Lfunc_end13:
	.size	_ZN9rocsolver6v33100L38stedc_mergePrepare_SetCandFlags_kernelIfEEviiPT_lS3_Pi, .Lfunc_end13-_ZN9rocsolver6v33100L38stedc_mergePrepare_SetCandFlags_kernelIfEEviiPT_lS3_Pi
                                        ; -- End function
	.set _ZN9rocsolver6v33100L38stedc_mergePrepare_SetCandFlags_kernelIfEEviiPT_lS3_Pi.num_vgpr, 16
	.set _ZN9rocsolver6v33100L38stedc_mergePrepare_SetCandFlags_kernelIfEEviiPT_lS3_Pi.num_agpr, 0
	.set _ZN9rocsolver6v33100L38stedc_mergePrepare_SetCandFlags_kernelIfEEviiPT_lS3_Pi.numbered_sgpr, 20
	.set _ZN9rocsolver6v33100L38stedc_mergePrepare_SetCandFlags_kernelIfEEviiPT_lS3_Pi.num_named_barrier, 0
	.set _ZN9rocsolver6v33100L38stedc_mergePrepare_SetCandFlags_kernelIfEEviiPT_lS3_Pi.private_seg_size, 0
	.set _ZN9rocsolver6v33100L38stedc_mergePrepare_SetCandFlags_kernelIfEEviiPT_lS3_Pi.uses_vcc, 1
	.set _ZN9rocsolver6v33100L38stedc_mergePrepare_SetCandFlags_kernelIfEEviiPT_lS3_Pi.uses_flat_scratch, 0
	.set _ZN9rocsolver6v33100L38stedc_mergePrepare_SetCandFlags_kernelIfEEviiPT_lS3_Pi.has_dyn_sized_stack, 0
	.set _ZN9rocsolver6v33100L38stedc_mergePrepare_SetCandFlags_kernelIfEEviiPT_lS3_Pi.has_recursion, 0
	.set _ZN9rocsolver6v33100L38stedc_mergePrepare_SetCandFlags_kernelIfEEviiPT_lS3_Pi.has_indirect_call, 0
	.section	.AMDGPU.csdata,"",@progbits
; Kernel info:
; codeLenInByte = 748
; TotalNumSgprs: 22
; NumVgprs: 16
; ScratchSize: 0
; MemoryBound: 0
; FloatMode: 240
; IeeeMode: 1
; LDSByteSize: 0 bytes/workgroup (compile time only)
; SGPRBlocks: 0
; VGPRBlocks: 1
; NumSGPRsForWavesPerEU: 22
; NumVGPRsForWavesPerEU: 16
; Occupancy: 16
; WaveLimiterHint : 0
; COMPUTE_PGM_RSRC2:SCRATCH_EN: 0
; COMPUTE_PGM_RSRC2:USER_SGPR: 2
; COMPUTE_PGM_RSRC2:TRAP_HANDLER: 0
; COMPUTE_PGM_RSRC2:TGID_X_EN: 1
; COMPUTE_PGM_RSRC2:TGID_Y_EN: 1
; COMPUTE_PGM_RSRC2:TGID_Z_EN: 0
; COMPUTE_PGM_RSRC2:TIDIG_COMP_CNT: 0
	.section	.text._ZN9rocsolver6v33100L38stedc_mergePrepare_DeflateCount_kernelIfEEviiPT_lS3_Pi,"axG",@progbits,_ZN9rocsolver6v33100L38stedc_mergePrepare_DeflateCount_kernelIfEEviiPT_lS3_Pi,comdat
	.globl	_ZN9rocsolver6v33100L38stedc_mergePrepare_DeflateCount_kernelIfEEviiPT_lS3_Pi ; -- Begin function _ZN9rocsolver6v33100L38stedc_mergePrepare_DeflateCount_kernelIfEEviiPT_lS3_Pi
	.p2align	8
	.type	_ZN9rocsolver6v33100L38stedc_mergePrepare_DeflateCount_kernelIfEEviiPT_lS3_Pi,@function
_ZN9rocsolver6v33100L38stedc_mergePrepare_DeflateCount_kernelIfEEviiPT_lS3_Pi: ; @_ZN9rocsolver6v33100L38stedc_mergePrepare_DeflateCount_kernelIfEEviiPT_lS3_Pi
; %bb.0:
	s_clause 0x2
	s_load_b32 s2, s[0:1], 0x4
	s_load_b32 s3, s[0:1], 0x34
	s_load_b128 s[4:7], s[0:1], 0x18
	s_wait_kmcnt 0x0
	s_mul_i32 s18, s2, ttmp7
	s_and_b32 s23, s3, 0xffff
	s_mul_i32 s0, s18, 13
	s_mul_i32 s22, ttmp9, s23
	s_ashr_i32 s1, s0, 31
	v_add_nc_u32_e32 v1, s22, v0
	s_lshl_b64 s[10:11], s[0:1], 2
	s_mul_i32 s0, s2, 9
	s_add_nc_u64 s[8:9], s[6:7], s[10:11]
	s_ashr_i32 s1, s0, 31
	s_ashr_i32 s3, s2, 31
	s_lshl_b64 s[12:13], s[0:1], 2
	v_max_i32_e32 v2, 1, v1
	s_add_nc_u64 s[8:9], s[8:9], s[12:13]
	s_lshl_b64 s[14:15], s[2:3], 3
	s_mov_b32 s3, -1
	s_add_nc_u64 s[16:17], s[8:9], s[14:15]
	s_mov_b32 s0, exec_lo
	v_cmpx_ge_i32_e64 s2, v2
	s_cbranch_execz .LBB14_2
; %bb.1:
	v_mov_b32_e32 v3, 0
	s_delay_alu instid0(VALU_DEP_1) | instskip(NEXT) | instid1(VALU_DEP_1)
	v_lshlrev_b64_e32 v[2:3], 2, v[2:3]
	v_add_co_u32 v2, vcc_lo, s16, v2
	s_delay_alu instid0(VALU_DEP_1) | instskip(SKIP_3) | instid1(VALU_DEP_1)
	v_add_co_ci_u32_e64 v3, null, s17, v3, vcc_lo
	global_load_b32 v2, v[2:3], off offset:-4
	s_wait_loadcnt 0x0
	v_and_b32_e32 v2, 1, v2
	v_cmp_eq_u32_e32 vcc_lo, 0, v2
	s_or_not1_b32 s3, vcc_lo, exec_lo
.LBB14_2:
	s_or_b32 exec_lo, exec_lo, s0
	v_cmp_gt_i32_e64 s0, s2, v1
	v_ashrrev_i32_e32 v2, 31, v1
	s_mov_b32 s24, 0
	v_cmp_le_i32_e32 vcc_lo, s2, v1
	s_and_saveexec_b32 s19, s0
	s_cbranch_execz .LBB14_4
; %bb.3:
	v_lshlrev_b64_e32 v[3:4], 2, v[1:2]
	s_delay_alu instid0(VALU_DEP_1) | instskip(NEXT) | instid1(VALU_DEP_1)
	v_add_co_u32 v3, s1, s16, v3
	v_add_co_ci_u32_e64 v4, null, s17, v4, s1
	global_load_b32 v3, v[3:4], off
	s_wait_loadcnt 0x0
	v_and_b32_e32 v3, 1, v3
	s_delay_alu instid0(VALU_DEP_1)
	v_cmp_eq_u32_e64 s1, 1, v3
	s_and_b32 s24, s1, exec_lo
.LBB14_4:
	s_or_b32 exec_lo, exec_lo, s19
	s_mul_i32 s16, s18, 10
	s_mul_i32 s18, s2, 6
	s_wait_alu 0xfffe
	s_ashr_i32 s17, s16, 31
	s_ashr_i32 s19, s18, 31
	s_wait_alu 0xfffe
	s_lshl_b64 s[16:17], s[16:17], 2
	v_mov_b32_e32 v5, 0
	s_wait_alu 0xfffe
	s_add_nc_u64 s[20:21], s[4:5], s[16:17]
	s_lshl_b64 s[18:19], s[18:19], 2
	s_delay_alu instid0(SALU_CYCLE_1)
	s_add_nc_u64 s[20:21], s[20:21], s[18:19]
	s_and_saveexec_b32 s1, s0
	s_cbranch_execz .LBB14_6
; %bb.5:
	v_lshlrev_b64_e32 v[3:4], 2, v[1:2]
	s_delay_alu instid0(VALU_DEP_1) | instskip(SKIP_1) | instid1(VALU_DEP_2)
	v_add_co_u32 v3, s0, s20, v3
	s_wait_alu 0xf1ff
	v_add_co_ci_u32_e64 v4, null, s21, v4, s0
	global_load_b32 v5, v[3:4], off
.LBB14_6:
	s_wait_alu 0xfffe
	s_or_b32 exec_lo, exec_lo, s1
	s_and_saveexec_b32 s0, vcc_lo
	s_wait_alu 0xfffe
	s_xor_b32 s0, exec_lo, s0
	s_wait_alu 0xfffe
	s_or_saveexec_b32 s0, s0
	v_mov_b32_e32 v6, 0
	s_wait_alu 0xfffe
	s_xor_b32 exec_lo, exec_lo, s0
	s_cbranch_execz .LBB14_8
; %bb.7:
	v_lshlrev_b64_e32 v[3:4], 2, v[1:2]
	s_sub_nc_u64 s[26:27], 0, s[14:15]
	s_delay_alu instid0(SALU_CYCLE_1) | instskip(SKIP_1) | instid1(VALU_DEP_1)
	s_add_nc_u64 s[20:21], s[20:21], s[26:27]
	s_wait_alu 0xfffe
	v_add_co_u32 v3, vcc_lo, s20, v3
	s_wait_alu 0xfffd
	v_add_co_ci_u32_e64 v4, null, s21, v4, vcc_lo
	global_load_b32 v6, v[3:4], off
.LBB14_8:
	s_or_b32 exec_lo, exec_lo, s0
	s_add_nc_u64 s[0:1], s[14:15], s[10:11]
	v_lshlrev_b64_e32 v[8:9], 2, v[1:2]
	s_wait_alu 0xfffe
	s_add_nc_u64 s[10:11], s[0:1], s[12:13]
	v_lshlrev_b32_e32 v7, 2, v0
	s_add_nc_u64 s[6:7], s[6:7], s[10:11]
	s_add_nc_u64 s[10:11], s[16:17], s[18:19]
	v_mov_b32_e32 v11, v0
	v_add_co_u32 v3, vcc_lo, s6, v8
	s_add_nc_u64 s[10:11], s[4:5], s[10:11]
	s_wait_alu 0xfffd
	v_add_co_ci_u32_e64 v4, null, s7, v9, vcc_lo
	v_add_co_u32 v8, vcc_lo, s10, v8
	s_wait_alu 0xfffd
	v_add_co_ci_u32_e64 v9, null, s11, v9, vcc_lo
	v_mov_b32_e32 v10, v7
	s_mov_b32 s1, 0
	s_lshl_b32 s0, s23, 2
	s_mov_b64 s[4:5], 0
	s_wait_alu 0xfffe
	s_mov_b32 s12, s1
	s_branch .LBB14_10
.LBB14_9:                               ;   in Loop: Header=BB14_10 Depth=1
	s_or_b32 exec_lo, exec_lo, s13
	v_add_nc_u32_e32 v11, s23, v11
	s_wait_loadcnt 0x0
	ds_store_2addr_stride64_b32 v10, v12, v13 offset1:64
	v_add_nc_u32_e32 v10, s0, v10
	s_wait_alu 0xfffe
	s_add_nc_u64 s[4:5], s[4:5], s[0:1]
	v_cmp_lt_u32_e32 vcc_lo, 0xfff, v11
	s_or_b32 s12, vcc_lo, s12
	s_delay_alu instid0(SALU_CYCLE_1)
	s_and_not1_b32 exec_lo, exec_lo, s12
	s_cbranch_execz .LBB14_12
.LBB14_10:                              ; =>This Inner Loop Header: Depth=1
	v_dual_mov_b32 v13, 0 :: v_dual_add_nc_u32 v12, s22, v11
	s_delay_alu instid0(VALU_DEP_1)
	v_cmp_gt_i32_e32 vcc_lo, s2, v12
	v_mov_b32_e32 v12, 0
	s_and_saveexec_b32 s13, vcc_lo
	s_cbranch_execz .LBB14_9
; %bb.11:                               ;   in Loop: Header=BB14_10 Depth=1
	s_wait_alu 0xfffe
	v_add_co_u32 v12, vcc_lo, v8, s4
	s_wait_alu 0xfffd
	v_add_co_ci_u32_e64 v13, null, s5, v9, vcc_lo
	v_add_co_u32 v14, vcc_lo, v3, s4
	s_wait_alu 0xfffd
	v_add_co_ci_u32_e64 v15, null, s5, v4, vcc_lo
	global_load_b32 v12, v[12:13], off
	global_load_b32 v13, v[14:15], off
	s_branch .LBB14_9
.LBB14_12:
	s_or_b32 exec_lo, exec_lo, s12
	v_cmp_eq_u32_e32 vcc_lo, 0, v1
	s_wait_dscnt 0x0
	s_barrier_signal -1
	s_barrier_wait -1
	global_inv scope:SCOPE_SE
	s_or_b32 s0, vcc_lo, s3
	s_wait_alu 0xfffe
	s_and_b32 s0, s24, s0
	s_wait_alu 0xfffe
	s_and_saveexec_b32 s1, s0
	s_cbranch_execz .LBB14_20
; %bb.13:
	v_lshlrev_b32_e32 v3, 2, v0
	ds_load_b32 v4, v3 offset:16392
	v_add_nc_u32_e32 v3, 2, v1
	s_delay_alu instid0(VALU_DEP_1) | instskip(SKIP_2) | instid1(VALU_DEP_1)
	v_cmp_gt_i32_e32 vcc_lo, s2, v3
	s_wait_dscnt 0x0
	v_and_b32_e32 v4, 2, v4
	v_cmp_ne_u32_e64 s0, 0, v4
	s_and_b32 s0, vcc_lo, s0
	s_wait_alu 0xfffe
	s_and_saveexec_b32 s3, s0
	s_cbranch_execz .LBB14_19
; %bb.14:
	v_ashrrev_i32_e32 v4, 31, v3
	v_add_nc_u32_e32 v7, 0x400c, v7
	s_mov_b64 s[4:5], src_shared_base
	s_mov_b32 s4, 0
	s_delay_alu instid0(VALU_DEP_2) | instskip(NEXT) | instid1(VALU_DEP_1)
	v_lshlrev_b64_e32 v[3:4], 2, v[3:4]
	v_add_co_u32 v2, vcc_lo, s6, v3
	s_wait_alu 0xfffd
	s_delay_alu instid0(VALU_DEP_2)
	v_add_co_ci_u32_e64 v9, null, s7, v4, vcc_lo
	v_add_co_u32 v3, vcc_lo, s10, v3
	s_wait_alu 0xfffd
	v_add_co_ci_u32_e64 v4, null, s11, v4, vcc_lo
	v_add_co_u32 v8, vcc_lo, v2, 4
	s_wait_alu 0xfffd
	v_add_co_ci_u32_e64 v9, null, 0, v9, vcc_lo
	s_branch .LBB14_16
.LBB14_15:                              ;   in Loop: Header=BB14_16 Depth=1
	s_or_b32 exec_lo, exec_lo, s0
	v_add_nc_u32_e32 v2, 3, v0
	v_add_nc_u32_e32 v10, 3, v10
	;; [unrolled: 1-line block ×3, first 2 shown]
	s_delay_alu instid0(VALU_DEP_3)
	v_cmp_gt_i32_e32 vcc_lo, 0x1000, v2
	s_wait_alu 0xfffd
	v_cndmask_b32_e64 v12, v9, s5, vcc_lo
	v_cndmask_b32_e32 v11, v8, v7, vcc_lo
	v_add_co_u32 v3, vcc_lo, v3, 4
	s_wait_alu 0xfffd
	v_add_co_ci_u32_e64 v4, null, 0, v4, vcc_lo
	flat_load_b32 v2, v[11:12]
	v_cmp_le_i32_e32 vcc_lo, s2, v10
	v_add_co_u32 v8, s1, v8, 4
	s_wait_alu 0xf1ff
	v_add_co_ci_u32_e64 v9, null, 0, v9, s1
	v_add_nc_u32_e32 v7, 4, v7
	s_wait_loadcnt_dscnt 0x0
	v_and_b32_e32 v2, 2, v2
	s_delay_alu instid0(VALU_DEP_1)
	v_cmp_eq_u32_e64 s0, 0, v2
	s_or_b32 s0, vcc_lo, s0
	s_wait_alu 0xfffe
	s_and_b32 s0, exec_lo, s0
	s_wait_alu 0xfffe
	s_or_b32 s4, s0, s4
	s_wait_alu 0xfffe
	s_and_not1_b32 exec_lo, exec_lo, s4
	s_cbranch_execz .LBB14_18
.LBB14_16:                              ; =>This Inner Loop Header: Depth=1
	v_add_nc_u32_e32 v2, 2, v0
	v_add_nc_u32_e32 v10, 0xffffbffc, v7
	s_mov_b32 s0, exec_lo
	s_delay_alu instid0(VALU_DEP_2) | instskip(SKIP_1) | instid1(VALU_DEP_2)
	v_cmp_gt_i32_e32 vcc_lo, 0x1000, v2
	s_wait_alu 0xfffd
	v_cndmask_b32_e32 v10, v3, v10, vcc_lo
	s_wait_alu 0xfffe
	v_cndmask_b32_e64 v11, v4, s5, vcc_lo
	flat_load_b32 v11, v[10:11]
	v_add_nc_u32_e32 v10, s22, v0
	s_wait_loadcnt_dscnt 0x0
	v_sub_f32_e32 v2, v11, v5
	s_delay_alu instid0(VALU_DEP_1)
	v_cmpx_gt_f32_e32 v2, v6
	s_cbranch_execz .LBB14_15
; %bb.17:                               ;   in Loop: Header=BB14_16 Depth=1
	v_ashrrev_i32_e32 v2, 31, v1
	v_sub_nc_u32_e32 v5, v10, v1
	v_add_nc_u32_e32 v14, 2, v10
	s_delay_alu instid0(VALU_DEP_3) | instskip(NEXT) | instid1(VALU_DEP_3)
	v_lshlrev_b64_e32 v[1:2], 2, v[1:2]
	v_add_nc_u32_e32 v15, 1, v5
	v_mov_b32_e32 v5, v11
	s_delay_alu instid0(VALU_DEP_3) | instskip(SKIP_1) | instid1(VALU_DEP_4)
	v_add_co_u32 v12, vcc_lo, s8, v1
	s_wait_alu 0xfffd
	v_add_co_ci_u32_e64 v13, null, s9, v2, vcc_lo
	v_mov_b32_e32 v1, v14
	global_store_b32 v[12:13], v15, off
	s_branch .LBB14_15
.LBB14_18:
	s_or_b32 exec_lo, exec_lo, s4
	v_add3_u32 v3, s22, v0, 2
	v_ashrrev_i32_e32 v2, 31, v1
.LBB14_19:
	s_wait_alu 0xfffe
	s_or_b32 exec_lo, exec_lo, s3
	s_delay_alu instid0(VALU_DEP_1) | instskip(SKIP_1) | instid1(VALU_DEP_2)
	v_lshlrev_b64_e32 v[4:5], 2, v[1:2]
	v_xad_u32 v2, v1, -1, v3
	v_add_co_u32 v0, vcc_lo, s8, v4
	s_wait_alu 0xfffd
	s_delay_alu instid0(VALU_DEP_3)
	v_add_co_ci_u32_e64 v1, null, s9, v5, vcc_lo
	global_store_b32 v[0:1], v2, off
.LBB14_20:
	s_endpgm
	.section	.rodata,"a",@progbits
	.p2align	6, 0x0
	.amdhsa_kernel _ZN9rocsolver6v33100L38stedc_mergePrepare_DeflateCount_kernelIfEEviiPT_lS3_Pi
		.amdhsa_group_segment_fixed_size 32768
		.amdhsa_private_segment_fixed_size 0
		.amdhsa_kernarg_size 296
		.amdhsa_user_sgpr_count 2
		.amdhsa_user_sgpr_dispatch_ptr 0
		.amdhsa_user_sgpr_queue_ptr 0
		.amdhsa_user_sgpr_kernarg_segment_ptr 1
		.amdhsa_user_sgpr_dispatch_id 0
		.amdhsa_user_sgpr_private_segment_size 0
		.amdhsa_wavefront_size32 1
		.amdhsa_uses_dynamic_stack 0
		.amdhsa_enable_private_segment 0
		.amdhsa_system_sgpr_workgroup_id_x 1
		.amdhsa_system_sgpr_workgroup_id_y 1
		.amdhsa_system_sgpr_workgroup_id_z 0
		.amdhsa_system_sgpr_workgroup_info 0
		.amdhsa_system_vgpr_workitem_id 0
		.amdhsa_next_free_vgpr 16
		.amdhsa_next_free_sgpr 28
		.amdhsa_reserve_vcc 1
		.amdhsa_float_round_mode_32 0
		.amdhsa_float_round_mode_16_64 0
		.amdhsa_float_denorm_mode_32 3
		.amdhsa_float_denorm_mode_16_64 3
		.amdhsa_fp16_overflow 0
		.amdhsa_workgroup_processor_mode 1
		.amdhsa_memory_ordered 1
		.amdhsa_forward_progress 1
		.amdhsa_inst_pref_size 11
		.amdhsa_round_robin_scheduling 0
		.amdhsa_exception_fp_ieee_invalid_op 0
		.amdhsa_exception_fp_denorm_src 0
		.amdhsa_exception_fp_ieee_div_zero 0
		.amdhsa_exception_fp_ieee_overflow 0
		.amdhsa_exception_fp_ieee_underflow 0
		.amdhsa_exception_fp_ieee_inexact 0
		.amdhsa_exception_int_div_zero 0
	.end_amdhsa_kernel
	.section	.text._ZN9rocsolver6v33100L38stedc_mergePrepare_DeflateCount_kernelIfEEviiPT_lS3_Pi,"axG",@progbits,_ZN9rocsolver6v33100L38stedc_mergePrepare_DeflateCount_kernelIfEEviiPT_lS3_Pi,comdat
.Lfunc_end14:
	.size	_ZN9rocsolver6v33100L38stedc_mergePrepare_DeflateCount_kernelIfEEviiPT_lS3_Pi, .Lfunc_end14-_ZN9rocsolver6v33100L38stedc_mergePrepare_DeflateCount_kernelIfEEviiPT_lS3_Pi
                                        ; -- End function
	.set _ZN9rocsolver6v33100L38stedc_mergePrepare_DeflateCount_kernelIfEEviiPT_lS3_Pi.num_vgpr, 16
	.set _ZN9rocsolver6v33100L38stedc_mergePrepare_DeflateCount_kernelIfEEviiPT_lS3_Pi.num_agpr, 0
	.set _ZN9rocsolver6v33100L38stedc_mergePrepare_DeflateCount_kernelIfEEviiPT_lS3_Pi.numbered_sgpr, 28
	.set _ZN9rocsolver6v33100L38stedc_mergePrepare_DeflateCount_kernelIfEEviiPT_lS3_Pi.num_named_barrier, 0
	.set _ZN9rocsolver6v33100L38stedc_mergePrepare_DeflateCount_kernelIfEEviiPT_lS3_Pi.private_seg_size, 0
	.set _ZN9rocsolver6v33100L38stedc_mergePrepare_DeflateCount_kernelIfEEviiPT_lS3_Pi.uses_vcc, 1
	.set _ZN9rocsolver6v33100L38stedc_mergePrepare_DeflateCount_kernelIfEEviiPT_lS3_Pi.uses_flat_scratch, 0
	.set _ZN9rocsolver6v33100L38stedc_mergePrepare_DeflateCount_kernelIfEEviiPT_lS3_Pi.has_dyn_sized_stack, 0
	.set _ZN9rocsolver6v33100L38stedc_mergePrepare_DeflateCount_kernelIfEEviiPT_lS3_Pi.has_recursion, 0
	.set _ZN9rocsolver6v33100L38stedc_mergePrepare_DeflateCount_kernelIfEEviiPT_lS3_Pi.has_indirect_call, 0
	.section	.AMDGPU.csdata,"",@progbits
; Kernel info:
; codeLenInByte = 1336
; TotalNumSgprs: 30
; NumVgprs: 16
; ScratchSize: 0
; MemoryBound: 0
; FloatMode: 240
; IeeeMode: 1
; LDSByteSize: 32768 bytes/workgroup (compile time only)
; SGPRBlocks: 0
; VGPRBlocks: 1
; NumSGPRsForWavesPerEU: 30
; NumVGPRsForWavesPerEU: 16
; Occupancy: 16
; WaveLimiterHint : 0
; COMPUTE_PGM_RSRC2:SCRATCH_EN: 0
; COMPUTE_PGM_RSRC2:USER_SGPR: 2
; COMPUTE_PGM_RSRC2:TRAP_HANDLER: 0
; COMPUTE_PGM_RSRC2:TGID_X_EN: 1
; COMPUTE_PGM_RSRC2:TGID_Y_EN: 1
; COMPUTE_PGM_RSRC2:TGID_Z_EN: 0
; COMPUTE_PGM_RSRC2:TIDIG_COMP_CNT: 0
	.section	.text._ZN9rocsolver6v33100L38stedc_mergePrepare_DeflateApply_kernelIfEEviiPT_lS3_Pi,"axG",@progbits,_ZN9rocsolver6v33100L38stedc_mergePrepare_DeflateApply_kernelIfEEviiPT_lS3_Pi,comdat
	.globl	_ZN9rocsolver6v33100L38stedc_mergePrepare_DeflateApply_kernelIfEEviiPT_lS3_Pi ; -- Begin function _ZN9rocsolver6v33100L38stedc_mergePrepare_DeflateApply_kernelIfEEviiPT_lS3_Pi
	.p2align	8
	.type	_ZN9rocsolver6v33100L38stedc_mergePrepare_DeflateApply_kernelIfEEviiPT_lS3_Pi,@function
_ZN9rocsolver6v33100L38stedc_mergePrepare_DeflateApply_kernelIfEEviiPT_lS3_Pi: ; @_ZN9rocsolver6v33100L38stedc_mergePrepare_DeflateApply_kernelIfEEviiPT_lS3_Pi
; %bb.0:
	s_clause 0x2
	s_load_b32 s8, s[0:1], 0x4
	s_load_b32 s5, s[0:1], 0x34
	s_load_b128 s[0:3], s[0:1], 0x18
	s_wait_kmcnt 0x0
	s_mul_i32 s20, ttmp7, s8
	s_and_b32 s19, s5, 0xffff
	s_mul_i32 s6, s20, 13
	s_mul_i32 s18, ttmp9, s19
	s_lshl_b32 s4, s8, 3
	v_add_nc_u32_e32 v1, s18, v0
	s_ashr_i32 s7, s6, 31
	s_ashr_i32 s5, s4, 31
	s_lshl_b64 s[14:15], s[6:7], 2
	s_lshl_b64 s[12:13], s[4:5], 2
	v_ashrrev_i32_e32 v2, 31, v1
	s_add_nc_u64 s[4:5], s[2:3], s[14:15]
	s_ashr_i32 s9, s8, 31
	s_add_nc_u64 s[4:5], s[4:5], s[12:13]
	s_lshl_b64 s[16:17], s[8:9], 3
	s_mov_b32 s6, exec_lo
	v_cmpx_le_i32_e64 s8, v1
	s_xor_b32 s6, exec_lo, s6
	s_delay_alu instid0(SALU_CYCLE_1)
	s_or_saveexec_b32 s21, s6
	v_mov_b32_e32 v5, 0
	s_lshl_b64 s[10:11], s[8:9], 2
	s_add_nc_u64 s[6:7], s[4:5], s[16:17]
	s_xor_b32 exec_lo, exec_lo, s21
	s_cbranch_execz .LBB15_2
; %bb.1:
	v_lshlrev_b64_e32 v[3:4], 2, v[1:2]
	s_sub_nc_u64 s[22:23], 0, s[10:11]
	s_delay_alu instid0(SALU_CYCLE_1)
	s_add_nc_u64 s[22:23], s[6:7], s[22:23]
	s_delay_alu instid0(VALU_DEP_1) | instid1(SALU_CYCLE_1)
	v_add_co_u32 v3, vcc_lo, s22, v3
	s_delay_alu instid0(VALU_DEP_1)
	v_add_co_ci_u32_e64 v4, null, s23, v4, vcc_lo
	global_load_b32 v5, v[3:4], off
.LBB15_2:
	s_or_b32 exec_lo, exec_lo, s21
	s_add_nc_u64 s[14:15], s[16:17], s[14:15]
	v_lshlrev_b64_e32 v[1:2], 2, v[1:2]
	s_add_nc_u64 s[12:13], s[14:15], s[12:13]
	v_dual_mov_b32 v8, v0 :: v_dual_lshlrev_b32 v7, 2, v0
	s_add_nc_u64 s[2:3], s[2:3], s[12:13]
	s_mul_i32 s20, s20, 10
	s_delay_alu instid0(VALU_DEP_2)
	v_add_co_u32 v1, vcc_lo, s2, v1
	s_ashr_i32 s21, s20, 31
	s_wait_alu 0xfffd
	v_add_co_ci_u32_e64 v2, null, s3, v2, vcc_lo
	v_mov_b32_e32 v6, v7
	s_lshl_b64 s[16:17], s[20:21], 2
	s_lshl_b32 s9, s19, 2
	s_add_nc_u64 s[2:3], s[0:1], s[16:17]
	s_mov_b32 s1, 0
	s_branch .LBB15_4
.LBB15_3:                               ;   in Loop: Header=BB15_4 Depth=1
	s_wait_alu 0xfffe
	s_or_b32 exec_lo, exec_lo, s0
	v_add_nc_u32_e32 v8, s19, v8
	v_add_co_u32 v1, s0, v1, s9
	s_wait_loadcnt 0x0
	ds_store_2addr_stride64_b32 v6, v4, v3 offset1:64
	v_add_nc_u32_e32 v6, s9, v6
	v_cmp_lt_u32_e32 vcc_lo, 0xfff, v8
	s_wait_alu 0xf1ff
	v_add_co_ci_u32_e64 v2, null, 0, v2, s0
	s_or_b32 s1, vcc_lo, s1
	s_wait_alu 0xfffe
	s_and_not1_b32 exec_lo, exec_lo, s1
	s_cbranch_execz .LBB15_6
.LBB15_4:                               ; =>This Inner Loop Header: Depth=1
	v_dual_mov_b32 v4, 0 :: v_dual_add_nc_u32 v3, s18, v8
	s_delay_alu instid0(VALU_DEP_1)
	v_cmp_gt_i32_e32 vcc_lo, s8, v3
	v_mov_b32_e32 v3, 0
	s_and_saveexec_b32 s0, vcc_lo
	s_cbranch_execz .LBB15_3
; %bb.5:                                ;   in Loop: Header=BB15_4 Depth=1
	global_load_b32 v3, v[1:2], off
	s_wait_loadcnt 0x0
	v_ashrrev_i32_e32 v4, 31, v3
	s_delay_alu instid0(VALU_DEP_1) | instskip(SKIP_1) | instid1(VALU_DEP_1)
	v_lshlrev_b64_e32 v[9:10], 2, v[3:4]
	s_wait_alu 0xfffe
	v_add_co_u32 v9, vcc_lo, s2, v9
	s_wait_alu 0xfffd
	s_delay_alu instid0(VALU_DEP_2)
	v_add_co_ci_u32_e64 v10, null, s3, v10, vcc_lo
	global_load_b32 v4, v[9:10], off
	s_branch .LBB15_3
.LBB15_6:
	s_or_b32 exec_lo, exec_lo, s1
	s_wait_dscnt 0x0
	s_barrier_signal -1
	s_barrier_wait -1
	global_inv scope:SCOPE_SE
	s_mov_b32 s0, exec_lo
	v_cmpx_ne_u32_e32 0, v5
	s_cbranch_execz .LBB15_22
; %bb.7:
	v_lshlrev_b32_e32 v4, 2, v0
	s_mov_b32 s12, exec_lo
	ds_load_b32 v6, v4
	v_cmpx_lt_i32_e32 0, v5
	s_cbranch_execz .LBB15_21
; %bb.8:
	s_lshl_b32 s8, s8, 1
	v_add_nc_u32_e32 v7, 0x4004, v7
	s_wait_alu 0xfffe
	s_ashr_i32 s9, s8, 31
	v_dual_mov_b32 v9, 0 :: v_dual_add_nc_u32 v8, 1, v0
	s_wait_alu 0xfffe
	s_lshl_b64 s[8:9], s[8:9], 2
	s_mov_b64 s[0:1], src_shared_base
	s_wait_alu 0xfffe
	s_add_nc_u64 s[8:9], s[2:3], s[8:9]
	s_mov_b32 s13, 0
	s_wait_alu 0xfffe
	s_add_nc_u64 s[10:11], s[8:9], s[10:11]
	s_branch .LBB15_11
.LBB15_9:                               ;   in Loop: Header=BB15_11 Depth=1
	s_wait_alu 0xfffe
	s_or_b32 exec_lo, exec_lo, s0
	v_mov_b32_e32 v6, v13
.LBB15_10:                              ;   in Loop: Header=BB15_11 Depth=1
	s_or_b32 exec_lo, exec_lo, s14
	v_add_co_u32 v13, vcc_lo, s4, v2
	s_wait_alu 0xfffd
	v_add_co_ci_u32_e64 v14, null, s5, v3, vcc_lo
	v_add_nc_u32_e32 v5, -1, v5
	v_add_nc_u32_e32 v7, 4, v7
	v_add_nc_u32_e32 v8, 1, v8
	global_store_b32 v[13:14], v9, off
	v_add_co_u32 v13, vcc_lo, s8, v2
	s_wait_alu 0xfffd
	v_add_co_ci_u32_e64 v14, null, s9, v3, vcc_lo
	v_cmp_eq_u32_e32 vcc_lo, 0, v5
	v_add_co_u32 v2, s0, s10, v2
	s_wait_alu 0xf1ff
	v_add_co_ci_u32_e64 v3, null, s11, v3, s0
	s_or_b32 s13, vcc_lo, s13
	s_clause 0x2
	global_store_b32 v[0:1], v9, off
	global_store_b32 v[13:14], v12, off
	;; [unrolled: 1-line block ×3, first 2 shown]
	s_and_not1_b32 exec_lo, exec_lo, s13
	s_cbranch_execz .LBB15_20
.LBB15_11:                              ; =>This Inner Loop Header: Depth=1
	v_add_nc_u32_e32 v0, s18, v8
	v_add_nc_u32_e32 v10, 0xffffc000, v7
	v_mov_b32_e32 v12, 1.0
	s_mov_b32 s14, exec_lo
	s_delay_alu instid0(VALU_DEP_3) | instskip(NEXT) | instid1(VALU_DEP_1)
	v_ashrrev_i32_e32 v1, 31, v0
	v_lshlrev_b64_e32 v[0:1], 2, v[0:1]
	s_delay_alu instid0(VALU_DEP_1) | instskip(SKIP_1) | instid1(VALU_DEP_2)
	v_add_co_u32 v0, vcc_lo, s6, v0
	s_wait_alu 0xfffd
	v_add_co_ci_u32_e64 v1, null, s7, v1, vcc_lo
	v_cmp_gt_i32_e32 vcc_lo, 0x1000, v8
	s_wait_alu 0xfffd
	s_delay_alu instid0(VALU_DEP_2) | instskip(SKIP_4) | instid1(VALU_DEP_1)
	v_cndmask_b32_e64 v1, v1, s1, vcc_lo
	v_cndmask_b32_e32 v0, v0, v7, vcc_lo
	flat_load_b32 v0, v[0:1]
	s_wait_loadcnt_dscnt 0x0
	v_ashrrev_i32_e32 v1, 31, v0
	v_lshlrev_b64_e32 v[2:3], 2, v[0:1]
	s_delay_alu instid0(VALU_DEP_1) | instskip(SKIP_1) | instid1(VALU_DEP_2)
	v_add_co_u32 v0, s0, s2, v2
	s_wait_alu 0xf1ff
	v_add_co_ci_u32_e64 v1, null, s3, v3, s0
	s_delay_alu instid0(VALU_DEP_2) | instskip(NEXT) | instid1(VALU_DEP_2)
	v_cndmask_b32_e32 v10, v0, v10, vcc_lo
	v_cndmask_b32_e64 v11, v1, s1, vcc_lo
	flat_load_b32 v10, v[10:11]
	v_mov_b32_e32 v11, 0
	s_wait_loadcnt_dscnt 0x0
	v_cmpx_neq_f32_e32 0, v10
	s_cbranch_execz .LBB15_10
; %bb.12:                               ;   in Loop: Header=BB15_11 Depth=1
	v_xor_b32_e32 v13, 0x80000000, v10
                                        ; implicit-def: $vgpr12
                                        ; implicit-def: $vgpr11
	s_mov_b32 s0, exec_lo
	v_cmpx_neq_f32_e32 0, v6
	s_wait_alu 0xfffe
	s_xor_b32 s15, exec_lo, s0
	s_cbranch_execz .LBB15_18
; %bb.13:                               ;   in Loop: Header=BB15_11 Depth=1
	s_mov_b32 s16, exec_lo
                                        ; implicit-def: $vgpr12
                                        ; implicit-def: $vgpr11
	v_cmpx_ngt_f32_e64 |v10|, |v6|
	s_xor_b32 s16, exec_lo, s16
	s_cbranch_execz .LBB15_15
; %bb.14:                               ;   in Loop: Header=BB15_11 Depth=1
	v_div_scale_f32 v11, null, v6, v6, -v10
	v_div_scale_f32 v14, vcc_lo, -v10, v6, -v10
	s_delay_alu instid0(VALU_DEP_2) | instskip(NEXT) | instid1(TRANS32_DEP_1)
	v_rcp_f32_e32 v12, v11
	v_fma_f32 v13, -v11, v12, 1.0
	s_delay_alu instid0(VALU_DEP_1) | instskip(NEXT) | instid1(VALU_DEP_1)
	v_fmac_f32_e32 v12, v13, v12
	v_mul_f32_e32 v13, v14, v12
	s_delay_alu instid0(VALU_DEP_1) | instskip(NEXT) | instid1(VALU_DEP_1)
	v_fma_f32 v15, -v11, v13, v14
	v_fmac_f32_e32 v13, v15, v12
	s_delay_alu instid0(VALU_DEP_1) | instskip(SKIP_1) | instid1(VALU_DEP_1)
	v_fma_f32 v11, -v11, v13, v14
	s_wait_alu 0xfffd
	v_div_fmas_f32 v11, v11, v12, v13
	s_delay_alu instid0(VALU_DEP_1) | instskip(NEXT) | instid1(VALU_DEP_1)
	v_div_fixup_f32 v11, v11, v6, -v10
	v_fma_f32 v12, v11, v11, 1.0
	s_delay_alu instid0(VALU_DEP_1) | instskip(SKIP_2) | instid1(VALU_DEP_2)
	v_mul_f32_e32 v13, 0x4f800000, v12
	v_cmp_gt_f32_e32 vcc_lo, 0xf800000, v12
	s_wait_alu 0xfffd
	v_cndmask_b32_e32 v12, v12, v13, vcc_lo
	s_delay_alu instid0(VALU_DEP_1) | instskip(NEXT) | instid1(TRANS32_DEP_1)
	v_sqrt_f32_e32 v13, v12
	v_add_nc_u32_e32 v14, -1, v13
	v_add_nc_u32_e32 v15, 1, v13
	s_delay_alu instid0(VALU_DEP_2) | instskip(NEXT) | instid1(VALU_DEP_2)
	v_fma_f32 v16, -v14, v13, v12
	v_fma_f32 v17, -v15, v13, v12
	s_delay_alu instid0(VALU_DEP_2) | instskip(SKIP_1) | instid1(VALU_DEP_1)
	v_cmp_ge_f32_e64 s0, 0, v16
	s_wait_alu 0xf1ff
	v_cndmask_b32_e64 v13, v13, v14, s0
	s_delay_alu instid0(VALU_DEP_3) | instskip(SKIP_1) | instid1(VALU_DEP_1)
	v_cmp_lt_f32_e64 s0, 0, v17
	s_wait_alu 0xf1ff
	v_cndmask_b32_e64 v13, v13, v15, s0
	s_delay_alu instid0(VALU_DEP_1) | instskip(NEXT) | instid1(VALU_DEP_1)
	v_mul_f32_e32 v14, 0x37800000, v13
	v_cndmask_b32_e32 v13, v13, v14, vcc_lo
	v_cmp_class_f32_e64 vcc_lo, v12, 0x260
	s_wait_alu 0xfffd
	s_delay_alu instid0(VALU_DEP_2) | instskip(NEXT) | instid1(VALU_DEP_1)
	v_cndmask_b32_e32 v12, v13, v12, vcc_lo
	v_div_scale_f32 v13, null, v12, v12, 1.0
	s_delay_alu instid0(VALU_DEP_1) | instskip(NEXT) | instid1(TRANS32_DEP_1)
	v_rcp_f32_e32 v14, v13
	v_fma_f32 v15, -v13, v14, 1.0
	s_delay_alu instid0(VALU_DEP_1) | instskip(SKIP_1) | instid1(VALU_DEP_1)
	v_fmac_f32_e32 v14, v15, v14
	v_div_scale_f32 v15, vcc_lo, 1.0, v12, 1.0
	v_mul_f32_e32 v16, v15, v14
	s_delay_alu instid0(VALU_DEP_1) | instskip(NEXT) | instid1(VALU_DEP_1)
	v_fma_f32 v17, -v13, v16, v15
	v_fmac_f32_e32 v16, v17, v14
	s_delay_alu instid0(VALU_DEP_1) | instskip(SKIP_1) | instid1(VALU_DEP_1)
	v_fma_f32 v13, -v13, v16, v15
	s_wait_alu 0xfffd
	v_div_fmas_f32 v13, v13, v14, v16
	s_delay_alu instid0(VALU_DEP_1) | instskip(NEXT) | instid1(VALU_DEP_1)
	v_div_fixup_f32 v12, v13, v12, 1.0
	v_mul_f32_e32 v11, v11, v12
.LBB15_15:                              ;   in Loop: Header=BB15_11 Depth=1
	s_and_not1_saveexec_b32 s16, s16
	s_cbranch_execz .LBB15_17
; %bb.16:                               ;   in Loop: Header=BB15_11 Depth=1
	v_div_scale_f32 v11, null, v10, v10, -v6
	v_div_scale_f32 v14, vcc_lo, -v6, v10, -v6
	s_delay_alu instid0(VALU_DEP_2) | instskip(NEXT) | instid1(TRANS32_DEP_1)
	v_rcp_f32_e32 v12, v11
	v_fma_f32 v13, -v11, v12, 1.0
	s_delay_alu instid0(VALU_DEP_1) | instskip(NEXT) | instid1(VALU_DEP_1)
	v_fmac_f32_e32 v12, v13, v12
	v_mul_f32_e32 v13, v14, v12
	s_delay_alu instid0(VALU_DEP_1) | instskip(NEXT) | instid1(VALU_DEP_1)
	v_fma_f32 v15, -v11, v13, v14
	v_fmac_f32_e32 v13, v15, v12
	s_delay_alu instid0(VALU_DEP_1) | instskip(SKIP_1) | instid1(VALU_DEP_1)
	v_fma_f32 v11, -v11, v13, v14
	s_wait_alu 0xfffd
	v_div_fmas_f32 v11, v11, v12, v13
	s_delay_alu instid0(VALU_DEP_1) | instskip(NEXT) | instid1(VALU_DEP_1)
	v_div_fixup_f32 v12, v11, v10, -v6
	v_fma_f32 v11, v12, v12, 1.0
	s_delay_alu instid0(VALU_DEP_1) | instskip(SKIP_2) | instid1(VALU_DEP_2)
	v_mul_f32_e32 v13, 0x4f800000, v11
	v_cmp_gt_f32_e32 vcc_lo, 0xf800000, v11
	s_wait_alu 0xfffd
	v_cndmask_b32_e32 v11, v11, v13, vcc_lo
	s_delay_alu instid0(VALU_DEP_1) | instskip(NEXT) | instid1(TRANS32_DEP_1)
	v_sqrt_f32_e32 v13, v11
	v_add_nc_u32_e32 v14, -1, v13
	v_add_nc_u32_e32 v15, 1, v13
	s_delay_alu instid0(VALU_DEP_2) | instskip(NEXT) | instid1(VALU_DEP_2)
	v_fma_f32 v16, -v14, v13, v11
	v_fma_f32 v17, -v15, v13, v11
	s_delay_alu instid0(VALU_DEP_2) | instskip(SKIP_1) | instid1(VALU_DEP_1)
	v_cmp_ge_f32_e64 s0, 0, v16
	s_wait_alu 0xf1ff
	v_cndmask_b32_e64 v13, v13, v14, s0
	s_delay_alu instid0(VALU_DEP_3) | instskip(SKIP_1) | instid1(VALU_DEP_1)
	v_cmp_lt_f32_e64 s0, 0, v17
	s_wait_alu 0xf1ff
	v_cndmask_b32_e64 v13, v13, v15, s0
	s_delay_alu instid0(VALU_DEP_1) | instskip(NEXT) | instid1(VALU_DEP_1)
	v_mul_f32_e32 v14, 0x37800000, v13
	v_cndmask_b32_e32 v13, v13, v14, vcc_lo
	v_cmp_class_f32_e64 vcc_lo, v11, 0x260
	s_wait_alu 0xfffd
	s_delay_alu instid0(VALU_DEP_2) | instskip(NEXT) | instid1(VALU_DEP_1)
	v_cndmask_b32_e32 v11, v13, v11, vcc_lo
	v_div_scale_f32 v13, null, v11, v11, 1.0
	s_delay_alu instid0(VALU_DEP_1) | instskip(NEXT) | instid1(TRANS32_DEP_1)
	v_rcp_f32_e32 v14, v13
	v_fma_f32 v15, -v13, v14, 1.0
	s_delay_alu instid0(VALU_DEP_1) | instskip(SKIP_1) | instid1(VALU_DEP_1)
	v_fmac_f32_e32 v14, v15, v14
	v_div_scale_f32 v15, vcc_lo, 1.0, v11, 1.0
	v_mul_f32_e32 v16, v15, v14
	s_delay_alu instid0(VALU_DEP_1) | instskip(NEXT) | instid1(VALU_DEP_1)
	v_fma_f32 v17, -v13, v16, v15
	v_fmac_f32_e32 v16, v17, v14
	s_delay_alu instid0(VALU_DEP_1) | instskip(SKIP_1) | instid1(VALU_DEP_1)
	v_fma_f32 v13, -v13, v16, v15
	s_wait_alu 0xfffd
	v_div_fmas_f32 v13, v13, v14, v16
	s_delay_alu instid0(VALU_DEP_1) | instskip(NEXT) | instid1(VALU_DEP_1)
	v_div_fixup_f32 v11, v13, v11, 1.0
	v_mul_f32_e32 v12, v12, v11
.LBB15_17:                              ;   in Loop: Header=BB15_11 Depth=1
	s_or_b32 exec_lo, exec_lo, s16
	s_delay_alu instid0(VALU_DEP_1) | instskip(NEXT) | instid1(VALU_DEP_1)
	v_mul_f32_e32 v10, v10, v11
	v_fma_f32 v13, v6, v12, -v10
.LBB15_18:                              ;   in Loop: Header=BB15_11 Depth=1
	s_and_not1_saveexec_b32 s0, s15
	s_cbranch_execz .LBB15_9
; %bb.19:                               ;   in Loop: Header=BB15_11 Depth=1
	v_dual_mov_b32 v11, 1.0 :: v_dual_mov_b32 v12, 0
	s_branch .LBB15_9
.LBB15_20:
	s_or_b32 exec_lo, exec_lo, s13
.LBB15_21:
	s_delay_alu instid0(SALU_CYCLE_1) | instskip(SKIP_3) | instid1(VALU_DEP_1)
	s_or_b32 exec_lo, exec_lo, s12
	ds_load_b32 v0, v4 offset:16384
	s_wait_dscnt 0x0
	v_ashrrev_i32_e32 v1, 31, v0
	v_lshlrev_b64_e32 v[0:1], 2, v[0:1]
	s_delay_alu instid0(VALU_DEP_1) | instskip(SKIP_1) | instid1(VALU_DEP_2)
	v_add_co_u32 v0, vcc_lo, s2, v0
	s_wait_alu 0xfffd
	v_add_co_ci_u32_e64 v1, null, s3, v1, vcc_lo
	global_store_b32 v[0:1], v6, off
.LBB15_22:
	s_endpgm
	.section	.rodata,"a",@progbits
	.p2align	6, 0x0
	.amdhsa_kernel _ZN9rocsolver6v33100L38stedc_mergePrepare_DeflateApply_kernelIfEEviiPT_lS3_Pi
		.amdhsa_group_segment_fixed_size 32768
		.amdhsa_private_segment_fixed_size 0
		.amdhsa_kernarg_size 296
		.amdhsa_user_sgpr_count 2
		.amdhsa_user_sgpr_dispatch_ptr 0
		.amdhsa_user_sgpr_queue_ptr 0
		.amdhsa_user_sgpr_kernarg_segment_ptr 1
		.amdhsa_user_sgpr_dispatch_id 0
		.amdhsa_user_sgpr_private_segment_size 0
		.amdhsa_wavefront_size32 1
		.amdhsa_uses_dynamic_stack 0
		.amdhsa_enable_private_segment 0
		.amdhsa_system_sgpr_workgroup_id_x 1
		.amdhsa_system_sgpr_workgroup_id_y 1
		.amdhsa_system_sgpr_workgroup_id_z 0
		.amdhsa_system_sgpr_workgroup_info 0
		.amdhsa_system_vgpr_workitem_id 0
		.amdhsa_next_free_vgpr 18
		.amdhsa_next_free_sgpr 24
		.amdhsa_reserve_vcc 1
		.amdhsa_float_round_mode_32 0
		.amdhsa_float_round_mode_16_64 0
		.amdhsa_float_denorm_mode_32 3
		.amdhsa_float_denorm_mode_16_64 3
		.amdhsa_fp16_overflow 0
		.amdhsa_workgroup_processor_mode 1
		.amdhsa_memory_ordered 1
		.amdhsa_forward_progress 1
		.amdhsa_inst_pref_size 14
		.amdhsa_round_robin_scheduling 0
		.amdhsa_exception_fp_ieee_invalid_op 0
		.amdhsa_exception_fp_denorm_src 0
		.amdhsa_exception_fp_ieee_div_zero 0
		.amdhsa_exception_fp_ieee_overflow 0
		.amdhsa_exception_fp_ieee_underflow 0
		.amdhsa_exception_fp_ieee_inexact 0
		.amdhsa_exception_int_div_zero 0
	.end_amdhsa_kernel
	.section	.text._ZN9rocsolver6v33100L38stedc_mergePrepare_DeflateApply_kernelIfEEviiPT_lS3_Pi,"axG",@progbits,_ZN9rocsolver6v33100L38stedc_mergePrepare_DeflateApply_kernelIfEEviiPT_lS3_Pi,comdat
.Lfunc_end15:
	.size	_ZN9rocsolver6v33100L38stedc_mergePrepare_DeflateApply_kernelIfEEviiPT_lS3_Pi, .Lfunc_end15-_ZN9rocsolver6v33100L38stedc_mergePrepare_DeflateApply_kernelIfEEviiPT_lS3_Pi
                                        ; -- End function
	.set _ZN9rocsolver6v33100L38stedc_mergePrepare_DeflateApply_kernelIfEEviiPT_lS3_Pi.num_vgpr, 18
	.set _ZN9rocsolver6v33100L38stedc_mergePrepare_DeflateApply_kernelIfEEviiPT_lS3_Pi.num_agpr, 0
	.set _ZN9rocsolver6v33100L38stedc_mergePrepare_DeflateApply_kernelIfEEviiPT_lS3_Pi.numbered_sgpr, 24
	.set _ZN9rocsolver6v33100L38stedc_mergePrepare_DeflateApply_kernelIfEEviiPT_lS3_Pi.num_named_barrier, 0
	.set _ZN9rocsolver6v33100L38stedc_mergePrepare_DeflateApply_kernelIfEEviiPT_lS3_Pi.private_seg_size, 0
	.set _ZN9rocsolver6v33100L38stedc_mergePrepare_DeflateApply_kernelIfEEviiPT_lS3_Pi.uses_vcc, 1
	.set _ZN9rocsolver6v33100L38stedc_mergePrepare_DeflateApply_kernelIfEEviiPT_lS3_Pi.uses_flat_scratch, 0
	.set _ZN9rocsolver6v33100L38stedc_mergePrepare_DeflateApply_kernelIfEEviiPT_lS3_Pi.has_dyn_sized_stack, 0
	.set _ZN9rocsolver6v33100L38stedc_mergePrepare_DeflateApply_kernelIfEEviiPT_lS3_Pi.has_recursion, 0
	.set _ZN9rocsolver6v33100L38stedc_mergePrepare_DeflateApply_kernelIfEEviiPT_lS3_Pi.has_indirect_call, 0
	.section	.AMDGPU.csdata,"",@progbits
; Kernel info:
; codeLenInByte = 1788
; TotalNumSgprs: 26
; NumVgprs: 18
; ScratchSize: 0
; MemoryBound: 0
; FloatMode: 240
; IeeeMode: 1
; LDSByteSize: 32768 bytes/workgroup (compile time only)
; SGPRBlocks: 0
; VGPRBlocks: 2
; NumSGPRsForWavesPerEU: 26
; NumVGPRsForWavesPerEU: 18
; Occupancy: 16
; WaveLimiterHint : 1
; COMPUTE_PGM_RSRC2:SCRATCH_EN: 0
; COMPUTE_PGM_RSRC2:USER_SGPR: 2
; COMPUTE_PGM_RSRC2:TRAP_HANDLER: 0
; COMPUTE_PGM_RSRC2:TGID_X_EN: 1
; COMPUTE_PGM_RSRC2:TGID_Y_EN: 1
; COMPUTE_PGM_RSRC2:TGID_Z_EN: 0
; COMPUTE_PGM_RSRC2:TIDIG_COMP_CNT: 0
	.section	.text._ZN9rocsolver6v33100L24stedc_mergeRotate_kernelIfEEviiPT_iilS3_Pi,"axG",@progbits,_ZN9rocsolver6v33100L24stedc_mergeRotate_kernelIfEEviiPT_iilS3_Pi,comdat
	.globl	_ZN9rocsolver6v33100L24stedc_mergeRotate_kernelIfEEviiPT_iilS3_Pi ; -- Begin function _ZN9rocsolver6v33100L24stedc_mergeRotate_kernelIfEEviiPT_iilS3_Pi
	.p2align	8
	.type	_ZN9rocsolver6v33100L24stedc_mergeRotate_kernelIfEEviiPT_iilS3_Pi,@function
_ZN9rocsolver6v33100L24stedc_mergeRotate_kernelIfEEviiPT_iilS3_Pi: ; @_ZN9rocsolver6v33100L24stedc_mergeRotate_kernelIfEEviiPT_iilS3_Pi
; %bb.0:
	s_clause 0x2
	s_load_b32 s24, s[0:1], 0x4
	s_load_b64 s[2:3], s[0:1], 0x28
	s_load_b32 s18, s[0:1], 0x3c
	s_mov_b32 s10, ttmp9
	s_ashr_i32 s11, ttmp9, 31
	s_delay_alu instid0(SALU_CYCLE_1)
	s_lshl_b64 s[10:11], s[10:11], 2
	s_wait_kmcnt 0x0
	s_mul_i32 s4, ttmp7, s24
	s_mul_i32 s12, s24, 10
	s_mul_i32 s4, s4, 13
	s_ashr_i32 s25, s24, 31
	s_ashr_i32 s5, s4, 31
	;; [unrolled: 1-line block ×3, first 2 shown]
	s_lshl_b64 s[8:9], s[4:5], 2
	s_lshl_b64 s[6:7], s[24:25], 2
	;; [unrolled: 1-line block ×3, first 2 shown]
	s_add_nc_u64 s[14:15], s[2:3], s[8:9]
	s_sub_nc_u64 s[16:17], 0, s[6:7]
	s_add_nc_u64 s[14:15], s[14:15], s[4:5]
	s_and_b32 s25, s18, 0xffff
	s_add_nc_u64 s[16:17], s[14:15], s[16:17]
	s_lshl_b32 s36, s25, 4
	s_add_nc_u64 s[16:17], s[16:17], s[10:11]
	s_cvt_f32_u32 s13, s36
	s_load_b32 s33, s[16:17], 0x0
	s_mov_b32 s17, 0
	s_delay_alu instid0(SALU_CYCLE_1) | instskip(NEXT) | instid1(TRANS32_DEP_1)
	v_rcp_iflag_f32_e32 v1, s13
	v_readfirstlane_b32 s13, v1
	s_wait_kmcnt 0x0
	s_cmp_eq_u32 s33, 0
	s_cbranch_scc1 .LBB16_136
; %bb.1:
	s_mul_f32 s13, s13, 0x4f7ffffe
	s_sub_co_i32 s16, 0, s36
	s_add_co_i32 s20, s24, -1
	s_mov_b32 s19, s17
	s_wait_alu 0xfffe
	s_cvt_u32_f32 s13, s13
	s_wait_alu 0xfffe
	s_delay_alu instid0(SALU_CYCLE_2) | instskip(NEXT) | instid1(SALU_CYCLE_1)
	s_mul_i32 s16, s16, s13
	s_mul_hi_u32 s18, s13, s16
	s_abs_i32 s16, s20
	s_add_co_i32 s18, s13, s18
	s_delay_alu instid0(SALU_CYCLE_1)
	s_mul_u64 s[18:19], s[16:17], s[18:19]
	s_ashr_i32 s17, s20, 31
	s_mul_i32 s13, s19, s36
	s_wait_alu 0xfffe
	s_sub_co_i32 s13, s16, s13
	s_add_co_i32 s16, s19, 1
	s_wait_alu 0xfffe
	s_sub_co_i32 s18, s13, s36
	s_cmp_ge_u32 s13, s36
	s_cselect_b32 s16, s16, s19
	s_cselect_b32 s13, s18, s13
	s_add_co_i32 s18, s16, 1
	s_wait_alu 0xfffe
	s_cmp_ge_u32 s13, s36
	s_cselect_b32 s13, s18, s16
	s_wait_alu 0xfffe
	s_xor_b32 s13, s13, s17
	s_wait_alu 0xfffe
	s_sub_co_i32 s37, s13, s17
	s_delay_alu instid0(SALU_CYCLE_1)
	s_cmp_lt_i32 s37, 0
	s_cbranch_scc1 .LBB16_136
; %bb.2:
	s_load_b256 s[16:23], s[0:1], 0x8
	s_add_nc_u64 s[0:1], s[14:15], s[10:11]
	v_mov_b32_e32 v1, 0
	s_load_b32 s28, s[0:1], 0x0
	s_mul_i32 s0, s12, ttmp7
	s_mov_b32 s26, ttmp7
	s_ashr_i32 s27, ttmp7, 31
	s_lshl_b32 s12, s24, 1
	s_ashr_i32 s1, s0, 31
	s_wait_alu 0xfffe
	s_ashr_i32 s13, s12, 31
	s_lshl_b64 s[0:1], s[0:1], 2
	v_mov_b32_e32 v16, v1
	v_dual_mov_b32 v2, v1 :: v_dual_mov_b32 v3, v1
	v_dual_mov_b32 v4, v1 :: v_dual_mov_b32 v5, v1
	;; [unrolled: 1-line block ×4, first 2 shown]
	s_wait_kmcnt 0x0
	s_mul_u64 s[20:21], s[20:21], s[26:27]
	v_dual_mov_b32 v10, v1 :: v_dual_mov_b32 v11, v1
	v_dual_mov_b32 v12, v1 :: v_dual_mov_b32 v13, v1
	;; [unrolled: 1-line block ×3, first 2 shown]
	s_wait_alu 0xfffe
	s_lshl_b64 s[12:13], s[12:13], 2
	s_add_nc_u64 s[0:1], s[22:23], s[0:1]
	s_lshl_b64 s[20:21], s[20:21], 2
	s_ashr_i32 s15, s18, 31
	s_mov_b32 s14, s18
	s_mul_i32 s22, s28, s19
	s_add_nc_u64 s[16:17], s[16:17], s[20:21]
	s_wait_alu 0xfffe
	s_add_nc_u64 s[20:21], s[0:1], s[12:13]
	s_add_nc_u64 s[0:1], s[10:11], s[8:9]
	s_lshl_b64 s[14:15], s[14:15], 2
	s_ashr_i32 s23, s22, 31
	v_dual_mov_b32 v33, v16 :: v_dual_mov_b32 v32, v15
	s_add_nc_u64 s[0:1], s[0:1], s[4:5]
	v_dual_mov_b32 v31, v14 :: v_dual_mov_b32 v30, v13
	v_dual_mov_b32 v29, v12 :: v_dual_mov_b32 v28, v11
	;; [unrolled: 1-line block ×7, first 2 shown]
	v_mov_b32_e32 v17, v16
	s_add_nc_u64 s[16:17], s[16:17], s[14:15]
	s_lshl_b64 s[14:15], s[22:23], 2
	v_mov_b32_e32 v16, v15
	v_mov_b32_e32 v15, v14
	;; [unrolled: 1-line block ×15, first 2 shown]
	s_cmp_gt_i32 s33, 0
	s_add_nc_u64 s[0:1], s[2:3], s[0:1]
	s_add_nc_u64 s[22:23], s[16:17], s[14:15]
	;; [unrolled: 1-line block ×3, first 2 shown]
	s_mov_b32 s18, 0
	s_cselect_b32 s38, -1, 0
	s_add_nc_u64 s[28:29], s[0:1], 4
	s_branch .LBB16_4
.LBB16_3:                               ;   in Loop: Header=BB16_4 Depth=1
	s_or_b32 exec_lo, exec_lo, s0
	s_add_co_i32 s0, s18, 1
	s_cmp_lg_u32 s18, s37
	s_mov_b32 s18, s0
	s_cbranch_scc0 .LBB16_136
.LBB16_4:                               ; =>This Loop Header: Depth=1
                                        ;     Child Loop BB16_39 Depth 2
	s_wait_alu 0xfffe
	v_mad_co_u64_u32 v[50:51], null, s18, s36, v[0:1]
	s_delay_alu instid0(VALU_DEP_1)
	v_cmp_gt_i32_e64 s0, s24, v50
	v_ashrrev_i32_e32 v51, 31, v50
	s_and_saveexec_b32 s1, s0
	s_cbranch_execz .LBB16_6
; %bb.5:                                ;   in Loop: Header=BB16_4 Depth=1
	s_delay_alu instid0(VALU_DEP_1) | instskip(NEXT) | instid1(VALU_DEP_1)
	v_lshlrev_b64_e32 v[34:35], 2, v[50:51]
	v_add_co_u32 v34, vcc_lo, s22, v34
	s_wait_alu 0xfffd
	s_delay_alu instid0(VALU_DEP_2)
	v_add_co_ci_u32_e64 v35, null, s23, v35, vcc_lo
	s_wait_loadcnt 0x0
	global_load_b32 v2, v[34:35], off
.LBB16_6:                               ;   in Loop: Header=BB16_4 Depth=1
	s_or_b32 exec_lo, exec_lo, s1
	v_add_nc_u32_e32 v52, s25, v50
	s_delay_alu instid0(VALU_DEP_1)
	v_cmp_gt_i32_e64 s1, s24, v52
	v_ashrrev_i32_e32 v53, 31, v52
	s_and_saveexec_b32 s2, s1
	s_cbranch_execz .LBB16_8
; %bb.7:                                ;   in Loop: Header=BB16_4 Depth=1
	s_delay_alu instid0(VALU_DEP_1) | instskip(NEXT) | instid1(VALU_DEP_1)
	v_lshlrev_b64_e32 v[34:35], 2, v[52:53]
	v_add_co_u32 v34, vcc_lo, s22, v34
	s_wait_alu 0xfffd
	s_delay_alu instid0(VALU_DEP_2)
	v_add_co_ci_u32_e64 v35, null, s23, v35, vcc_lo
	s_wait_loadcnt 0x0
	global_load_b32 v3, v[34:35], off
.LBB16_8:                               ;   in Loop: Header=BB16_4 Depth=1
	s_or_b32 exec_lo, exec_lo, s2
	v_add_nc_u32_e32 v54, s25, v52
	s_delay_alu instid0(VALU_DEP_1)
	v_cmp_gt_i32_e64 s2, s24, v54
	v_ashrrev_i32_e32 v55, 31, v54
	s_and_saveexec_b32 s3, s2
	s_cbranch_execz .LBB16_10
; %bb.9:                                ;   in Loop: Header=BB16_4 Depth=1
	s_delay_alu instid0(VALU_DEP_1) | instskip(NEXT) | instid1(VALU_DEP_1)
	v_lshlrev_b64_e32 v[34:35], 2, v[54:55]
	v_add_co_u32 v34, vcc_lo, s22, v34
	s_wait_alu 0xfffd
	s_delay_alu instid0(VALU_DEP_2)
	v_add_co_ci_u32_e64 v35, null, s23, v35, vcc_lo
	s_wait_loadcnt 0x0
	global_load_b32 v4, v[34:35], off
.LBB16_10:                              ;   in Loop: Header=BB16_4 Depth=1
	s_or_b32 exec_lo, exec_lo, s3
	v_add_nc_u32_e32 v56, s25, v54
	s_delay_alu instid0(VALU_DEP_1)
	v_cmp_gt_i32_e64 s3, s24, v56
	v_ashrrev_i32_e32 v57, 31, v56
	s_and_saveexec_b32 s4, s3
	s_cbranch_execz .LBB16_12
; %bb.11:                               ;   in Loop: Header=BB16_4 Depth=1
	s_delay_alu instid0(VALU_DEP_1) | instskip(NEXT) | instid1(VALU_DEP_1)
	v_lshlrev_b64_e32 v[34:35], 2, v[56:57]
	v_add_co_u32 v34, vcc_lo, s22, v34
	s_wait_alu 0xfffd
	s_delay_alu instid0(VALU_DEP_2)
	v_add_co_ci_u32_e64 v35, null, s23, v35, vcc_lo
	s_wait_loadcnt 0x0
	global_load_b32 v5, v[34:35], off
.LBB16_12:                              ;   in Loop: Header=BB16_4 Depth=1
	s_or_b32 exec_lo, exec_lo, s4
	v_add_nc_u32_e32 v58, s25, v56
	s_delay_alu instid0(VALU_DEP_1)
	v_cmp_gt_i32_e64 s4, s24, v58
	v_ashrrev_i32_e32 v59, 31, v58
	s_and_saveexec_b32 s5, s4
	s_cbranch_execz .LBB16_14
; %bb.13:                               ;   in Loop: Header=BB16_4 Depth=1
	s_delay_alu instid0(VALU_DEP_1) | instskip(NEXT) | instid1(VALU_DEP_1)
	v_lshlrev_b64_e32 v[34:35], 2, v[58:59]
	v_add_co_u32 v34, vcc_lo, s22, v34
	s_wait_alu 0xfffd
	s_delay_alu instid0(VALU_DEP_2)
	v_add_co_ci_u32_e64 v35, null, s23, v35, vcc_lo
	s_wait_loadcnt 0x0
	global_load_b32 v6, v[34:35], off
.LBB16_14:                              ;   in Loop: Header=BB16_4 Depth=1
	;; [unrolled: 17-line block ×9, first 2 shown]
	s_wait_alu 0xfffe
	s_or_b32 exec_lo, exec_lo, s12
	v_add_nc_u32_e32 v74, s25, v72
	s_delay_alu instid0(VALU_DEP_1)
	v_cmp_gt_i32_e64 s12, s24, v74
	v_ashrrev_i32_e32 v75, 31, v74
	s_and_saveexec_b32 s13, s12
	s_cbranch_execz .LBB16_30
; %bb.29:                               ;   in Loop: Header=BB16_4 Depth=1
	s_delay_alu instid0(VALU_DEP_1) | instskip(NEXT) | instid1(VALU_DEP_1)
	v_lshlrev_b64_e32 v[34:35], 2, v[74:75]
	v_add_co_u32 v34, vcc_lo, s22, v34
	s_wait_alu 0xfffd
	s_delay_alu instid0(VALU_DEP_2)
	v_add_co_ci_u32_e64 v35, null, s23, v35, vcc_lo
	s_wait_loadcnt 0x0
	global_load_b32 v14, v[34:35], off
.LBB16_30:                              ;   in Loop: Header=BB16_4 Depth=1
	s_wait_alu 0xfffe
	s_or_b32 exec_lo, exec_lo, s13
	v_add_nc_u32_e32 v76, s25, v74
	s_delay_alu instid0(VALU_DEP_1)
	v_cmp_gt_i32_e64 s13, s24, v76
	v_ashrrev_i32_e32 v77, 31, v76
	s_and_saveexec_b32 s14, s13
	s_cbranch_execz .LBB16_32
; %bb.31:                               ;   in Loop: Header=BB16_4 Depth=1
	s_delay_alu instid0(VALU_DEP_1) | instskip(NEXT) | instid1(VALU_DEP_1)
	v_lshlrev_b64_e32 v[34:35], 2, v[76:77]
	v_add_co_u32 v34, vcc_lo, s22, v34
	s_wait_alu 0xfffd
	s_delay_alu instid0(VALU_DEP_2)
	v_add_co_ci_u32_e64 v35, null, s23, v35, vcc_lo
	s_wait_loadcnt 0x0
	global_load_b32 v15, v[34:35], off
.LBB16_32:                              ;   in Loop: Header=BB16_4 Depth=1
	s_or_b32 exec_lo, exec_lo, s14
	v_add_nc_u32_e32 v78, s25, v76
	s_delay_alu instid0(VALU_DEP_1)
	v_cmp_gt_i32_e64 s14, s24, v78
	v_ashrrev_i32_e32 v79, 31, v78
	s_and_saveexec_b32 s15, s14
	s_cbranch_execz .LBB16_34
; %bb.33:                               ;   in Loop: Header=BB16_4 Depth=1
	s_delay_alu instid0(VALU_DEP_1) | instskip(NEXT) | instid1(VALU_DEP_1)
	v_lshlrev_b64_e32 v[34:35], 2, v[78:79]
	v_add_co_u32 v34, vcc_lo, s22, v34
	s_wait_alu 0xfffd
	s_delay_alu instid0(VALU_DEP_2)
	v_add_co_ci_u32_e64 v35, null, s23, v35, vcc_lo
	s_wait_loadcnt 0x0
	global_load_b32 v16, v[34:35], off
.LBB16_34:                              ;   in Loop: Header=BB16_4 Depth=1
	;; [unrolled: 17-line block ×3, first 2 shown]
	s_or_b32 exec_lo, exec_lo, s30
	s_delay_alu instid0(SALU_CYCLE_1)
	s_and_b32 vcc_lo, exec_lo, s38
	s_wait_alu 0xfffe
	s_cbranch_vccz .LBB16_104
; %bb.37:                               ;   in Loop: Header=BB16_4 Depth=1
	v_lshlrev_b64_e32 v[82:83], 2, v[50:51]
	v_lshlrev_b64_e32 v[84:85], 2, v[52:53]
	;; [unrolled: 1-line block ×16, first 2 shown]
	s_mov_b32 s39, s33
	s_mov_b64 s[30:31], s[28:29]
	s_branch .LBB16_39
.LBB16_38:                              ;   in Loop: Header=BB16_39 Depth=2
	s_or_b32 exec_lo, exec_lo, s40
	v_mul_f32_e32 v18, v115, v18
	v_mul_f32_e32 v19, v115, v19
	;; [unrolled: 1-line block ×5, first 2 shown]
	v_fma_f32 v2, v114, v2, -v18
	v_mul_f32_e32 v18, v115, v23
	v_fma_f32 v3, v114, v3, -v19
	v_fma_f32 v4, v114, v4, -v20
	;; [unrolled: 1-line block ×5, first 2 shown]
	v_mul_f32_e32 v18, v115, v24
	v_mul_f32_e32 v19, v115, v25
	;; [unrolled: 1-line block ×5, first 2 shown]
	v_fma_f32 v8, v114, v8, -v18
	v_fma_f32 v9, v114, v9, -v19
	;; [unrolled: 1-line block ×5, first 2 shown]
	v_mul_f32_e32 v18, v115, v29
	v_mul_f32_e32 v19, v115, v30
	v_mul_f32_e32 v20, v115, v31
	v_mul_f32_e32 v21, v115, v32
	v_mul_f32_e32 v22, v115, v33
	v_fma_f32 v13, v114, v13, -v18
	v_fma_f32 v14, v114, v14, -v19
	;; [unrolled: 1-line block ×5, first 2 shown]
	v_dual_mov_b32 v18, v34 :: v_dual_mov_b32 v19, v35
	v_dual_mov_b32 v20, v36 :: v_dual_mov_b32 v21, v37
	;; [unrolled: 1-line block ×3, first 2 shown]
	v_mov_b32_e32 v32, v48
	v_dual_mov_b32 v24, v40 :: v_dual_mov_b32 v25, v41
	v_dual_mov_b32 v26, v42 :: v_dual_mov_b32 v27, v43
	;; [unrolled: 1-line block ×4, first 2 shown]
	v_mov_b32_e32 v33, v49
	s_add_co_i32 s39, s39, -1
	s_add_nc_u64 s[30:31], s[30:31], 4
	s_cmp_eq_u32 s39, 0
	s_wait_storecnt 0x0
	s_barrier_signal -1
	s_barrier_wait -1
	global_inv scope:SCOPE_SE
	s_cbranch_scc1 .LBB16_103
.LBB16_39:                              ;   Parent Loop BB16_4 Depth=1
                                        ; =>  This Inner Loop Header: Depth=2
	global_load_b32 v34, v1, s[30:31]
	s_wait_loadcnt 0x0
	v_ashrrev_i32_e32 v35, 31, v34
	v_readfirstlane_b32 s34, v34
	s_delay_alu instid0(VALU_DEP_2)
	v_lshlrev_b64_e32 v[35:36], 2, v[34:35]
	s_wait_alu 0xfffe
	s_mul_i32 s34, s34, s19
	s_wait_alu 0xfffe
	s_ashr_i32 s35, s34, 31
	s_wait_alu 0xfffe
	s_lshl_b64 s[34:35], s[34:35], 2
	v_add_co_u32 v37, vcc_lo, s20, v35
	s_wait_alu 0xfffd
	v_add_co_ci_u32_e64 v38, null, s21, v36, vcc_lo
	v_add_co_u32 v35, vcc_lo, s26, v35
	s_wait_alu 0xfffd
	v_add_co_ci_u32_e64 v36, null, s27, v36, vcc_lo
	s_clause 0x1
	global_load_b32 v114, v[37:38], off
	global_load_b32 v115, v[35:36], off
	s_wait_alu 0xfffe
	s_add_nc_u64 s[34:35], s[16:17], s[34:35]
	s_and_saveexec_b32 s40, s0
	s_cbranch_execnz .LBB16_88
; %bb.40:                               ;   in Loop: Header=BB16_39 Depth=2
	s_or_b32 exec_lo, exec_lo, s40
	s_and_saveexec_b32 s40, s1
	s_cbranch_execnz .LBB16_89
.LBB16_41:                              ;   in Loop: Header=BB16_39 Depth=2
	s_or_b32 exec_lo, exec_lo, s40
	s_and_saveexec_b32 s40, s2
	s_cbranch_execnz .LBB16_90
.LBB16_42:                              ;   in Loop: Header=BB16_39 Depth=2
	s_or_b32 exec_lo, exec_lo, s40
	s_and_saveexec_b32 s40, s3
	s_cbranch_execnz .LBB16_91
.LBB16_43:                              ;   in Loop: Header=BB16_39 Depth=2
	s_or_b32 exec_lo, exec_lo, s40
	s_and_saveexec_b32 s40, s4
	s_cbranch_execnz .LBB16_92
.LBB16_44:                              ;   in Loop: Header=BB16_39 Depth=2
	s_or_b32 exec_lo, exec_lo, s40
	s_and_saveexec_b32 s40, s5
	s_cbranch_execnz .LBB16_93
.LBB16_45:                              ;   in Loop: Header=BB16_39 Depth=2
	s_or_b32 exec_lo, exec_lo, s40
	s_and_saveexec_b32 s40, s6
	s_cbranch_execnz .LBB16_94
.LBB16_46:                              ;   in Loop: Header=BB16_39 Depth=2
	s_or_b32 exec_lo, exec_lo, s40
	s_and_saveexec_b32 s40, s7
	s_cbranch_execnz .LBB16_95
.LBB16_47:                              ;   in Loop: Header=BB16_39 Depth=2
	s_or_b32 exec_lo, exec_lo, s40
	s_and_saveexec_b32 s40, s8
	s_cbranch_execnz .LBB16_96
.LBB16_48:                              ;   in Loop: Header=BB16_39 Depth=2
	s_or_b32 exec_lo, exec_lo, s40
	s_and_saveexec_b32 s40, s9
	s_cbranch_execnz .LBB16_97
.LBB16_49:                              ;   in Loop: Header=BB16_39 Depth=2
	s_or_b32 exec_lo, exec_lo, s40
	s_and_saveexec_b32 s40, s10
	s_cbranch_execnz .LBB16_98
.LBB16_50:                              ;   in Loop: Header=BB16_39 Depth=2
	s_or_b32 exec_lo, exec_lo, s40
	s_and_saveexec_b32 s40, s11
	s_cbranch_execnz .LBB16_99
.LBB16_51:                              ;   in Loop: Header=BB16_39 Depth=2
	s_or_b32 exec_lo, exec_lo, s40
	s_and_saveexec_b32 s40, s12
	s_cbranch_execnz .LBB16_100
.LBB16_52:                              ;   in Loop: Header=BB16_39 Depth=2
	s_or_b32 exec_lo, exec_lo, s40
	s_and_saveexec_b32 s40, s13
	s_cbranch_execnz .LBB16_101
.LBB16_53:                              ;   in Loop: Header=BB16_39 Depth=2
	s_or_b32 exec_lo, exec_lo, s40
	s_and_saveexec_b32 s40, s14
	s_cbranch_execnz .LBB16_102
.LBB16_54:                              ;   in Loop: Header=BB16_39 Depth=2
	s_or_b32 exec_lo, exec_lo, s40
	s_and_saveexec_b32 s40, s15
	s_cbranch_execz .LBB16_56
.LBB16_55:                              ;   in Loop: Header=BB16_39 Depth=2
	s_wait_alu 0xfffe
	v_add_co_u32 v33, vcc_lo, s34, v112
	s_wait_alu 0xfffd
	v_add_co_ci_u32_e64 v34, null, s35, v113, vcc_lo
	global_load_b32 v33, v[33:34], off
.LBB16_56:                              ;   in Loop: Header=BB16_39 Depth=2
	s_or_b32 exec_lo, exec_lo, s40
	s_wait_loadcnt 0x0
	v_mul_f32_e32 v34, v114, v18
	s_delay_alu instid0(VALU_DEP_1)
	v_fmac_f32_e32 v34, v115, v2
	s_and_saveexec_b32 s40, s0
	s_cbranch_execz .LBB16_58
; %bb.57:                               ;   in Loop: Header=BB16_39 Depth=2
	s_wait_alu 0xfffe
	v_add_co_u32 v35, vcc_lo, s34, v82
	s_wait_alu 0xfffd
	v_add_co_ci_u32_e64 v36, null, s35, v83, vcc_lo
	global_store_b32 v[35:36], v34, off
.LBB16_58:                              ;   in Loop: Header=BB16_39 Depth=2
	s_or_b32 exec_lo, exec_lo, s40
	v_mul_f32_e32 v35, v114, v19
	s_delay_alu instid0(VALU_DEP_1)
	v_fmac_f32_e32 v35, v115, v3
	s_and_saveexec_b32 s40, s1
	s_cbranch_execz .LBB16_60
; %bb.59:                               ;   in Loop: Header=BB16_39 Depth=2
	s_wait_alu 0xfffe
	v_add_co_u32 v36, vcc_lo, s34, v84
	s_wait_alu 0xfffd
	v_add_co_ci_u32_e64 v37, null, s35, v85, vcc_lo
	global_store_b32 v[36:37], v35, off
.LBB16_60:                              ;   in Loop: Header=BB16_39 Depth=2
	s_or_b32 exec_lo, exec_lo, s40
	;; [unrolled: 13-line block ×15, first 2 shown]
	v_mul_f32_e32 v49, v114, v33
	s_delay_alu instid0(VALU_DEP_1)
	v_fmac_f32_e32 v49, v115, v17
	s_and_saveexec_b32 s40, s15
	s_cbranch_execz .LBB16_38
; %bb.87:                               ;   in Loop: Header=BB16_39 Depth=2
	s_wait_alu 0xfffe
	v_add_co_u32 v116, vcc_lo, s34, v112
	s_wait_alu 0xfffd
	v_add_co_ci_u32_e64 v117, null, s35, v113, vcc_lo
	global_store_b32 v[116:117], v49, off
	s_branch .LBB16_38
.LBB16_88:                              ;   in Loop: Header=BB16_39 Depth=2
	s_wait_alu 0xfffe
	v_add_co_u32 v34, vcc_lo, s34, v82
	s_wait_alu 0xfffd
	v_add_co_ci_u32_e64 v35, null, s35, v83, vcc_lo
	global_load_b32 v18, v[34:35], off
	s_or_b32 exec_lo, exec_lo, s40
	s_and_saveexec_b32 s40, s1
	s_cbranch_execz .LBB16_41
.LBB16_89:                              ;   in Loop: Header=BB16_39 Depth=2
	s_wait_alu 0xfffe
	v_add_co_u32 v34, vcc_lo, s34, v84
	s_wait_alu 0xfffd
	v_add_co_ci_u32_e64 v35, null, s35, v85, vcc_lo
	global_load_b32 v19, v[34:35], off
	s_or_b32 exec_lo, exec_lo, s40
	s_and_saveexec_b32 s40, s2
	s_cbranch_execz .LBB16_42
.LBB16_90:                              ;   in Loop: Header=BB16_39 Depth=2
	s_wait_alu 0xfffe
	v_add_co_u32 v34, vcc_lo, s34, v86
	s_wait_alu 0xfffd
	v_add_co_ci_u32_e64 v35, null, s35, v87, vcc_lo
	global_load_b32 v20, v[34:35], off
	s_or_b32 exec_lo, exec_lo, s40
	s_and_saveexec_b32 s40, s3
	s_cbranch_execz .LBB16_43
.LBB16_91:                              ;   in Loop: Header=BB16_39 Depth=2
	s_wait_alu 0xfffe
	v_add_co_u32 v34, vcc_lo, s34, v88
	s_wait_alu 0xfffd
	v_add_co_ci_u32_e64 v35, null, s35, v89, vcc_lo
	global_load_b32 v21, v[34:35], off
	s_or_b32 exec_lo, exec_lo, s40
	s_and_saveexec_b32 s40, s4
	s_cbranch_execz .LBB16_44
.LBB16_92:                              ;   in Loop: Header=BB16_39 Depth=2
	s_wait_alu 0xfffe
	v_add_co_u32 v34, vcc_lo, s34, v90
	s_wait_alu 0xfffd
	v_add_co_ci_u32_e64 v35, null, s35, v91, vcc_lo
	global_load_b32 v22, v[34:35], off
	s_or_b32 exec_lo, exec_lo, s40
	s_and_saveexec_b32 s40, s5
	s_cbranch_execz .LBB16_45
.LBB16_93:                              ;   in Loop: Header=BB16_39 Depth=2
	s_wait_alu 0xfffe
	v_add_co_u32 v34, vcc_lo, s34, v92
	s_wait_alu 0xfffd
	v_add_co_ci_u32_e64 v35, null, s35, v93, vcc_lo
	global_load_b32 v23, v[34:35], off
	s_or_b32 exec_lo, exec_lo, s40
	s_and_saveexec_b32 s40, s6
	s_cbranch_execz .LBB16_46
.LBB16_94:                              ;   in Loop: Header=BB16_39 Depth=2
	s_wait_alu 0xfffe
	v_add_co_u32 v34, vcc_lo, s34, v94
	s_wait_alu 0xfffd
	v_add_co_ci_u32_e64 v35, null, s35, v95, vcc_lo
	global_load_b32 v24, v[34:35], off
	s_or_b32 exec_lo, exec_lo, s40
	s_and_saveexec_b32 s40, s7
	s_cbranch_execz .LBB16_47
.LBB16_95:                              ;   in Loop: Header=BB16_39 Depth=2
	s_wait_alu 0xfffe
	v_add_co_u32 v34, vcc_lo, s34, v96
	s_wait_alu 0xfffd
	v_add_co_ci_u32_e64 v35, null, s35, v97, vcc_lo
	global_load_b32 v25, v[34:35], off
	s_or_b32 exec_lo, exec_lo, s40
	s_and_saveexec_b32 s40, s8
	s_cbranch_execz .LBB16_48
.LBB16_96:                              ;   in Loop: Header=BB16_39 Depth=2
	s_wait_alu 0xfffe
	v_add_co_u32 v34, vcc_lo, s34, v98
	s_wait_alu 0xfffd
	v_add_co_ci_u32_e64 v35, null, s35, v99, vcc_lo
	global_load_b32 v26, v[34:35], off
	s_or_b32 exec_lo, exec_lo, s40
	s_and_saveexec_b32 s40, s9
	s_cbranch_execz .LBB16_49
.LBB16_97:                              ;   in Loop: Header=BB16_39 Depth=2
	s_wait_alu 0xfffe
	v_add_co_u32 v34, vcc_lo, s34, v100
	s_wait_alu 0xfffd
	v_add_co_ci_u32_e64 v35, null, s35, v101, vcc_lo
	global_load_b32 v27, v[34:35], off
	s_or_b32 exec_lo, exec_lo, s40
	s_and_saveexec_b32 s40, s10
	s_cbranch_execz .LBB16_50
.LBB16_98:                              ;   in Loop: Header=BB16_39 Depth=2
	s_wait_alu 0xfffe
	v_add_co_u32 v34, vcc_lo, s34, v102
	s_wait_alu 0xfffd
	v_add_co_ci_u32_e64 v35, null, s35, v103, vcc_lo
	global_load_b32 v28, v[34:35], off
	s_or_b32 exec_lo, exec_lo, s40
	s_and_saveexec_b32 s40, s11
	s_cbranch_execz .LBB16_51
.LBB16_99:                              ;   in Loop: Header=BB16_39 Depth=2
	s_wait_alu 0xfffe
	v_add_co_u32 v34, vcc_lo, s34, v104
	s_wait_alu 0xfffd
	v_add_co_ci_u32_e64 v35, null, s35, v105, vcc_lo
	global_load_b32 v29, v[34:35], off
	s_or_b32 exec_lo, exec_lo, s40
	s_and_saveexec_b32 s40, s12
	s_cbranch_execz .LBB16_52
.LBB16_100:                             ;   in Loop: Header=BB16_39 Depth=2
	s_wait_alu 0xfffe
	v_add_co_u32 v34, vcc_lo, s34, v106
	s_wait_alu 0xfffd
	v_add_co_ci_u32_e64 v35, null, s35, v107, vcc_lo
	global_load_b32 v30, v[34:35], off
	s_or_b32 exec_lo, exec_lo, s40
	s_and_saveexec_b32 s40, s13
	s_cbranch_execz .LBB16_53
.LBB16_101:                             ;   in Loop: Header=BB16_39 Depth=2
	s_wait_alu 0xfffe
	v_add_co_u32 v34, vcc_lo, s34, v108
	s_wait_alu 0xfffd
	v_add_co_ci_u32_e64 v35, null, s35, v109, vcc_lo
	global_load_b32 v31, v[34:35], off
	s_or_b32 exec_lo, exec_lo, s40
	s_and_saveexec_b32 s40, s14
	s_cbranch_execz .LBB16_54
.LBB16_102:                             ;   in Loop: Header=BB16_39 Depth=2
	s_wait_alu 0xfffe
	v_add_co_u32 v34, vcc_lo, s34, v110
	s_wait_alu 0xfffd
	v_add_co_ci_u32_e64 v35, null, s35, v111, vcc_lo
	global_load_b32 v32, v[34:35], off
	s_or_b32 exec_lo, exec_lo, s40
	s_and_saveexec_b32 s40, s15
	s_cbranch_execnz .LBB16_55
	s_branch .LBB16_56
.LBB16_103:                             ;   in Loop: Header=BB16_4 Depth=1
	v_dual_mov_b32 v18, v34 :: v_dual_mov_b32 v19, v35
	v_dual_mov_b32 v20, v36 :: v_dual_mov_b32 v21, v37
	;; [unrolled: 1-line block ×8, first 2 shown]
.LBB16_104:                             ;   in Loop: Header=BB16_4 Depth=1
	s_and_saveexec_b32 s30, s0
	s_cbranch_execnz .LBB16_120
; %bb.105:                              ;   in Loop: Header=BB16_4 Depth=1
	s_or_b32 exec_lo, exec_lo, s30
	s_and_saveexec_b32 s0, s1
	s_cbranch_execnz .LBB16_121
.LBB16_106:                             ;   in Loop: Header=BB16_4 Depth=1
	s_or_b32 exec_lo, exec_lo, s0
	s_and_saveexec_b32 s0, s2
	s_cbranch_execnz .LBB16_122
.LBB16_107:                             ;   in Loop: Header=BB16_4 Depth=1
	s_or_b32 exec_lo, exec_lo, s0
	s_and_saveexec_b32 s0, s3
	s_cbranch_execnz .LBB16_123
.LBB16_108:                             ;   in Loop: Header=BB16_4 Depth=1
	s_or_b32 exec_lo, exec_lo, s0
	s_and_saveexec_b32 s0, s4
	s_cbranch_execnz .LBB16_124
.LBB16_109:                             ;   in Loop: Header=BB16_4 Depth=1
	s_or_b32 exec_lo, exec_lo, s0
	s_and_saveexec_b32 s0, s5
	s_cbranch_execnz .LBB16_125
.LBB16_110:                             ;   in Loop: Header=BB16_4 Depth=1
	s_or_b32 exec_lo, exec_lo, s0
	s_and_saveexec_b32 s0, s6
	s_cbranch_execnz .LBB16_126
.LBB16_111:                             ;   in Loop: Header=BB16_4 Depth=1
	s_or_b32 exec_lo, exec_lo, s0
	s_and_saveexec_b32 s0, s7
	s_cbranch_execnz .LBB16_127
.LBB16_112:                             ;   in Loop: Header=BB16_4 Depth=1
	s_or_b32 exec_lo, exec_lo, s0
	s_and_saveexec_b32 s0, s8
	s_cbranch_execnz .LBB16_128
.LBB16_113:                             ;   in Loop: Header=BB16_4 Depth=1
	s_or_b32 exec_lo, exec_lo, s0
	s_and_saveexec_b32 s0, s9
	s_cbranch_execnz .LBB16_129
.LBB16_114:                             ;   in Loop: Header=BB16_4 Depth=1
	s_or_b32 exec_lo, exec_lo, s0
	s_and_saveexec_b32 s0, s10
	s_cbranch_execnz .LBB16_130
.LBB16_115:                             ;   in Loop: Header=BB16_4 Depth=1
	s_or_b32 exec_lo, exec_lo, s0
	s_and_saveexec_b32 s0, s11
	s_cbranch_execnz .LBB16_131
.LBB16_116:                             ;   in Loop: Header=BB16_4 Depth=1
	s_or_b32 exec_lo, exec_lo, s0
	s_and_saveexec_b32 s0, s12
	s_cbranch_execnz .LBB16_132
.LBB16_117:                             ;   in Loop: Header=BB16_4 Depth=1
	s_or_b32 exec_lo, exec_lo, s0
	s_and_saveexec_b32 s0, s13
	s_cbranch_execnz .LBB16_133
.LBB16_118:                             ;   in Loop: Header=BB16_4 Depth=1
	s_or_b32 exec_lo, exec_lo, s0
	s_and_saveexec_b32 s0, s14
	s_cbranch_execnz .LBB16_134
.LBB16_119:                             ;   in Loop: Header=BB16_4 Depth=1
	s_or_b32 exec_lo, exec_lo, s0
	s_and_saveexec_b32 s0, s15
	s_cbranch_execz .LBB16_3
	s_branch .LBB16_135
.LBB16_120:                             ;   in Loop: Header=BB16_4 Depth=1
	v_lshlrev_b64_e32 v[34:35], 2, v[50:51]
	s_delay_alu instid0(VALU_DEP_1) | instskip(SKIP_1) | instid1(VALU_DEP_2)
	v_add_co_u32 v34, vcc_lo, s22, v34
	s_wait_alu 0xfffd
	v_add_co_ci_u32_e64 v35, null, s23, v35, vcc_lo
	s_wait_loadcnt 0x0
	global_store_b32 v[34:35], v2, off
	s_or_b32 exec_lo, exec_lo, s30
	s_and_saveexec_b32 s0, s1
	s_cbranch_execz .LBB16_106
.LBB16_121:                             ;   in Loop: Header=BB16_4 Depth=1
	v_lshlrev_b64_e32 v[34:35], 2, v[52:53]
	s_delay_alu instid0(VALU_DEP_1) | instskip(SKIP_1) | instid1(VALU_DEP_2)
	v_add_co_u32 v34, vcc_lo, s22, v34
	s_wait_alu 0xfffd
	v_add_co_ci_u32_e64 v35, null, s23, v35, vcc_lo
	s_wait_loadcnt 0x0
	global_store_b32 v[34:35], v3, off
	s_or_b32 exec_lo, exec_lo, s0
	s_and_saveexec_b32 s0, s2
	s_cbranch_execz .LBB16_107
.LBB16_122:                             ;   in Loop: Header=BB16_4 Depth=1
	v_lshlrev_b64_e32 v[34:35], 2, v[54:55]
	s_delay_alu instid0(VALU_DEP_1) | instskip(SKIP_1) | instid1(VALU_DEP_2)
	v_add_co_u32 v34, vcc_lo, s22, v34
	s_wait_alu 0xfffd
	v_add_co_ci_u32_e64 v35, null, s23, v35, vcc_lo
	s_wait_loadcnt 0x0
	global_store_b32 v[34:35], v4, off
	s_or_b32 exec_lo, exec_lo, s0
	s_and_saveexec_b32 s0, s3
	s_cbranch_execz .LBB16_108
.LBB16_123:                             ;   in Loop: Header=BB16_4 Depth=1
	v_lshlrev_b64_e32 v[34:35], 2, v[56:57]
	s_delay_alu instid0(VALU_DEP_1) | instskip(SKIP_1) | instid1(VALU_DEP_2)
	v_add_co_u32 v34, vcc_lo, s22, v34
	s_wait_alu 0xfffd
	v_add_co_ci_u32_e64 v35, null, s23, v35, vcc_lo
	s_wait_loadcnt 0x0
	global_store_b32 v[34:35], v5, off
	s_or_b32 exec_lo, exec_lo, s0
	s_and_saveexec_b32 s0, s4
	s_cbranch_execz .LBB16_109
.LBB16_124:                             ;   in Loop: Header=BB16_4 Depth=1
	v_lshlrev_b64_e32 v[34:35], 2, v[58:59]
	s_delay_alu instid0(VALU_DEP_1) | instskip(SKIP_1) | instid1(VALU_DEP_2)
	v_add_co_u32 v34, vcc_lo, s22, v34
	s_wait_alu 0xfffd
	v_add_co_ci_u32_e64 v35, null, s23, v35, vcc_lo
	s_wait_loadcnt 0x0
	global_store_b32 v[34:35], v6, off
	s_or_b32 exec_lo, exec_lo, s0
	s_and_saveexec_b32 s0, s5
	s_cbranch_execz .LBB16_110
.LBB16_125:                             ;   in Loop: Header=BB16_4 Depth=1
	v_lshlrev_b64_e32 v[34:35], 2, v[60:61]
	s_delay_alu instid0(VALU_DEP_1) | instskip(SKIP_1) | instid1(VALU_DEP_2)
	v_add_co_u32 v34, vcc_lo, s22, v34
	s_wait_alu 0xfffd
	v_add_co_ci_u32_e64 v35, null, s23, v35, vcc_lo
	s_wait_loadcnt 0x0
	global_store_b32 v[34:35], v7, off
	s_or_b32 exec_lo, exec_lo, s0
	s_and_saveexec_b32 s0, s6
	s_cbranch_execz .LBB16_111
.LBB16_126:                             ;   in Loop: Header=BB16_4 Depth=1
	v_lshlrev_b64_e32 v[34:35], 2, v[62:63]
	s_delay_alu instid0(VALU_DEP_1) | instskip(SKIP_1) | instid1(VALU_DEP_2)
	v_add_co_u32 v34, vcc_lo, s22, v34
	s_wait_alu 0xfffd
	v_add_co_ci_u32_e64 v35, null, s23, v35, vcc_lo
	s_wait_loadcnt 0x0
	global_store_b32 v[34:35], v8, off
	s_or_b32 exec_lo, exec_lo, s0
	s_and_saveexec_b32 s0, s7
	s_cbranch_execz .LBB16_112
.LBB16_127:                             ;   in Loop: Header=BB16_4 Depth=1
	v_lshlrev_b64_e32 v[34:35], 2, v[64:65]
	s_delay_alu instid0(VALU_DEP_1) | instskip(SKIP_1) | instid1(VALU_DEP_2)
	v_add_co_u32 v34, vcc_lo, s22, v34
	s_wait_alu 0xfffd
	v_add_co_ci_u32_e64 v35, null, s23, v35, vcc_lo
	s_wait_loadcnt 0x0
	global_store_b32 v[34:35], v9, off
	s_or_b32 exec_lo, exec_lo, s0
	s_and_saveexec_b32 s0, s8
	s_cbranch_execz .LBB16_113
.LBB16_128:                             ;   in Loop: Header=BB16_4 Depth=1
	v_lshlrev_b64_e32 v[34:35], 2, v[66:67]
	s_delay_alu instid0(VALU_DEP_1) | instskip(SKIP_1) | instid1(VALU_DEP_2)
	v_add_co_u32 v34, vcc_lo, s22, v34
	s_wait_alu 0xfffd
	v_add_co_ci_u32_e64 v35, null, s23, v35, vcc_lo
	s_wait_loadcnt 0x0
	global_store_b32 v[34:35], v10, off
	s_or_b32 exec_lo, exec_lo, s0
	s_and_saveexec_b32 s0, s9
	s_cbranch_execz .LBB16_114
.LBB16_129:                             ;   in Loop: Header=BB16_4 Depth=1
	v_lshlrev_b64_e32 v[34:35], 2, v[68:69]
	s_delay_alu instid0(VALU_DEP_1) | instskip(SKIP_1) | instid1(VALU_DEP_2)
	v_add_co_u32 v34, vcc_lo, s22, v34
	s_wait_alu 0xfffd
	v_add_co_ci_u32_e64 v35, null, s23, v35, vcc_lo
	s_wait_loadcnt 0x0
	global_store_b32 v[34:35], v11, off
	s_or_b32 exec_lo, exec_lo, s0
	s_and_saveexec_b32 s0, s10
	s_cbranch_execz .LBB16_115
.LBB16_130:                             ;   in Loop: Header=BB16_4 Depth=1
	v_lshlrev_b64_e32 v[34:35], 2, v[70:71]
	s_delay_alu instid0(VALU_DEP_1) | instskip(SKIP_1) | instid1(VALU_DEP_2)
	v_add_co_u32 v34, vcc_lo, s22, v34
	s_wait_alu 0xfffd
	v_add_co_ci_u32_e64 v35, null, s23, v35, vcc_lo
	s_wait_loadcnt 0x0
	global_store_b32 v[34:35], v12, off
	s_or_b32 exec_lo, exec_lo, s0
	s_and_saveexec_b32 s0, s11
	s_cbranch_execz .LBB16_116
.LBB16_131:                             ;   in Loop: Header=BB16_4 Depth=1
	v_lshlrev_b64_e32 v[34:35], 2, v[72:73]
	s_delay_alu instid0(VALU_DEP_1) | instskip(SKIP_1) | instid1(VALU_DEP_2)
	v_add_co_u32 v34, vcc_lo, s22, v34
	s_wait_alu 0xfffd
	v_add_co_ci_u32_e64 v35, null, s23, v35, vcc_lo
	s_wait_loadcnt 0x0
	global_store_b32 v[34:35], v13, off
	s_or_b32 exec_lo, exec_lo, s0
	s_and_saveexec_b32 s0, s12
	s_cbranch_execz .LBB16_117
.LBB16_132:                             ;   in Loop: Header=BB16_4 Depth=1
	v_lshlrev_b64_e32 v[34:35], 2, v[74:75]
	s_delay_alu instid0(VALU_DEP_1) | instskip(SKIP_1) | instid1(VALU_DEP_2)
	v_add_co_u32 v34, vcc_lo, s22, v34
	s_wait_alu 0xfffd
	v_add_co_ci_u32_e64 v35, null, s23, v35, vcc_lo
	s_wait_loadcnt 0x0
	global_store_b32 v[34:35], v14, off
	s_or_b32 exec_lo, exec_lo, s0
	s_and_saveexec_b32 s0, s13
	s_cbranch_execz .LBB16_118
.LBB16_133:                             ;   in Loop: Header=BB16_4 Depth=1
	v_lshlrev_b64_e32 v[34:35], 2, v[76:77]
	s_delay_alu instid0(VALU_DEP_1) | instskip(SKIP_1) | instid1(VALU_DEP_2)
	v_add_co_u32 v34, vcc_lo, s22, v34
	s_wait_alu 0xfffd
	v_add_co_ci_u32_e64 v35, null, s23, v35, vcc_lo
	s_wait_loadcnt 0x0
	global_store_b32 v[34:35], v15, off
	s_or_b32 exec_lo, exec_lo, s0
	s_and_saveexec_b32 s0, s14
	s_cbranch_execz .LBB16_119
.LBB16_134:                             ;   in Loop: Header=BB16_4 Depth=1
	v_lshlrev_b64_e32 v[34:35], 2, v[78:79]
	s_delay_alu instid0(VALU_DEP_1) | instskip(SKIP_1) | instid1(VALU_DEP_2)
	v_add_co_u32 v34, vcc_lo, s22, v34
	s_wait_alu 0xfffd
	v_add_co_ci_u32_e64 v35, null, s23, v35, vcc_lo
	s_wait_loadcnt 0x0
	global_store_b32 v[34:35], v16, off
	s_or_b32 exec_lo, exec_lo, s0
	s_and_saveexec_b32 s0, s15
	s_cbranch_execz .LBB16_3
.LBB16_135:                             ;   in Loop: Header=BB16_4 Depth=1
	v_lshlrev_b64_e32 v[34:35], 2, v[80:81]
	s_delay_alu instid0(VALU_DEP_1) | instskip(SKIP_1) | instid1(VALU_DEP_2)
	v_add_co_u32 v34, vcc_lo, s22, v34
	s_wait_alu 0xfffd
	v_add_co_ci_u32_e64 v35, null, s23, v35, vcc_lo
	s_wait_loadcnt 0x0
	global_store_b32 v[34:35], v17, off
	s_branch .LBB16_3
.LBB16_136:
	s_nop 0
	s_sendmsg sendmsg(MSG_DEALLOC_VGPRS)
	s_endpgm
	.section	.rodata,"a",@progbits
	.p2align	6, 0x0
	.amdhsa_kernel _ZN9rocsolver6v33100L24stedc_mergeRotate_kernelIfEEviiPT_iilS3_Pi
		.amdhsa_group_segment_fixed_size 0
		.amdhsa_private_segment_fixed_size 0
		.amdhsa_kernarg_size 304
		.amdhsa_user_sgpr_count 2
		.amdhsa_user_sgpr_dispatch_ptr 0
		.amdhsa_user_sgpr_queue_ptr 0
		.amdhsa_user_sgpr_kernarg_segment_ptr 1
		.amdhsa_user_sgpr_dispatch_id 0
		.amdhsa_user_sgpr_private_segment_size 0
		.amdhsa_wavefront_size32 1
		.amdhsa_uses_dynamic_stack 0
		.amdhsa_enable_private_segment 0
		.amdhsa_system_sgpr_workgroup_id_x 1
		.amdhsa_system_sgpr_workgroup_id_y 1
		.amdhsa_system_sgpr_workgroup_id_z 0
		.amdhsa_system_sgpr_workgroup_info 0
		.amdhsa_system_vgpr_workitem_id 0
		.amdhsa_next_free_vgpr 118
		.amdhsa_next_free_sgpr 41
		.amdhsa_reserve_vcc 1
		.amdhsa_float_round_mode_32 0
		.amdhsa_float_round_mode_16_64 0
		.amdhsa_float_denorm_mode_32 3
		.amdhsa_float_denorm_mode_16_64 3
		.amdhsa_fp16_overflow 0
		.amdhsa_workgroup_processor_mode 1
		.amdhsa_memory_ordered 1
		.amdhsa_forward_progress 1
		.amdhsa_inst_pref_size 44
		.amdhsa_round_robin_scheduling 0
		.amdhsa_exception_fp_ieee_invalid_op 0
		.amdhsa_exception_fp_denorm_src 0
		.amdhsa_exception_fp_ieee_div_zero 0
		.amdhsa_exception_fp_ieee_overflow 0
		.amdhsa_exception_fp_ieee_underflow 0
		.amdhsa_exception_fp_ieee_inexact 0
		.amdhsa_exception_int_div_zero 0
	.end_amdhsa_kernel
	.section	.text._ZN9rocsolver6v33100L24stedc_mergeRotate_kernelIfEEviiPT_iilS3_Pi,"axG",@progbits,_ZN9rocsolver6v33100L24stedc_mergeRotate_kernelIfEEviiPT_iilS3_Pi,comdat
.Lfunc_end16:
	.size	_ZN9rocsolver6v33100L24stedc_mergeRotate_kernelIfEEviiPT_iilS3_Pi, .Lfunc_end16-_ZN9rocsolver6v33100L24stedc_mergeRotate_kernelIfEEviiPT_iilS3_Pi
                                        ; -- End function
	.set _ZN9rocsolver6v33100L24stedc_mergeRotate_kernelIfEEviiPT_iilS3_Pi.num_vgpr, 118
	.set _ZN9rocsolver6v33100L24stedc_mergeRotate_kernelIfEEviiPT_iilS3_Pi.num_agpr, 0
	.set _ZN9rocsolver6v33100L24stedc_mergeRotate_kernelIfEEviiPT_iilS3_Pi.numbered_sgpr, 41
	.set _ZN9rocsolver6v33100L24stedc_mergeRotate_kernelIfEEviiPT_iilS3_Pi.num_named_barrier, 0
	.set _ZN9rocsolver6v33100L24stedc_mergeRotate_kernelIfEEviiPT_iilS3_Pi.private_seg_size, 0
	.set _ZN9rocsolver6v33100L24stedc_mergeRotate_kernelIfEEviiPT_iilS3_Pi.uses_vcc, 1
	.set _ZN9rocsolver6v33100L24stedc_mergeRotate_kernelIfEEviiPT_iilS3_Pi.uses_flat_scratch, 0
	.set _ZN9rocsolver6v33100L24stedc_mergeRotate_kernelIfEEviiPT_iilS3_Pi.has_dyn_sized_stack, 0
	.set _ZN9rocsolver6v33100L24stedc_mergeRotate_kernelIfEEviiPT_iilS3_Pi.has_recursion, 0
	.set _ZN9rocsolver6v33100L24stedc_mergeRotate_kernelIfEEviiPT_iilS3_Pi.has_indirect_call, 0
	.section	.AMDGPU.csdata,"",@progbits
; Kernel info:
; codeLenInByte = 5560
; TotalNumSgprs: 43
; NumVgprs: 118
; ScratchSize: 0
; MemoryBound: 0
; FloatMode: 240
; IeeeMode: 1
; LDSByteSize: 0 bytes/workgroup (compile time only)
; SGPRBlocks: 0
; VGPRBlocks: 14
; NumSGPRsForWavesPerEU: 43
; NumVGPRsForWavesPerEU: 118
; Occupancy: 12
; WaveLimiterHint : 1
; COMPUTE_PGM_RSRC2:SCRATCH_EN: 0
; COMPUTE_PGM_RSRC2:USER_SGPR: 2
; COMPUTE_PGM_RSRC2:TRAP_HANDLER: 0
; COMPUTE_PGM_RSRC2:TGID_X_EN: 1
; COMPUTE_PGM_RSRC2:TGID_Y_EN: 1
; COMPUTE_PGM_RSRC2:TGID_Z_EN: 0
; COMPUTE_PGM_RSRC2:TIDIG_COMP_CNT: 0
	.section	.text._ZN9rocsolver6v33100L31stedc_mergeValues_SortDZ_kernelIfEEviiPT_lS3_Pi,"axG",@progbits,_ZN9rocsolver6v33100L31stedc_mergeValues_SortDZ_kernelIfEEviiPT_lS3_Pi,comdat
	.globl	_ZN9rocsolver6v33100L31stedc_mergeValues_SortDZ_kernelIfEEviiPT_lS3_Pi ; -- Begin function _ZN9rocsolver6v33100L31stedc_mergeValues_SortDZ_kernelIfEEviiPT_lS3_Pi
	.p2align	8
	.type	_ZN9rocsolver6v33100L31stedc_mergeValues_SortDZ_kernelIfEEviiPT_lS3_Pi,@function
_ZN9rocsolver6v33100L31stedc_mergeValues_SortDZ_kernelIfEEviiPT_lS3_Pi: ; @_ZN9rocsolver6v33100L31stedc_mergeValues_SortDZ_kernelIfEEviiPT_lS3_Pi
; %bb.0:
	s_clause 0x1
	s_load_b32 s12, s[0:1], 0x4
	s_load_b256 s[4:11], s[0:1], 0x8
	s_mov_b32 s16, ttmp9
	s_ashr_i32 s17, ttmp9, 31
	s_mov_b32 s2, ttmp7
	s_lshl_b64 s[16:17], s[16:17], 2
	s_ashr_i32 s3, ttmp7, 31
	v_mov_b32_e32 v2, 0
	v_mov_b32_e32 v26, 0
	s_wait_kmcnt 0x0
	s_mul_i32 s26, s12, ttmp7
	s_mul_i32 s18, s12, 7
	s_mul_i32 s14, s26, 10
	s_ashr_i32 s19, s18, 31
	s_ashr_i32 s15, s14, 31
	;; [unrolled: 1-line block ×3, first 2 shown]
	s_lshl_b64 s[14:15], s[14:15], 2
	s_lshl_b64 s[18:19], s[18:19], 2
	s_add_nc_u64 s[8:9], s[8:9], s[14:15]
	s_lshl_b64 s[20:21], s[12:13], 2
	s_add_nc_u64 s[14:15], s[8:9], s[18:19]
	s_delay_alu instid0(SALU_CYCLE_1) | instskip(NEXT) | instid1(SALU_CYCLE_1)
	s_add_nc_u64 s[18:19], s[14:15], s[20:21]
	s_add_nc_u64 s[22:23], s[18:19], s[20:21]
	s_delay_alu instid0(SALU_CYCLE_1)
	s_add_nc_u64 s[24:25], s[22:23], s[16:17]
	s_load_b32 s27, s[24:25], 0x0
	s_load_b32 s28, s[0:1], 0x34
	s_mul_u64 s[0:1], s[6:7], s[2:3]
	s_lshl_b32 s2, s12, 3
	s_mul_i32 s6, s26, 13
	s_ashr_i32 s3, s2, 31
	s_ashr_i32 s7, s6, 31
	s_lshl_b64 s[0:1], s[0:1], 2
	s_lshl_b64 s[24:25], s[12:13], 3
	;; [unrolled: 1-line block ×4, first 2 shown]
	s_add_nc_u64 s[30:31], s[4:5], s[0:1]
	s_add_nc_u64 s[6:7], s[10:11], s[6:7]
	;; [unrolled: 1-line block ×3, first 2 shown]
	s_load_b32 s11, s[0:1], 0x0
	s_wait_kmcnt 0x0
	s_cmp_lt_f32 s27, 0
	s_movk_i32 s26, 0xffec
	s_mov_b32 s27, -1
	s_delay_alu instid0(SALU_CYCLE_1)
	s_mul_u64 s[26:27], s[12:13], s[26:27]
	s_cselect_b32 s37, -1.0, 1.0
	s_and_b32 s36, s28, 0xffff
	s_add_nc_u64 s[28:29], s[6:7], s[2:3]
	s_lshl_b32 s38, s36, 3
	s_add_nc_u64 s[24:25], s[28:29], s[24:25]
	s_cvt_f32_u32 s6, s38
	s_add_nc_u64 s[2:3], s[24:25], s[26:27]
	s_delay_alu instid0(SALU_CYCLE_1) | instskip(NEXT) | instid1(SALU_CYCLE_1)
	s_add_nc_u64 s[26:27], s[2:3], s[20:21]
	v_rcp_iflag_f32_e32 v1, s6
	s_add_nc_u64 s[6:7], s[2:3], s[16:17]
	s_add_nc_u64 s[0:1], s[26:27], s[16:17]
	s_clause 0x1
	s_load_b32 s39, s[6:7], 0x0
	s_load_b32 s34, s[0:1], 0x0
	s_sub_co_i32 s3, 0, s38
	s_mul_f32 s35, s11, s37
	s_delay_alu instid0(TRANS32_DEP_1) | instskip(SKIP_1) | instid1(SALU_CYCLE_3)
	v_readfirstlane_b32 s6, v1
	s_mul_f32 s4, s6, 0x4f7ffffe
	s_cvt_u32_f32 s2, s4
	s_wait_kmcnt 0x0
	s_add_co_i32 s4, s39, -1
	s_delay_alu instid0(SALU_CYCLE_1) | instskip(NEXT) | instid1(SALU_CYCLE_1)
	s_mul_i32 s3, s3, s2
	s_mul_hi_u32 s0, s2, s3
	s_abs_i32 s3, s4
	s_add_co_i32 s2, s2, s0
	s_add_nc_u64 s[0:1], s[8:9], s[16:17]
	s_mul_hi_u32 s2, s3, s2
	s_load_b32 s33, s[0:1], 0x0
	s_mul_i32 s0, s2, s38
	s_ashr_i32 s1, s4, 31
	s_sub_co_i32 s0, s3, s0
	s_add_co_i32 s3, s2, 1
	s_sub_co_i32 s4, s0, s38
	s_cmp_ge_u32 s0, s38
	s_cselect_b32 s2, s3, s2
	s_cselect_b32 s0, s4, s0
	s_add_co_i32 s3, s2, 1
	s_cmp_ge_u32 s0, s38
	s_cselect_b32 s0, s3, s2
	s_delay_alu instid0(SALU_CYCLE_1) | instskip(NEXT) | instid1(SALU_CYCLE_1)
	s_xor_b32 s0, s0, s1
	s_sub_co_i32 s1, s0, s1
	s_mov_b32 s0, -1
	s_cmp_lt_i32 s1, 0
	s_cbranch_scc1 .LBB17_36
; %bb.1:
	s_add_nc_u64 s[2:3], s[28:29], s[16:17]
	v_mov_b32_e32 v1, 0
	s_load_b32 s41, s[2:3], 0x0
	s_add_co_i32 s40, s1, 1
	s_lshl_b32 s0, s36, 1
	s_mul_i32 s1, s36, 3
	v_dual_mov_b32 v8, v1 :: v_dual_mov_b32 v25, v1
	v_dual_mov_b32 v2, v1 :: v_dual_mov_b32 v3, v1
	;; [unrolled: 1-line block ×4, first 2 shown]
	s_add_co_i32 s42, s34, s0
	s_add_co_i32 s43, s34, s1
	s_lshl_b32 s0, s36, 2
	s_mul_i32 s1, s36, 5
	v_mov_b32_e32 v9, v8
	v_dual_mov_b32 v23, v1 :: v_dual_mov_b32 v28, v1
	v_dual_mov_b32 v21, v1 :: v_dual_mov_b32 v26, v1
	;; [unrolled: 1-line block ×3, first 2 shown]
	v_mov_b32_e32 v11, v1
	v_mov_b32_e32 v27, v0
	;; [unrolled: 1-line block ×4, first 2 shown]
	v_dual_mov_b32 v17, v1 :: v_dual_mov_b32 v6, v5
	v_mov_b32_e32 v5, v4
	v_dual_mov_b32 v15, v1 :: v_dual_mov_b32 v4, v3
	v_mov_b32_e32 v3, v2
	v_dual_mov_b32 v13, v1 :: v_dual_mov_b32 v2, v1
	s_add_co_i32 s44, s34, s0
	s_add_co_i32 s45, s34, s1
	s_mul_i32 s0, s36, 6
	s_mul_i32 s1, s36, 7
	s_add_co_i32 s46, s34, s0
	s_add_co_i32 s47, s34, s1
	;; [unrolled: 1-line block ×3, first 2 shown]
	s_branch .LBB17_3
.LBB17_2:                               ;   in Loop: Header=BB17_3 Depth=1
	s_wait_alu 0xfffe
	s_or_b32 exec_lo, exec_lo, s4
	v_add_nc_u32_e32 v27, s38, v27
	s_add_co_i32 s40, s40, -1
	s_wait_alu 0xfffe
	s_cmp_eq_u32 s40, 0
	s_cbranch_scc1 .LBB17_35
.LBB17_3:                               ; =>This Inner Loop Header: Depth=1
	v_cmp_gt_i32_e64 s6, s39, v27
	v_add_nc_u32_e32 v24, s34, v27
	s_and_saveexec_b32 s0, s6
	s_cbranch_execz .LBB17_5
; %bb.4:                                ;   in Loop: Header=BB17_3 Depth=1
	s_delay_alu instid0(VALU_DEP_1) | instskip(NEXT) | instid1(VALU_DEP_1)
	v_ashrrev_i32_e32 v25, 31, v24
	v_lshlrev_b64_e32 v[30:31], 2, v[24:25]
	s_delay_alu instid0(VALU_DEP_1) | instskip(SKIP_1) | instid1(VALU_DEP_2)
	v_add_co_u32 v32, vcc_lo, s30, v30
	s_wait_alu 0xfffd
	v_add_co_ci_u32_e64 v33, null, s31, v31, vcc_lo
	v_add_co_u32 v30, vcc_lo, s28, v30
	s_wait_alu 0xfffd
	v_add_co_ci_u32_e64 v31, null, s29, v31, vcc_lo
	global_load_b32 v10, v[32:33], off
	s_wait_loadcnt 0x1
	global_load_b32 v2, v[30:31], off
	s_wait_loadcnt 0x1
	v_mul_f32_e32 v25, s37, v10
.LBB17_5:                               ;   in Loop: Header=BB17_3 Depth=1
	s_wait_alu 0xfffe
	s_or_b32 exec_lo, exec_lo, s0
	v_add_nc_u32_e32 v10, s36, v27
	v_add_nc_u32_e32 v22, s48, v27
	s_delay_alu instid0(VALU_DEP_2)
	v_cmp_gt_i32_e64 s5, s39, v10
	s_and_saveexec_b32 s0, s5
	s_cbranch_execz .LBB17_7
; %bb.6:                                ;   in Loop: Header=BB17_3 Depth=1
	v_ashrrev_i32_e32 v23, 31, v22
	s_delay_alu instid0(VALU_DEP_1) | instskip(NEXT) | instid1(VALU_DEP_1)
	v_lshlrev_b64_e32 v[30:31], 2, v[22:23]
	v_add_co_u32 v32, vcc_lo, s30, v30
	s_wait_alu 0xfffd
	s_delay_alu instid0(VALU_DEP_2)
	v_add_co_ci_u32_e64 v33, null, s31, v31, vcc_lo
	v_add_co_u32 v30, vcc_lo, s28, v30
	s_wait_alu 0xfffd
	v_add_co_ci_u32_e64 v31, null, s29, v31, vcc_lo
	global_load_b32 v12, v[32:33], off
	s_wait_loadcnt 0x1
	global_load_b32 v3, v[30:31], off
	s_wait_loadcnt 0x1
	v_mul_f32_e32 v23, s37, v12
.LBB17_7:                               ;   in Loop: Header=BB17_3 Depth=1
	s_wait_alu 0xfffe
	s_or_b32 exec_lo, exec_lo, s0
	v_add_nc_u32_e32 v10, s36, v10
	v_add_nc_u32_e32 v20, s42, v27
	s_delay_alu instid0(VALU_DEP_2)
	v_cmp_gt_i32_e64 s4, s39, v10
	s_and_saveexec_b32 s0, s4
	s_cbranch_execz .LBB17_9
; %bb.8:                                ;   in Loop: Header=BB17_3 Depth=1
	v_ashrrev_i32_e32 v21, 31, v20
	s_delay_alu instid0(VALU_DEP_1) | instskip(NEXT) | instid1(VALU_DEP_1)
	v_lshlrev_b64_e32 v[30:31], 2, v[20:21]
	v_add_co_u32 v32, vcc_lo, s30, v30
	s_wait_alu 0xfffd
	s_delay_alu instid0(VALU_DEP_2)
	v_add_co_ci_u32_e64 v33, null, s31, v31, vcc_lo
	v_add_co_u32 v30, vcc_lo, s28, v30
	s_wait_alu 0xfffd
	v_add_co_ci_u32_e64 v31, null, s29, v31, vcc_lo
	global_load_b32 v12, v[32:33], off
	s_wait_loadcnt 0x1
	global_load_b32 v4, v[30:31], off
	s_wait_loadcnt 0x1
	v_mul_f32_e32 v21, s37, v12
.LBB17_9:                               ;   in Loop: Header=BB17_3 Depth=1
	s_wait_alu 0xfffe
	s_or_b32 exec_lo, exec_lo, s0
	v_add_nc_u32_e32 v10, s36, v10
	v_add_nc_u32_e32 v18, s43, v27
	s_delay_alu instid0(VALU_DEP_2)
	v_cmp_gt_i32_e64 s3, s39, v10
	s_and_saveexec_b32 s0, s3
	s_cbranch_execz .LBB17_11
; %bb.10:                               ;   in Loop: Header=BB17_3 Depth=1
	v_ashrrev_i32_e32 v19, 31, v18
	s_delay_alu instid0(VALU_DEP_1) | instskip(NEXT) | instid1(VALU_DEP_1)
	v_lshlrev_b64_e32 v[30:31], 2, v[18:19]
	v_add_co_u32 v32, vcc_lo, s30, v30
	s_wait_alu 0xfffd
	s_delay_alu instid0(VALU_DEP_2)
	v_add_co_ci_u32_e64 v33, null, s31, v31, vcc_lo
	v_add_co_u32 v30, vcc_lo, s28, v30
	s_wait_alu 0xfffd
	v_add_co_ci_u32_e64 v31, null, s29, v31, vcc_lo
	global_load_b32 v12, v[32:33], off
	s_wait_loadcnt 0x1
	global_load_b32 v5, v[30:31], off
	s_wait_loadcnt 0x1
	v_mul_f32_e32 v19, s37, v12
.LBB17_11:                              ;   in Loop: Header=BB17_3 Depth=1
	s_wait_alu 0xfffe
	s_or_b32 exec_lo, exec_lo, s0
	v_add_nc_u32_e32 v10, s36, v10
	v_add_nc_u32_e32 v16, s44, v27
	s_delay_alu instid0(VALU_DEP_2)
	v_cmp_gt_i32_e64 s2, s39, v10
	s_and_saveexec_b32 s0, s2
	s_cbranch_execz .LBB17_13
; %bb.12:                               ;   in Loop: Header=BB17_3 Depth=1
	v_ashrrev_i32_e32 v17, 31, v16
	s_delay_alu instid0(VALU_DEP_1) | instskip(NEXT) | instid1(VALU_DEP_1)
	v_lshlrev_b64_e32 v[30:31], 2, v[16:17]
	v_add_co_u32 v32, vcc_lo, s30, v30
	s_wait_alu 0xfffd
	s_delay_alu instid0(VALU_DEP_2)
	v_add_co_ci_u32_e64 v33, null, s31, v31, vcc_lo
	v_add_co_u32 v30, vcc_lo, s28, v30
	s_wait_alu 0xfffd
	v_add_co_ci_u32_e64 v31, null, s29, v31, vcc_lo
	global_load_b32 v12, v[32:33], off
	s_wait_loadcnt 0x1
	global_load_b32 v6, v[30:31], off
	s_wait_loadcnt 0x1
	v_mul_f32_e32 v17, s37, v12
.LBB17_13:                              ;   in Loop: Header=BB17_3 Depth=1
	;; [unrolled: 25-line block ×4, first 2 shown]
	s_wait_alu 0xfffe
	s_or_b32 exec_lo, exec_lo, s7
	v_add_nc_u32_e32 v10, s36, v10
	s_delay_alu instid0(VALU_DEP_1)
	v_cmp_gt_i32_e32 vcc_lo, s39, v10
	v_add_nc_u32_e32 v10, s47, v27
	s_and_saveexec_b32 s8, vcc_lo
	s_cbranch_execnz .LBB17_26
; %bb.18:                               ;   in Loop: Header=BB17_3 Depth=1
	s_wait_alu 0xfffe
	s_or_b32 exec_lo, exec_lo, s8
	s_and_saveexec_b32 s49, s6
	s_cbranch_execnz .LBB17_27
.LBB17_19:                              ;   in Loop: Header=BB17_3 Depth=1
	s_wait_alu 0xfffe
	s_or_b32 exec_lo, exec_lo, s49
	s_and_saveexec_b32 s10, s5
	s_cbranch_execnz .LBB17_28
.LBB17_20:                              ;   in Loop: Header=BB17_3 Depth=1
	s_wait_alu 0xfffe
	s_or_b32 exec_lo, exec_lo, s10
	s_and_saveexec_b32 s9, s4
	s_cbranch_execnz .LBB17_29
.LBB17_21:                              ;   in Loop: Header=BB17_3 Depth=1
	s_wait_alu 0xfffe
	s_or_b32 exec_lo, exec_lo, s9
	s_and_saveexec_b32 s8, s3
	s_cbranch_execnz .LBB17_30
.LBB17_22:                              ;   in Loop: Header=BB17_3 Depth=1
	s_wait_alu 0xfffe
	s_or_b32 exec_lo, exec_lo, s8
	s_and_saveexec_b32 s7, s2
	s_cbranch_execnz .LBB17_31
.LBB17_23:                              ;   in Loop: Header=BB17_3 Depth=1
	s_wait_alu 0xfffe
	s_or_b32 exec_lo, exec_lo, s7
	s_and_saveexec_b32 s6, s1
	s_cbranch_execnz .LBB17_32
.LBB17_24:                              ;   in Loop: Header=BB17_3 Depth=1
	s_wait_alu 0xfffe
	s_or_b32 exec_lo, exec_lo, s6
	s_and_saveexec_b32 s5, s0
	s_cbranch_execnz .LBB17_33
.LBB17_25:                              ;   in Loop: Header=BB17_3 Depth=1
	s_wait_alu 0xfffe
	s_or_b32 exec_lo, exec_lo, s5
	s_and_saveexec_b32 s4, vcc_lo
	s_cbranch_execz .LBB17_2
	s_branch .LBB17_34
.LBB17_26:                              ;   in Loop: Header=BB17_3 Depth=1
	s_delay_alu instid0(VALU_DEP_1) | instskip(NEXT) | instid1(VALU_DEP_1)
	v_ashrrev_i32_e32 v11, 31, v10
	v_lshlrev_b64_e32 v[30:31], 2, v[10:11]
	s_delay_alu instid0(VALU_DEP_1) | instskip(SKIP_1) | instid1(VALU_DEP_2)
	v_add_co_u32 v32, s7, s30, v30
	s_wait_alu 0xf1ff
	v_add_co_ci_u32_e64 v33, null, s31, v31, s7
	v_add_co_u32 v30, s7, s28, v30
	s_wait_alu 0xf1ff
	v_add_co_ci_u32_e64 v31, null, s29, v31, s7
	global_load_b32 v11, v[32:33], off
	s_wait_loadcnt 0x1
	global_load_b32 v9, v[30:31], off
	s_wait_loadcnt 0x1
	v_mul_f32_e32 v11, s37, v11
	s_wait_alu 0xfffe
	s_or_b32 exec_lo, exec_lo, s8
	s_and_saveexec_b32 s49, s6
	s_cbranch_execz .LBB17_19
.LBB17_27:                              ;   in Loop: Header=BB17_3 Depth=1
	v_cmp_u_f32_e64 s6, v25, v25
	s_wait_loadcnt 0x0
	s_wait_kmcnt 0x0
	v_cmp_eq_u32_e64 s7, s41, v2
	v_cmp_gt_f32_e64 s8, s35, v25
	v_cmp_lt_i32_e64 s10, 0, v2
	v_cmp_eq_f32_e64 s9, s35, v25
	s_wait_alu 0xf1ff
	v_add_co_ci_u32_e64 v1, null, 0, v1, s6
	v_cmp_lt_i32_e64 s6, s41, v2
	v_add_co_ci_u32_e64 v26, null, 0, v26, s10
	s_and_b32 s10, s7, s8
	v_cmp_gt_i32_e64 s8, ttmp9, v24
	s_and_b32 s7, s7, s9
	s_wait_alu 0xfffe
	s_or_b32 s6, s6, s10
	s_wait_alu 0xfffe
	v_add_co_ci_u32_e64 v28, null, 0, v28, s6
	s_and_b32 s6, s7, s8
	s_wait_alu 0xfffe
	v_add_co_ci_u32_e64 v29, null, 0, v29, s6
	s_or_b32 exec_lo, exec_lo, s49
	s_and_saveexec_b32 s10, s5
	s_cbranch_execz .LBB17_20
.LBB17_28:                              ;   in Loop: Header=BB17_3 Depth=1
	v_cmp_u_f32_e64 s5, v23, v23
	s_wait_loadcnt 0x0
	s_wait_kmcnt 0x0
	v_cmp_eq_u32_e64 s6, s41, v3
	v_cmp_gt_f32_e64 s7, s35, v23
	v_cmp_lt_i32_e64 s9, 0, v3
	v_cmp_eq_f32_e64 s8, s35, v23
	s_wait_alu 0xf1ff
	v_add_co_ci_u32_e64 v1, null, 0, v1, s5
	v_cmp_lt_i32_e64 s5, s41, v3
	v_add_co_ci_u32_e64 v26, null, 0, v26, s9
	s_and_b32 s9, s6, s7
	v_cmp_gt_i32_e64 s7, ttmp9, v22
	s_and_b32 s6, s6, s8
	s_wait_alu 0xfffe
	s_or_b32 s5, s5, s9
	s_wait_alu 0xfffe
	v_add_co_ci_u32_e64 v28, null, 0, v28, s5
	s_and_b32 s5, s6, s7
	s_wait_alu 0xfffe
	v_add_co_ci_u32_e64 v29, null, 0, v29, s5
	s_or_b32 exec_lo, exec_lo, s10
	s_and_saveexec_b32 s9, s4
	s_cbranch_execz .LBB17_21
.LBB17_29:                              ;   in Loop: Header=BB17_3 Depth=1
	v_cmp_u_f32_e64 s4, v21, v21
	s_wait_loadcnt 0x0
	s_wait_kmcnt 0x0
	v_cmp_eq_u32_e64 s5, s41, v4
	v_cmp_gt_f32_e64 s6, s35, v21
	v_cmp_lt_i32_e64 s8, 0, v4
	v_cmp_eq_f32_e64 s7, s35, v21
	s_wait_alu 0xf1ff
	v_add_co_ci_u32_e64 v1, null, 0, v1, s4
	v_cmp_lt_i32_e64 s4, s41, v4
	v_add_co_ci_u32_e64 v26, null, 0, v26, s8
	s_and_b32 s8, s5, s6
	v_cmp_gt_i32_e64 s6, ttmp9, v20
	s_and_b32 s5, s5, s7
	s_wait_alu 0xfffe
	s_or_b32 s4, s4, s8
	s_wait_alu 0xfffe
	v_add_co_ci_u32_e64 v28, null, 0, v28, s4
	s_and_b32 s4, s5, s6
	s_wait_alu 0xfffe
	v_add_co_ci_u32_e64 v29, null, 0, v29, s4
	s_or_b32 exec_lo, exec_lo, s9
	s_and_saveexec_b32 s8, s3
	s_cbranch_execz .LBB17_22
.LBB17_30:                              ;   in Loop: Header=BB17_3 Depth=1
	v_cmp_u_f32_e64 s3, v19, v19
	s_wait_loadcnt 0x0
	s_wait_kmcnt 0x0
	v_cmp_eq_u32_e64 s4, s41, v5
	v_cmp_gt_f32_e64 s5, s35, v19
	v_cmp_lt_i32_e64 s7, 0, v5
	v_cmp_eq_f32_e64 s6, s35, v19
	s_wait_alu 0xf1ff
	v_add_co_ci_u32_e64 v1, null, 0, v1, s3
	v_cmp_lt_i32_e64 s3, s41, v5
	v_add_co_ci_u32_e64 v26, null, 0, v26, s7
	s_and_b32 s7, s4, s5
	v_cmp_gt_i32_e64 s5, ttmp9, v18
	s_and_b32 s4, s4, s6
	s_wait_alu 0xfffe
	s_or_b32 s3, s3, s7
	s_wait_alu 0xfffe
	v_add_co_ci_u32_e64 v28, null, 0, v28, s3
	s_and_b32 s3, s4, s5
	s_wait_alu 0xfffe
	v_add_co_ci_u32_e64 v29, null, 0, v29, s3
	s_or_b32 exec_lo, exec_lo, s8
	s_and_saveexec_b32 s7, s2
	s_cbranch_execz .LBB17_23
.LBB17_31:                              ;   in Loop: Header=BB17_3 Depth=1
	v_cmp_u_f32_e64 s2, v17, v17
	s_wait_loadcnt 0x0
	s_wait_kmcnt 0x0
	v_cmp_eq_u32_e64 s3, s41, v6
	v_cmp_gt_f32_e64 s4, s35, v17
	v_cmp_lt_i32_e64 s6, 0, v6
	v_cmp_eq_f32_e64 s5, s35, v17
	s_wait_alu 0xf1ff
	v_add_co_ci_u32_e64 v1, null, 0, v1, s2
	v_cmp_lt_i32_e64 s2, s41, v6
	v_add_co_ci_u32_e64 v26, null, 0, v26, s6
	s_and_b32 s6, s3, s4
	v_cmp_gt_i32_e64 s4, ttmp9, v16
	s_and_b32 s3, s3, s5
	s_wait_alu 0xfffe
	s_or_b32 s2, s2, s6
	s_wait_alu 0xfffe
	v_add_co_ci_u32_e64 v28, null, 0, v28, s2
	s_and_b32 s2, s3, s4
	s_wait_alu 0xfffe
	v_add_co_ci_u32_e64 v29, null, 0, v29, s2
	s_or_b32 exec_lo, exec_lo, s7
	s_and_saveexec_b32 s6, s1
	s_cbranch_execz .LBB17_24
.LBB17_32:                              ;   in Loop: Header=BB17_3 Depth=1
	v_cmp_u_f32_e64 s1, v15, v15
	s_wait_loadcnt 0x0
	s_wait_kmcnt 0x0
	v_cmp_eq_u32_e64 s2, s41, v7
	v_cmp_gt_f32_e64 s3, s35, v15
	v_cmp_lt_i32_e64 s5, 0, v7
	v_cmp_eq_f32_e64 s4, s35, v15
	s_wait_alu 0xf1ff
	v_add_co_ci_u32_e64 v1, null, 0, v1, s1
	v_cmp_lt_i32_e64 s1, s41, v7
	v_add_co_ci_u32_e64 v26, null, 0, v26, s5
	s_and_b32 s5, s2, s3
	v_cmp_gt_i32_e64 s3, ttmp9, v14
	s_and_b32 s2, s2, s4
	s_wait_alu 0xfffe
	s_or_b32 s1, s1, s5
	s_wait_alu 0xfffe
	v_add_co_ci_u32_e64 v28, null, 0, v28, s1
	s_and_b32 s1, s2, s3
	s_wait_alu 0xfffe
	v_add_co_ci_u32_e64 v29, null, 0, v29, s1
	s_or_b32 exec_lo, exec_lo, s6
	s_and_saveexec_b32 s5, s0
	s_cbranch_execz .LBB17_25
.LBB17_33:                              ;   in Loop: Header=BB17_3 Depth=1
	v_cmp_u_f32_e64 s0, v13, v13
	s_wait_loadcnt 0x0
	s_wait_kmcnt 0x0
	v_cmp_eq_u32_e64 s1, s41, v8
	v_cmp_gt_f32_e64 s2, s35, v13
	v_cmp_lt_i32_e64 s4, 0, v8
	v_cmp_eq_f32_e64 s3, s35, v13
	s_wait_alu 0xf1ff
	v_add_co_ci_u32_e64 v1, null, 0, v1, s0
	v_cmp_lt_i32_e64 s0, s41, v8
	v_add_co_ci_u32_e64 v26, null, 0, v26, s4
	s_and_b32 s4, s1, s2
	v_cmp_gt_i32_e64 s2, ttmp9, v12
	s_and_b32 s1, s1, s3
	s_wait_alu 0xfffe
	s_or_b32 s0, s0, s4
	s_wait_alu 0xfffe
	v_add_co_ci_u32_e64 v28, null, 0, v28, s0
	s_and_b32 s0, s1, s2
	s_wait_alu 0xfffe
	v_add_co_ci_u32_e64 v29, null, 0, v29, s0
	s_or_b32 exec_lo, exec_lo, s5
	s_and_saveexec_b32 s4, vcc_lo
	s_cbranch_execz .LBB17_2
.LBB17_34:                              ;   in Loop: Header=BB17_3 Depth=1
	v_cmp_u_f32_e32 vcc_lo, v11, v11
	s_wait_loadcnt 0x0
	s_wait_kmcnt 0x0
	v_cmp_eq_u32_e64 s0, s41, v9
	v_cmp_gt_f32_e64 s1, s35, v11
	v_cmp_lt_i32_e64 s3, 0, v9
	v_cmp_eq_f32_e64 s2, s35, v11
	s_wait_alu 0xfffd
	v_add_co_ci_u32_e64 v1, null, 0, v1, vcc_lo
	v_cmp_lt_i32_e32 vcc_lo, s41, v9
	s_wait_alu 0xf1ff
	v_add_co_ci_u32_e64 v26, null, 0, v26, s3
	s_and_b32 s3, s0, s1
	v_cmp_gt_i32_e64 s1, ttmp9, v10
	s_and_b32 s0, s0, s2
	s_wait_alu 0xfffe
	s_or_b32 vcc_lo, vcc_lo, s3
	s_wait_alu 0xfffe
	v_add_co_ci_u32_e64 v28, null, 0, v28, vcc_lo
	s_and_b32 vcc_lo, s0, s1
	s_wait_alu 0xfffe
	v_add_co_ci_u32_e64 v29, null, 0, v29, vcc_lo
	s_branch .LBB17_2
.LBB17_35:
	s_wait_loadcnt 0x0
	v_add_nc_u32_e32 v2, v28, v29
	v_cmp_eq_u32_e64 s0, 0, v1
.LBB17_36:
	v_lshlrev_b32_e32 v1, 2, v0
	s_cmp_lt_u32 s36, 2
	ds_store_2addr_stride64_b32 v1, v26, v2 offset1:8
	s_wait_dscnt 0x0
	s_barrier_signal -1
	s_barrier_wait -1
	global_inv scope:SCOPE_SE
	s_cbranch_scc1 .LBB17_41
; %bb.37:
	v_or_b32_e32 v3, 0x800, v1
	s_lshr_b32 s1, s36, 1
	s_mov_b32 s2, exec_lo
	s_wait_alu 0xfffe
	v_cmpx_gt_u32_e64 s1, v0
	s_cbranch_execz .LBB17_39
.LBB17_38:
	s_lshl_b32 s3, s1, 2
	s_wait_alu 0xfffe
	v_add_nc_u32_e32 v4, s3, v3
	v_add_nc_u32_e32 v5, s3, v1
	ds_load_b32 v4, v4
	ds_load_b32 v5, v5
	s_wait_dscnt 0x1
	v_add_nc_u32_e32 v2, v4, v2
	s_wait_dscnt 0x0
	v_add_nc_u32_e32 v26, v5, v26
	ds_store_b32 v3, v2
	ds_store_b32 v1, v26
.LBB17_39:                              ; =>This Inner Loop Header: Depth=1
	s_or_b32 exec_lo, exec_lo, s2
	s_cmp_gt_u32 s36, 3
	s_wait_loadcnt_dscnt 0x0
	s_barrier_signal -1
	s_barrier_wait -1
	global_inv scope:SCOPE_SE
	s_cbranch_scc0 .LBB17_41
; %bb.40:                               ;   in Loop: Header=BB17_39 Depth=1
	s_mov_b32 s36, s1
	s_wait_alu 0xfffe
	s_lshr_b32 s1, s36, 1
	s_mov_b32 s2, exec_lo
	s_wait_alu 0xfffe
	v_cmpx_gt_u32_e64 s1, v0
	s_cbranch_execnz .LBB17_38
	s_branch .LBB17_39
.LBB17_41:
	s_xor_b32 s0, s0, -1
	s_mov_b32 s1, exec_lo
	v_cmpx_eq_u32_e32 0, v0
	s_cbranch_execz .LBB17_43
; %bb.42:
	v_dual_mov_b32 v13, s11 :: v_dual_add_nc_u32 v0, s34, v2
	s_add_nc_u64 s[4:5], s[26:27], s[20:21]
	s_lshl_b64 s[2:3], s[12:13], 5
	s_wait_alu 0xfffe
	v_dual_mov_b32 v10, ttmp9 :: v_dual_mov_b32 v11, s35
	v_ashrrev_i32_e32 v1, 31, v0
	s_sub_nc_u64 s[2:3], 0, s[2:3]
	s_wait_kmcnt 0x0
	v_mov_b32_e32 v12, s33
	s_wait_alu 0xfffe
	s_add_nc_u64 s[2:3], s[22:23], s[2:3]
	v_lshlrev_b64_e32 v[0:1], 2, v[0:1]
	s_delay_alu instid0(VALU_DEP_1) | instskip(SKIP_1) | instid1(VALU_DEP_2)
	v_add_co_u32 v2, vcc_lo, s4, v0
	s_wait_alu 0xfffd
	v_add_co_ci_u32_e64 v3, null, s5, v1, vcc_lo
	v_add_co_u32 v4, vcc_lo, s24, v0
	s_wait_alu 0xfffd
	v_add_co_ci_u32_e64 v5, null, s25, v1, vcc_lo
	;; [unrolled: 3-line block ×4, first 2 shown]
	s_wait_alu 0xfffe
	v_add_co_u32 v0, vcc_lo, s2, v0
	s_wait_alu 0xfffd
	v_add_co_ci_u32_e64 v1, null, s3, v1, vcc_lo
	s_clause 0x1
	global_store_b32 v[2:3], v26, off
	global_store_b32 v[4:5], v10, off
	s_clause 0x2
	global_store_b32 v[6:7], v11, off
	global_store_b32 v[8:9], v12, off
	;; [unrolled: 1-line block ×3, first 2 shown]
.LBB17_43:
	s_wait_alu 0xfffe
	s_or_b32 exec_lo, exec_lo, s1
	s_wait_loadcnt 0x0
	s_wait_storecnt 0x0
	s_barrier_signal -1
	s_barrier_wait -1
	global_inv scope:SCOPE_SE
	s_and_saveexec_b32 s1, s0
	s_cbranch_execz .LBB17_45
; %bb.44:
	v_dual_mov_b32 v0, 0 :: v_dual_mov_b32 v1, 0x7fc00000
	s_add_nc_u64 s[0:1], s[14:15], s[16:17]
	global_store_b32 v0, v1, s[0:1]
.LBB17_45:
	s_endpgm
	.section	.rodata,"a",@progbits
	.p2align	6, 0x0
	.amdhsa_kernel _ZN9rocsolver6v33100L31stedc_mergeValues_SortDZ_kernelIfEEviiPT_lS3_Pi
		.amdhsa_group_segment_fixed_size 4096
		.amdhsa_private_segment_fixed_size 0
		.amdhsa_kernarg_size 296
		.amdhsa_user_sgpr_count 2
		.amdhsa_user_sgpr_dispatch_ptr 0
		.amdhsa_user_sgpr_queue_ptr 0
		.amdhsa_user_sgpr_kernarg_segment_ptr 1
		.amdhsa_user_sgpr_dispatch_id 0
		.amdhsa_user_sgpr_private_segment_size 0
		.amdhsa_wavefront_size32 1
		.amdhsa_uses_dynamic_stack 0
		.amdhsa_enable_private_segment 0
		.amdhsa_system_sgpr_workgroup_id_x 1
		.amdhsa_system_sgpr_workgroup_id_y 1
		.amdhsa_system_sgpr_workgroup_id_z 0
		.amdhsa_system_sgpr_workgroup_info 0
		.amdhsa_system_vgpr_workitem_id 0
		.amdhsa_next_free_vgpr 34
		.amdhsa_next_free_sgpr 50
		.amdhsa_reserve_vcc 1
		.amdhsa_float_round_mode_32 0
		.amdhsa_float_round_mode_16_64 0
		.amdhsa_float_denorm_mode_32 3
		.amdhsa_float_denorm_mode_16_64 3
		.amdhsa_fp16_overflow 0
		.amdhsa_workgroup_processor_mode 1
		.amdhsa_memory_ordered 1
		.amdhsa_forward_progress 1
		.amdhsa_inst_pref_size 27
		.amdhsa_round_robin_scheduling 0
		.amdhsa_exception_fp_ieee_invalid_op 0
		.amdhsa_exception_fp_denorm_src 0
		.amdhsa_exception_fp_ieee_div_zero 0
		.amdhsa_exception_fp_ieee_overflow 0
		.amdhsa_exception_fp_ieee_underflow 0
		.amdhsa_exception_fp_ieee_inexact 0
		.amdhsa_exception_int_div_zero 0
	.end_amdhsa_kernel
	.section	.text._ZN9rocsolver6v33100L31stedc_mergeValues_SortDZ_kernelIfEEviiPT_lS3_Pi,"axG",@progbits,_ZN9rocsolver6v33100L31stedc_mergeValues_SortDZ_kernelIfEEviiPT_lS3_Pi,comdat
.Lfunc_end17:
	.size	_ZN9rocsolver6v33100L31stedc_mergeValues_SortDZ_kernelIfEEviiPT_lS3_Pi, .Lfunc_end17-_ZN9rocsolver6v33100L31stedc_mergeValues_SortDZ_kernelIfEEviiPT_lS3_Pi
                                        ; -- End function
	.set _ZN9rocsolver6v33100L31stedc_mergeValues_SortDZ_kernelIfEEviiPT_lS3_Pi.num_vgpr, 34
	.set _ZN9rocsolver6v33100L31stedc_mergeValues_SortDZ_kernelIfEEviiPT_lS3_Pi.num_agpr, 0
	.set _ZN9rocsolver6v33100L31stedc_mergeValues_SortDZ_kernelIfEEviiPT_lS3_Pi.numbered_sgpr, 50
	.set _ZN9rocsolver6v33100L31stedc_mergeValues_SortDZ_kernelIfEEviiPT_lS3_Pi.num_named_barrier, 0
	.set _ZN9rocsolver6v33100L31stedc_mergeValues_SortDZ_kernelIfEEviiPT_lS3_Pi.private_seg_size, 0
	.set _ZN9rocsolver6v33100L31stedc_mergeValues_SortDZ_kernelIfEEviiPT_lS3_Pi.uses_vcc, 1
	.set _ZN9rocsolver6v33100L31stedc_mergeValues_SortDZ_kernelIfEEviiPT_lS3_Pi.uses_flat_scratch, 0
	.set _ZN9rocsolver6v33100L31stedc_mergeValues_SortDZ_kernelIfEEviiPT_lS3_Pi.has_dyn_sized_stack, 0
	.set _ZN9rocsolver6v33100L31stedc_mergeValues_SortDZ_kernelIfEEviiPT_lS3_Pi.has_recursion, 0
	.set _ZN9rocsolver6v33100L31stedc_mergeValues_SortDZ_kernelIfEEviiPT_lS3_Pi.has_indirect_call, 0
	.section	.AMDGPU.csdata,"",@progbits
; Kernel info:
; codeLenInByte = 3448
; TotalNumSgprs: 52
; NumVgprs: 34
; ScratchSize: 0
; MemoryBound: 0
; FloatMode: 240
; IeeeMode: 1
; LDSByteSize: 4096 bytes/workgroup (compile time only)
; SGPRBlocks: 0
; VGPRBlocks: 4
; NumSGPRsForWavesPerEU: 52
; NumVGPRsForWavesPerEU: 34
; Occupancy: 16
; WaveLimiterHint : 1
; COMPUTE_PGM_RSRC2:SCRATCH_EN: 0
; COMPUTE_PGM_RSRC2:USER_SGPR: 2
; COMPUTE_PGM_RSRC2:TRAP_HANDLER: 0
; COMPUTE_PGM_RSRC2:TGID_X_EN: 1
; COMPUTE_PGM_RSRC2:TGID_Y_EN: 1
; COMPUTE_PGM_RSRC2:TGID_Z_EN: 0
; COMPUTE_PGM_RSRC2:TIDIG_COMP_CNT: 0
	.section	.text._ZN9rocsolver6v33100L30stedc_mergeValues_copyD_kernelIfEEviiPT_lS3_S3_Pi,"axG",@progbits,_ZN9rocsolver6v33100L30stedc_mergeValues_copyD_kernelIfEEviiPT_lS3_S3_Pi,comdat
	.globl	_ZN9rocsolver6v33100L30stedc_mergeValues_copyD_kernelIfEEviiPT_lS3_S3_Pi ; -- Begin function _ZN9rocsolver6v33100L30stedc_mergeValues_copyD_kernelIfEEviiPT_lS3_S3_Pi
	.p2align	8
	.type	_ZN9rocsolver6v33100L30stedc_mergeValues_copyD_kernelIfEEviiPT_lS3_S3_Pi,@function
_ZN9rocsolver6v33100L30stedc_mergeValues_copyD_kernelIfEEviiPT_lS3_S3_Pi: ; @_ZN9rocsolver6v33100L30stedc_mergeValues_copyD_kernelIfEEviiPT_lS3_S3_Pi
; %bb.0:
	s_clause 0x3
	s_load_b32 s2, s[0:1], 0x4
	s_load_b64 s[14:15], s[0:1], 0x28
	s_load_b256 s[4:11], s[0:1], 0x8
	s_load_b32 s1, s[0:1], 0x3c
	s_mov_b32 s12, ttmp9
	s_ashr_i32 s13, ttmp9, 31
	s_delay_alu instid0(SALU_CYCLE_1)
	s_lshl_b64 s[12:13], s[12:13], 2
	s_wait_kmcnt 0x0
	s_mul_i32 s0, s2, ttmp7
	s_mul_i32 s16, s2, 7
	s_mul_i32 s18, s0, 13
	s_ashr_i32 s3, s2, 31
	s_ashr_i32 s19, s18, 31
	;; [unrolled: 1-line block ×3, first 2 shown]
	s_lshl_b64 s[18:19], s[18:19], 2
	s_lshl_b64 s[16:17], s[16:17], 2
	s_add_nc_u64 s[14:15], s[14:15], s[18:19]
	s_lshl_b64 s[18:19], s[2:3], 2
	s_add_nc_u64 s[14:15], s[14:15], s[16:17]
	s_sub_nc_u64 s[18:19], 0, s[18:19]
	s_delay_alu instid0(SALU_CYCLE_1)
	s_add_nc_u64 s[18:19], s[14:15], s[18:19]
	s_add_nc_u64 s[14:15], s[14:15], s[12:13]
	;; [unrolled: 1-line block ×3, first 2 shown]
	s_clause 0x1
	s_load_b32 s12, s[14:15], 0x0
	s_load_b32 s13, s[18:19], 0x0
	s_and_b32 s14, s1, 0xffff
	s_mul_i32 s18, s0, 10
	v_mad_co_u64_u32 v[1:2], null, ttmp9, s14, v[0:1]
	s_ashr_i32 s19, s18, 31
	s_mov_b32 s1, exec_lo
	s_lshl_b64 s[18:19], s[18:19], 2
	s_delay_alu instid0(SALU_CYCLE_1) | instskip(NEXT) | instid1(SALU_CYCLE_1)
	s_add_nc_u64 s[8:9], s[8:9], s[18:19]
	s_add_nc_u64 s[8:9], s[8:9], s[16:17]
	v_cmpx_gt_i32_e64 s2, v1
	s_cbranch_execz .LBB18_2
; %bb.1:
	v_ashrrev_i32_e32 v2, 31, v1
	s_movk_i32 s18, 0xffe8
	s_mov_b32 s19, -1
	s_mov_b32 s16, ttmp7
	s_mul_u64 s[18:19], s[2:3], s[18:19]
	v_lshlrev_b64_e32 v[1:2], 2, v[1:2]
	s_add_nc_u64 s[18:19], s[8:9], s[18:19]
	s_ashr_i32 s17, ttmp7, 31
	s_delay_alu instid0(SALU_CYCLE_1) | instskip(NEXT) | instid1(SALU_CYCLE_1)
	s_mul_u64 s[6:7], s[6:7], s[16:17]
	s_lshl_b64 s[6:7], s[6:7], 2
	s_delay_alu instid0(VALU_DEP_1) | instskip(NEXT) | instid1(VALU_DEP_1)
	v_add_co_u32 v3, vcc_lo, s18, v1
	v_add_co_ci_u32_e64 v4, null, s19, v2, vcc_lo
	s_add_nc_u64 s[4:5], s[4:5], s[6:7]
	s_delay_alu instid0(SALU_CYCLE_1)
	v_add_co_u32 v1, vcc_lo, s4, v1
	global_load_b32 v3, v[3:4], off
	s_wait_alu 0xfffd
	v_add_co_ci_u32_e64 v2, null, s5, v2, vcc_lo
	s_wait_loadcnt 0x0
	global_store_b32 v[1:2], v3, off
.LBB18_2:
	s_wait_alu 0xfffe
	s_or_b32 exec_lo, exec_lo, s1
	s_delay_alu instid0(SALU_CYCLE_1)
	s_mov_b32 s1, exec_lo
	s_wait_kmcnt 0x0
	v_cmpx_gt_i32_e64 s12, v0
	s_cbranch_execz .LBB18_5
; %bb.3:
	s_mul_i32 s0, s0, s2
	s_mov_b32 s1, 0
	s_wait_alu 0xfffe
	s_lshl_b32 s4, s0, 1
	s_mul_i32 s0, s2, s2
	s_wait_alu 0xfffe
	s_ashr_i32 s5, s4, 31
	s_lshl_b64 s[6:7], s[0:1], 2
	s_wait_alu 0xfffe
	s_lshl_b64 s[4:5], s[4:5], 2
	s_mul_i32 s2, s2, ttmp9
	s_wait_alu 0xfffe
	s_add_nc_u64 s[4:5], s[10:11], s[4:5]
	s_wait_alu 0xfffe
	s_add_nc_u64 s[4:5], s[4:5], s[6:7]
.LBB18_4:                               ; =>This Inner Loop Header: Depth=1
	v_add_nc_u32_e32 v1, s13, v0
	s_delay_alu instid0(VALU_DEP_1) | instskip(NEXT) | instid1(VALU_DEP_1)
	v_ashrrev_i32_e32 v2, 31, v1
	v_lshlrev_b64_e32 v[1:2], 2, v[1:2]
	s_delay_alu instid0(VALU_DEP_1) | instskip(SKIP_1) | instid1(VALU_DEP_2)
	v_add_co_u32 v1, vcc_lo, s8, v1
	s_wait_alu 0xfffd
	v_add_co_ci_u32_e64 v2, null, s9, v2, vcc_lo
	global_load_b32 v3, v[1:2], off
	v_add_nc_u32_e32 v1, s2, v0
	v_add_nc_u32_e32 v0, s14, v0
	s_delay_alu instid0(VALU_DEP_2) | instskip(NEXT) | instid1(VALU_DEP_2)
	v_ashrrev_i32_e32 v2, 31, v1
	v_cmp_le_i32_e32 vcc_lo, s12, v0
	s_delay_alu instid0(VALU_DEP_2) | instskip(SKIP_2) | instid1(VALU_DEP_1)
	v_lshlrev_b64_e32 v[1:2], 2, v[1:2]
	s_or_b32 s1, vcc_lo, s1
	s_wait_alu 0xfffe
	v_add_co_u32 v1, s0, s4, v1
	s_wait_alu 0xf1ff
	s_delay_alu instid0(VALU_DEP_2)
	v_add_co_ci_u32_e64 v2, null, s5, v2, s0
	s_wait_loadcnt 0x0
	global_store_b32 v[1:2], v3, off
	s_and_not1_b32 exec_lo, exec_lo, s1
	s_cbranch_execnz .LBB18_4
.LBB18_5:
	s_endpgm
	.section	.rodata,"a",@progbits
	.p2align	6, 0x0
	.amdhsa_kernel _ZN9rocsolver6v33100L30stedc_mergeValues_copyD_kernelIfEEviiPT_lS3_S3_Pi
		.amdhsa_group_segment_fixed_size 0
		.amdhsa_private_segment_fixed_size 0
		.amdhsa_kernarg_size 304
		.amdhsa_user_sgpr_count 2
		.amdhsa_user_sgpr_dispatch_ptr 0
		.amdhsa_user_sgpr_queue_ptr 0
		.amdhsa_user_sgpr_kernarg_segment_ptr 1
		.amdhsa_user_sgpr_dispatch_id 0
		.amdhsa_user_sgpr_private_segment_size 0
		.amdhsa_wavefront_size32 1
		.amdhsa_uses_dynamic_stack 0
		.amdhsa_enable_private_segment 0
		.amdhsa_system_sgpr_workgroup_id_x 1
		.amdhsa_system_sgpr_workgroup_id_y 1
		.amdhsa_system_sgpr_workgroup_id_z 0
		.amdhsa_system_sgpr_workgroup_info 0
		.amdhsa_system_vgpr_workitem_id 0
		.amdhsa_next_free_vgpr 5
		.amdhsa_next_free_sgpr 20
		.amdhsa_reserve_vcc 1
		.amdhsa_float_round_mode_32 0
		.amdhsa_float_round_mode_16_64 0
		.amdhsa_float_denorm_mode_32 3
		.amdhsa_float_denorm_mode_16_64 3
		.amdhsa_fp16_overflow 0
		.amdhsa_workgroup_processor_mode 1
		.amdhsa_memory_ordered 1
		.amdhsa_forward_progress 1
		.amdhsa_inst_pref_size 5
		.amdhsa_round_robin_scheduling 0
		.amdhsa_exception_fp_ieee_invalid_op 0
		.amdhsa_exception_fp_denorm_src 0
		.amdhsa_exception_fp_ieee_div_zero 0
		.amdhsa_exception_fp_ieee_overflow 0
		.amdhsa_exception_fp_ieee_underflow 0
		.amdhsa_exception_fp_ieee_inexact 0
		.amdhsa_exception_int_div_zero 0
	.end_amdhsa_kernel
	.section	.text._ZN9rocsolver6v33100L30stedc_mergeValues_copyD_kernelIfEEviiPT_lS3_S3_Pi,"axG",@progbits,_ZN9rocsolver6v33100L30stedc_mergeValues_copyD_kernelIfEEviiPT_lS3_S3_Pi,comdat
.Lfunc_end18:
	.size	_ZN9rocsolver6v33100L30stedc_mergeValues_copyD_kernelIfEEviiPT_lS3_S3_Pi, .Lfunc_end18-_ZN9rocsolver6v33100L30stedc_mergeValues_copyD_kernelIfEEviiPT_lS3_S3_Pi
                                        ; -- End function
	.set _ZN9rocsolver6v33100L30stedc_mergeValues_copyD_kernelIfEEviiPT_lS3_S3_Pi.num_vgpr, 5
	.set _ZN9rocsolver6v33100L30stedc_mergeValues_copyD_kernelIfEEviiPT_lS3_S3_Pi.num_agpr, 0
	.set _ZN9rocsolver6v33100L30stedc_mergeValues_copyD_kernelIfEEviiPT_lS3_S3_Pi.numbered_sgpr, 20
	.set _ZN9rocsolver6v33100L30stedc_mergeValues_copyD_kernelIfEEviiPT_lS3_S3_Pi.num_named_barrier, 0
	.set _ZN9rocsolver6v33100L30stedc_mergeValues_copyD_kernelIfEEviiPT_lS3_S3_Pi.private_seg_size, 0
	.set _ZN9rocsolver6v33100L30stedc_mergeValues_copyD_kernelIfEEviiPT_lS3_S3_Pi.uses_vcc, 1
	.set _ZN9rocsolver6v33100L30stedc_mergeValues_copyD_kernelIfEEviiPT_lS3_S3_Pi.uses_flat_scratch, 0
	.set _ZN9rocsolver6v33100L30stedc_mergeValues_copyD_kernelIfEEviiPT_lS3_S3_Pi.has_dyn_sized_stack, 0
	.set _ZN9rocsolver6v33100L30stedc_mergeValues_copyD_kernelIfEEviiPT_lS3_S3_Pi.has_recursion, 0
	.set _ZN9rocsolver6v33100L30stedc_mergeValues_copyD_kernelIfEEviiPT_lS3_S3_Pi.has_indirect_call, 0
	.section	.AMDGPU.csdata,"",@progbits
; Kernel info:
; codeLenInByte = 548
; TotalNumSgprs: 22
; NumVgprs: 5
; ScratchSize: 0
; MemoryBound: 0
; FloatMode: 240
; IeeeMode: 1
; LDSByteSize: 0 bytes/workgroup (compile time only)
; SGPRBlocks: 0
; VGPRBlocks: 0
; NumSGPRsForWavesPerEU: 22
; NumVGPRsForWavesPerEU: 5
; Occupancy: 16
; WaveLimiterHint : 1
; COMPUTE_PGM_RSRC2:SCRATCH_EN: 0
; COMPUTE_PGM_RSRC2:USER_SGPR: 2
; COMPUTE_PGM_RSRC2:TRAP_HANDLER: 0
; COMPUTE_PGM_RSRC2:TGID_X_EN: 1
; COMPUTE_PGM_RSRC2:TGID_Y_EN: 1
; COMPUTE_PGM_RSRC2:TGID_Z_EN: 0
; COMPUTE_PGM_RSRC2:TIDIG_COMP_CNT: 0
	.section	.text._ZN9rocsolver6v33100L11stedc_copyCIfPfS2_EEviT0_iilT1_iil,"axG",@progbits,_ZN9rocsolver6v33100L11stedc_copyCIfPfS2_EEviT0_iilT1_iil,comdat
	.globl	_ZN9rocsolver6v33100L11stedc_copyCIfPfS2_EEviT0_iilT1_iil ; -- Begin function _ZN9rocsolver6v33100L11stedc_copyCIfPfS2_EEviT0_iilT1_iil
	.p2align	8
	.type	_ZN9rocsolver6v33100L11stedc_copyCIfPfS2_EEviT0_iilT1_iil,@function
_ZN9rocsolver6v33100L11stedc_copyCIfPfS2_EEviT0_iilT1_iil: ; @_ZN9rocsolver6v33100L11stedc_copyCIfPfS2_EEviT0_iilT1_iil
; %bb.0:
	s_clause 0x1
	s_load_b32 s2, s[0:1], 0x44
	s_load_b32 s22, s[0:1], 0x0
	s_wait_kmcnt 0x0
	s_and_b32 s20, s2, 0xffff
	s_add_co_i32 s4, s22, -1
	s_lshl_b32 s21, s20, 4
	s_abs_i32 s5, s4
	s_cvt_f32_u32 s2, s21
	s_sub_co_i32 s3, 0, s21
	s_ashr_i32 s4, s4, 31
	s_delay_alu instid0(SALU_CYCLE_1) | instskip(NEXT) | instid1(TRANS32_DEP_1)
	v_rcp_iflag_f32_e32 v1, s2
	v_readfirstlane_b32 s2, v1
	s_mul_f32 s2, s2, 0x4f7ffffe
	s_wait_alu 0xfffe
	s_delay_alu instid0(SALU_CYCLE_2) | instskip(SKIP_1) | instid1(SALU_CYCLE_2)
	s_cvt_u32_f32 s2, s2
	s_wait_alu 0xfffe
	s_mul_i32 s3, s3, s2
	s_wait_alu 0xfffe
	s_mul_hi_u32 s3, s2, s3
	s_wait_alu 0xfffe
	s_add_co_i32 s2, s2, s3
	s_wait_alu 0xfffe
	s_mul_hi_u32 s2, s5, s2
	s_wait_alu 0xfffe
	s_mul_i32 s3, s2, s21
	s_wait_alu 0xfffe
	s_sub_co_i32 s3, s5, s3
	s_add_co_i32 s5, s2, 1
	s_wait_alu 0xfffe
	s_sub_co_i32 s6, s3, s21
	s_cmp_ge_u32 s3, s21
	s_cselect_b32 s2, s5, s2
	s_cselect_b32 s3, s6, s3
	s_wait_alu 0xfffe
	s_add_co_i32 s5, s2, 1
	s_cmp_ge_u32 s3, s21
	s_cselect_b32 s2, s5, s2
	s_wait_alu 0xfffe
	s_xor_b32 s2, s2, s4
	s_wait_alu 0xfffe
	s_sub_co_i32 s2, s2, s4
	s_wait_alu 0xfffe
	s_cmp_lt_i32 s2, 0
	s_cbranch_scc1 .LBB19_67
; %bb.1:
	s_clause 0x1
	s_load_b256 s[4:11], s[0:1], 0x8
	s_load_b128 s[12:15], s[0:1], 0x28
	s_mov_b32 s16, ttmp7
	s_ashr_i32 s17, ttmp7, 31
	s_add_co_i32 s23, s2, 1
	v_mov_b32_e32 v32, 0
	s_lshl_b32 s24, s20, 1
	s_mul_i32 s25, s20, 3
	s_lshl_b32 s26, s20, 2
	s_mul_i32 s27, s20, 5
	v_dual_mov_b32 v33, v32 :: v_dual_mov_b32 v34, v32
	v_dual_mov_b32 v35, v32 :: v_dual_mov_b32 v36, v32
	;; [unrolled: 1-line block ×5, first 2 shown]
	s_wait_kmcnt 0x0
	s_mul_u64 s[2:3], s[8:9], s[16:17]
	s_mul_u64 s[14:15], s[14:15], s[16:17]
	s_ashr_i32 s1, s6, 31
	s_mov_b32 s0, s6
	s_ashr_i32 s9, s12, 31
	s_mov_b32 s8, s12
	s_mul_i32 s6, s7, ttmp9
	s_mul_i32 s12, s13, ttmp9
	s_wait_alu 0xfffe
	s_lshl_b64 s[2:3], s[2:3], 2
	s_lshl_b64 s[14:15], s[14:15], 2
	;; [unrolled: 1-line block ×4, first 2 shown]
	s_ashr_i32 s7, s6, 31
	s_ashr_i32 s13, s12, 31
	s_wait_alu 0xfffe
	s_add_nc_u64 s[2:3], s[4:5], s[2:3]
	s_add_nc_u64 s[4:5], s[10:11], s[14:15]
	v_dual_mov_b32 v43, v32 :: v_dual_mov_b32 v44, v32
	v_dual_mov_b32 v45, v32 :: v_dual_mov_b32 v46, v32
	v_mov_b32_e32 v47, v32
	s_lshl_b64 s[6:7], s[6:7], 2
	s_lshl_b64 s[10:11], s[12:13], 2
	s_wait_alu 0xfffe
	s_add_nc_u64 s[0:1], s[2:3], s[0:1]
	s_add_nc_u64 s[2:3], s[4:5], s[8:9]
	;; [unrolled: 1-line block ×3, first 2 shown]
	s_wait_alu 0xfffe
	s_add_nc_u64 s[18:19], s[2:3], s[10:11]
	s_mul_i32 s28, s20, 6
	s_mul_i32 s29, s20, 7
	s_lshl_b32 s30, s20, 3
	s_mul_i32 s31, s20, 9
	s_mul_i32 s33, s20, 10
	;; [unrolled: 1-line block ×7, first 2 shown]
	s_branch .LBB19_3
.LBB19_2:                               ;   in Loop: Header=BB19_3 Depth=1
	s_wait_alu 0xfffe
	s_or_b32 exec_lo, exec_lo, s0
	v_add_nc_u32_e32 v0, s21, v0
	s_add_co_i32 s23, s23, -1
	s_wait_alu 0xfffe
	s_cmp_eq_u32 s23, 0
	s_cbranch_scc1 .LBB19_67
.LBB19_3:                               ; =>This Inner Loop Header: Depth=1
	v_cmp_gt_i32_e32 vcc_lo, s22, v0
	v_ashrrev_i32_e32 v1, 31, v0
	s_and_saveexec_b32 s1, vcc_lo
	s_cbranch_execz .LBB19_5
; %bb.4:                                ;   in Loop: Header=BB19_3 Depth=1
	s_delay_alu instid0(VALU_DEP_1) | instskip(NEXT) | instid1(VALU_DEP_1)
	v_lshlrev_b64_e32 v[2:3], 2, v[0:1]
	v_add_co_u32 v2, s0, s16, v2
	s_wait_alu 0xf1ff
	s_delay_alu instid0(VALU_DEP_2)
	v_add_co_ci_u32_e64 v3, null, s17, v3, s0
	s_wait_loadcnt 0x0
	global_load_b32 v32, v[2:3], off
.LBB19_5:                               ;   in Loop: Header=BB19_3 Depth=1
	s_wait_alu 0xfffe
	s_or_b32 exec_lo, exec_lo, s1
	v_add_nc_u32_e32 v2, s20, v0
	s_delay_alu instid0(VALU_DEP_1)
	v_cmp_gt_i32_e64 s0, s22, v2
	v_ashrrev_i32_e32 v3, 31, v2
	s_and_saveexec_b32 s2, s0
	s_cbranch_execz .LBB19_7
; %bb.6:                                ;   in Loop: Header=BB19_3 Depth=1
	s_delay_alu instid0(VALU_DEP_1) | instskip(NEXT) | instid1(VALU_DEP_1)
	v_lshlrev_b64_e32 v[4:5], 2, v[2:3]
	v_add_co_u32 v4, s1, s16, v4
	s_wait_alu 0xf1ff
	s_delay_alu instid0(VALU_DEP_2)
	v_add_co_ci_u32_e64 v5, null, s17, v5, s1
	s_wait_loadcnt 0x0
	global_load_b32 v33, v[4:5], off
.LBB19_7:                               ;   in Loop: Header=BB19_3 Depth=1
	s_wait_alu 0xfffe
	s_or_b32 exec_lo, exec_lo, s2
	v_add_nc_u32_e32 v6, s20, v2
	v_add_nc_u32_e32 v4, s24, v0
	s_delay_alu instid0(VALU_DEP_2) | instskip(NEXT) | instid1(VALU_DEP_2)
	v_cmp_gt_i32_e64 s1, s22, v6
	v_ashrrev_i32_e32 v5, 31, v4
	s_and_saveexec_b32 s3, s1
	s_cbranch_execz .LBB19_9
; %bb.8:                                ;   in Loop: Header=BB19_3 Depth=1
	s_delay_alu instid0(VALU_DEP_1) | instskip(NEXT) | instid1(VALU_DEP_1)
	v_lshlrev_b64_e32 v[7:8], 2, v[4:5]
	v_add_co_u32 v7, s2, s16, v7
	s_wait_alu 0xf1ff
	s_delay_alu instid0(VALU_DEP_2)
	v_add_co_ci_u32_e64 v8, null, s17, v8, s2
	s_wait_loadcnt 0x0
	global_load_b32 v34, v[7:8], off
.LBB19_9:                               ;   in Loop: Header=BB19_3 Depth=1
	s_wait_alu 0xfffe
	s_or_b32 exec_lo, exec_lo, s3
	v_add_nc_u32_e32 v8, s20, v6
	v_add_nc_u32_e32 v6, s25, v0
	s_delay_alu instid0(VALU_DEP_2) | instskip(NEXT) | instid1(VALU_DEP_2)
	v_cmp_gt_i32_e64 s2, s22, v8
	v_ashrrev_i32_e32 v7, 31, v6
	s_and_saveexec_b32 s4, s2
	s_cbranch_execz .LBB19_11
; %bb.10:                               ;   in Loop: Header=BB19_3 Depth=1
	s_delay_alu instid0(VALU_DEP_1) | instskip(NEXT) | instid1(VALU_DEP_1)
	v_lshlrev_b64_e32 v[9:10], 2, v[6:7]
	v_add_co_u32 v9, s3, s16, v9
	s_wait_alu 0xf1ff
	s_delay_alu instid0(VALU_DEP_2)
	v_add_co_ci_u32_e64 v10, null, s17, v10, s3
	s_wait_loadcnt 0x0
	global_load_b32 v35, v[9:10], off
.LBB19_11:                              ;   in Loop: Header=BB19_3 Depth=1
	s_wait_alu 0xfffe
	s_or_b32 exec_lo, exec_lo, s4
	v_add_nc_u32_e32 v10, s20, v8
	v_add_nc_u32_e32 v8, s26, v0
	s_delay_alu instid0(VALU_DEP_2) | instskip(NEXT) | instid1(VALU_DEP_2)
	v_cmp_gt_i32_e64 s3, s22, v10
	v_ashrrev_i32_e32 v9, 31, v8
	s_and_saveexec_b32 s5, s3
	s_cbranch_execz .LBB19_13
; %bb.12:                               ;   in Loop: Header=BB19_3 Depth=1
	s_delay_alu instid0(VALU_DEP_1) | instskip(NEXT) | instid1(VALU_DEP_1)
	v_lshlrev_b64_e32 v[11:12], 2, v[8:9]
	v_add_co_u32 v11, s4, s16, v11
	s_wait_alu 0xf1ff
	s_delay_alu instid0(VALU_DEP_2)
	v_add_co_ci_u32_e64 v12, null, s17, v12, s4
	s_wait_loadcnt 0x0
	global_load_b32 v36, v[11:12], off
.LBB19_13:                              ;   in Loop: Header=BB19_3 Depth=1
	;; [unrolled: 19-line block ×12, first 2 shown]
	s_wait_alu 0xfffe
	s_or_b32 exec_lo, exec_lo, s15
	v_add_nc_u32_e32 v31, s20, v30
	v_add_nc_u32_e32 v30, s38, v0
	s_delay_alu instid0(VALU_DEP_2) | instskip(NEXT) | instid1(VALU_DEP_2)
	v_cmp_gt_i32_e64 s14, s22, v31
	v_ashrrev_i32_e32 v31, 31, v30
	s_and_saveexec_b32 s39, s14
	s_cbranch_execnz .LBB19_50
; %bb.34:                               ;   in Loop: Header=BB19_3 Depth=1
	s_wait_alu 0xfffe
	s_or_b32 exec_lo, exec_lo, s39
	s_and_saveexec_b32 s15, vcc_lo
	s_cbranch_execnz .LBB19_51
.LBB19_35:                              ;   in Loop: Header=BB19_3 Depth=1
	s_wait_alu 0xfffe
	s_or_b32 exec_lo, exec_lo, s15
	s_and_saveexec_b32 s15, s0
	s_cbranch_execnz .LBB19_52
.LBB19_36:                              ;   in Loop: Header=BB19_3 Depth=1
	s_wait_alu 0xfffe
	s_or_b32 exec_lo, exec_lo, s15
	s_and_saveexec_b32 s0, s1
	s_cbranch_execnz .LBB19_53
.LBB19_37:                              ;   in Loop: Header=BB19_3 Depth=1
	s_wait_alu 0xfffe
	s_or_b32 exec_lo, exec_lo, s0
	s_and_saveexec_b32 s0, s2
	s_cbranch_execnz .LBB19_54
.LBB19_38:                              ;   in Loop: Header=BB19_3 Depth=1
	s_wait_alu 0xfffe
	s_or_b32 exec_lo, exec_lo, s0
	s_and_saveexec_b32 s0, s3
	s_cbranch_execnz .LBB19_55
.LBB19_39:                              ;   in Loop: Header=BB19_3 Depth=1
	s_wait_alu 0xfffe
	s_or_b32 exec_lo, exec_lo, s0
	s_and_saveexec_b32 s0, s4
	s_cbranch_execnz .LBB19_56
.LBB19_40:                              ;   in Loop: Header=BB19_3 Depth=1
	s_wait_alu 0xfffe
	s_or_b32 exec_lo, exec_lo, s0
	s_and_saveexec_b32 s0, s5
	s_cbranch_execnz .LBB19_57
.LBB19_41:                              ;   in Loop: Header=BB19_3 Depth=1
	s_wait_alu 0xfffe
	s_or_b32 exec_lo, exec_lo, s0
	s_and_saveexec_b32 s0, s6
	s_cbranch_execnz .LBB19_58
.LBB19_42:                              ;   in Loop: Header=BB19_3 Depth=1
	s_wait_alu 0xfffe
	s_or_b32 exec_lo, exec_lo, s0
	s_and_saveexec_b32 s0, s7
	s_cbranch_execnz .LBB19_59
.LBB19_43:                              ;   in Loop: Header=BB19_3 Depth=1
	s_wait_alu 0xfffe
	s_or_b32 exec_lo, exec_lo, s0
	s_and_saveexec_b32 s0, s8
	s_cbranch_execnz .LBB19_60
.LBB19_44:                              ;   in Loop: Header=BB19_3 Depth=1
	s_wait_alu 0xfffe
	s_or_b32 exec_lo, exec_lo, s0
	s_and_saveexec_b32 s0, s9
	s_cbranch_execnz .LBB19_61
.LBB19_45:                              ;   in Loop: Header=BB19_3 Depth=1
	s_wait_alu 0xfffe
	s_or_b32 exec_lo, exec_lo, s0
	s_and_saveexec_b32 s0, s10
	s_cbranch_execnz .LBB19_62
.LBB19_46:                              ;   in Loop: Header=BB19_3 Depth=1
	s_wait_alu 0xfffe
	s_or_b32 exec_lo, exec_lo, s0
	s_and_saveexec_b32 s0, s11
	s_cbranch_execnz .LBB19_63
.LBB19_47:                              ;   in Loop: Header=BB19_3 Depth=1
	s_wait_alu 0xfffe
	s_or_b32 exec_lo, exec_lo, s0
	s_and_saveexec_b32 s0, s12
	s_cbranch_execnz .LBB19_64
.LBB19_48:                              ;   in Loop: Header=BB19_3 Depth=1
	s_wait_alu 0xfffe
	s_or_b32 exec_lo, exec_lo, s0
	s_and_saveexec_b32 s0, s13
	s_cbranch_execnz .LBB19_65
.LBB19_49:                              ;   in Loop: Header=BB19_3 Depth=1
	s_wait_alu 0xfffe
	s_or_b32 exec_lo, exec_lo, s0
	s_and_saveexec_b32 s0, s14
	s_cbranch_execz .LBB19_2
	s_branch .LBB19_66
.LBB19_50:                              ;   in Loop: Header=BB19_3 Depth=1
	s_wait_loadcnt 0x0
	s_delay_alu instid0(VALU_DEP_1) | instskip(NEXT) | instid1(VALU_DEP_1)
	v_lshlrev_b64_e32 v[47:48], 2, v[30:31]
	v_add_co_u32 v47, s15, s16, v47
	s_wait_alu 0xf1ff
	s_delay_alu instid0(VALU_DEP_2)
	v_add_co_ci_u32_e64 v48, null, s17, v48, s15
	global_load_b32 v47, v[47:48], off
	s_wait_alu 0xfffe
	s_or_b32 exec_lo, exec_lo, s39
	s_and_saveexec_b32 s15, vcc_lo
	s_cbranch_execz .LBB19_35
.LBB19_51:                              ;   in Loop: Header=BB19_3 Depth=1
	v_lshlrev_b64_e32 v[48:49], 2, v[0:1]
	s_delay_alu instid0(VALU_DEP_1) | instskip(SKIP_1) | instid1(VALU_DEP_2)
	v_add_co_u32 v48, vcc_lo, s18, v48
	s_wait_alu 0xfffd
	v_add_co_ci_u32_e64 v49, null, s19, v49, vcc_lo
	s_wait_loadcnt 0x0
	global_store_b32 v[48:49], v32, off
	s_wait_alu 0xfffe
	s_or_b32 exec_lo, exec_lo, s15
	s_and_saveexec_b32 s15, s0
	s_cbranch_execz .LBB19_36
.LBB19_52:                              ;   in Loop: Header=BB19_3 Depth=1
	v_lshlrev_b64_e32 v[1:2], 2, v[2:3]
	s_delay_alu instid0(VALU_DEP_1) | instskip(SKIP_1) | instid1(VALU_DEP_2)
	v_add_co_u32 v1, vcc_lo, s18, v1
	s_wait_alu 0xfffd
	v_add_co_ci_u32_e64 v2, null, s19, v2, vcc_lo
	s_wait_loadcnt 0x0
	global_store_b32 v[1:2], v33, off
	s_wait_alu 0xfffe
	s_or_b32 exec_lo, exec_lo, s15
	s_and_saveexec_b32 s0, s1
	s_cbranch_execz .LBB19_37
.LBB19_53:                              ;   in Loop: Header=BB19_3 Depth=1
	v_lshlrev_b64_e32 v[1:2], 2, v[4:5]
	s_delay_alu instid0(VALU_DEP_1) | instskip(SKIP_1) | instid1(VALU_DEP_2)
	v_add_co_u32 v1, vcc_lo, s18, v1
	s_wait_alu 0xfffd
	v_add_co_ci_u32_e64 v2, null, s19, v2, vcc_lo
	s_wait_loadcnt 0x0
	global_store_b32 v[1:2], v34, off
	s_wait_alu 0xfffe
	s_or_b32 exec_lo, exec_lo, s0
	s_and_saveexec_b32 s0, s2
	s_cbranch_execz .LBB19_38
.LBB19_54:                              ;   in Loop: Header=BB19_3 Depth=1
	v_lshlrev_b64_e32 v[1:2], 2, v[6:7]
	s_delay_alu instid0(VALU_DEP_1) | instskip(SKIP_1) | instid1(VALU_DEP_2)
	v_add_co_u32 v1, vcc_lo, s18, v1
	s_wait_alu 0xfffd
	v_add_co_ci_u32_e64 v2, null, s19, v2, vcc_lo
	s_wait_loadcnt 0x0
	global_store_b32 v[1:2], v35, off
	s_wait_alu 0xfffe
	s_or_b32 exec_lo, exec_lo, s0
	s_and_saveexec_b32 s0, s3
	s_cbranch_execz .LBB19_39
.LBB19_55:                              ;   in Loop: Header=BB19_3 Depth=1
	v_lshlrev_b64_e32 v[1:2], 2, v[8:9]
	s_delay_alu instid0(VALU_DEP_1) | instskip(SKIP_1) | instid1(VALU_DEP_2)
	v_add_co_u32 v1, vcc_lo, s18, v1
	s_wait_alu 0xfffd
	v_add_co_ci_u32_e64 v2, null, s19, v2, vcc_lo
	s_wait_loadcnt 0x0
	global_store_b32 v[1:2], v36, off
	s_wait_alu 0xfffe
	s_or_b32 exec_lo, exec_lo, s0
	s_and_saveexec_b32 s0, s4
	s_cbranch_execz .LBB19_40
.LBB19_56:                              ;   in Loop: Header=BB19_3 Depth=1
	v_lshlrev_b64_e32 v[1:2], 2, v[10:11]
	s_delay_alu instid0(VALU_DEP_1) | instskip(SKIP_1) | instid1(VALU_DEP_2)
	v_add_co_u32 v1, vcc_lo, s18, v1
	s_wait_alu 0xfffd
	v_add_co_ci_u32_e64 v2, null, s19, v2, vcc_lo
	s_wait_loadcnt 0x0
	global_store_b32 v[1:2], v37, off
	s_wait_alu 0xfffe
	s_or_b32 exec_lo, exec_lo, s0
	s_and_saveexec_b32 s0, s5
	s_cbranch_execz .LBB19_41
.LBB19_57:                              ;   in Loop: Header=BB19_3 Depth=1
	v_lshlrev_b64_e32 v[1:2], 2, v[12:13]
	s_delay_alu instid0(VALU_DEP_1) | instskip(SKIP_1) | instid1(VALU_DEP_2)
	v_add_co_u32 v1, vcc_lo, s18, v1
	s_wait_alu 0xfffd
	v_add_co_ci_u32_e64 v2, null, s19, v2, vcc_lo
	s_wait_loadcnt 0x0
	global_store_b32 v[1:2], v38, off
	s_wait_alu 0xfffe
	s_or_b32 exec_lo, exec_lo, s0
	s_and_saveexec_b32 s0, s6
	s_cbranch_execz .LBB19_42
.LBB19_58:                              ;   in Loop: Header=BB19_3 Depth=1
	v_lshlrev_b64_e32 v[1:2], 2, v[14:15]
	s_delay_alu instid0(VALU_DEP_1) | instskip(SKIP_1) | instid1(VALU_DEP_2)
	v_add_co_u32 v1, vcc_lo, s18, v1
	s_wait_alu 0xfffd
	v_add_co_ci_u32_e64 v2, null, s19, v2, vcc_lo
	s_wait_loadcnt 0x0
	global_store_b32 v[1:2], v39, off
	s_wait_alu 0xfffe
	s_or_b32 exec_lo, exec_lo, s0
	s_and_saveexec_b32 s0, s7
	s_cbranch_execz .LBB19_43
.LBB19_59:                              ;   in Loop: Header=BB19_3 Depth=1
	v_lshlrev_b64_e32 v[1:2], 2, v[16:17]
	s_delay_alu instid0(VALU_DEP_1) | instskip(SKIP_1) | instid1(VALU_DEP_2)
	v_add_co_u32 v1, vcc_lo, s18, v1
	s_wait_alu 0xfffd
	v_add_co_ci_u32_e64 v2, null, s19, v2, vcc_lo
	s_wait_loadcnt 0x0
	global_store_b32 v[1:2], v40, off
	s_wait_alu 0xfffe
	s_or_b32 exec_lo, exec_lo, s0
	s_and_saveexec_b32 s0, s8
	s_cbranch_execz .LBB19_44
.LBB19_60:                              ;   in Loop: Header=BB19_3 Depth=1
	v_lshlrev_b64_e32 v[1:2], 2, v[18:19]
	s_delay_alu instid0(VALU_DEP_1) | instskip(SKIP_1) | instid1(VALU_DEP_2)
	v_add_co_u32 v1, vcc_lo, s18, v1
	s_wait_alu 0xfffd
	v_add_co_ci_u32_e64 v2, null, s19, v2, vcc_lo
	s_wait_loadcnt 0x0
	global_store_b32 v[1:2], v41, off
	s_wait_alu 0xfffe
	s_or_b32 exec_lo, exec_lo, s0
	s_and_saveexec_b32 s0, s9
	s_cbranch_execz .LBB19_45
.LBB19_61:                              ;   in Loop: Header=BB19_3 Depth=1
	v_lshlrev_b64_e32 v[1:2], 2, v[20:21]
	s_delay_alu instid0(VALU_DEP_1) | instskip(SKIP_1) | instid1(VALU_DEP_2)
	v_add_co_u32 v1, vcc_lo, s18, v1
	s_wait_alu 0xfffd
	v_add_co_ci_u32_e64 v2, null, s19, v2, vcc_lo
	s_wait_loadcnt 0x0
	global_store_b32 v[1:2], v42, off
	s_wait_alu 0xfffe
	s_or_b32 exec_lo, exec_lo, s0
	s_and_saveexec_b32 s0, s10
	s_cbranch_execz .LBB19_46
.LBB19_62:                              ;   in Loop: Header=BB19_3 Depth=1
	v_lshlrev_b64_e32 v[1:2], 2, v[22:23]
	s_delay_alu instid0(VALU_DEP_1) | instskip(SKIP_1) | instid1(VALU_DEP_2)
	v_add_co_u32 v1, vcc_lo, s18, v1
	s_wait_alu 0xfffd
	v_add_co_ci_u32_e64 v2, null, s19, v2, vcc_lo
	s_wait_loadcnt 0x0
	global_store_b32 v[1:2], v43, off
	s_wait_alu 0xfffe
	s_or_b32 exec_lo, exec_lo, s0
	s_and_saveexec_b32 s0, s11
	s_cbranch_execz .LBB19_47
.LBB19_63:                              ;   in Loop: Header=BB19_3 Depth=1
	v_lshlrev_b64_e32 v[1:2], 2, v[24:25]
	s_delay_alu instid0(VALU_DEP_1) | instskip(SKIP_1) | instid1(VALU_DEP_2)
	v_add_co_u32 v1, vcc_lo, s18, v1
	s_wait_alu 0xfffd
	v_add_co_ci_u32_e64 v2, null, s19, v2, vcc_lo
	s_wait_loadcnt 0x0
	global_store_b32 v[1:2], v44, off
	s_wait_alu 0xfffe
	s_or_b32 exec_lo, exec_lo, s0
	s_and_saveexec_b32 s0, s12
	s_cbranch_execz .LBB19_48
.LBB19_64:                              ;   in Loop: Header=BB19_3 Depth=1
	v_lshlrev_b64_e32 v[1:2], 2, v[26:27]
	s_delay_alu instid0(VALU_DEP_1) | instskip(SKIP_1) | instid1(VALU_DEP_2)
	v_add_co_u32 v1, vcc_lo, s18, v1
	s_wait_alu 0xfffd
	v_add_co_ci_u32_e64 v2, null, s19, v2, vcc_lo
	s_wait_loadcnt 0x0
	global_store_b32 v[1:2], v45, off
	s_wait_alu 0xfffe
	s_or_b32 exec_lo, exec_lo, s0
	s_and_saveexec_b32 s0, s13
	s_cbranch_execz .LBB19_49
.LBB19_65:                              ;   in Loop: Header=BB19_3 Depth=1
	v_lshlrev_b64_e32 v[1:2], 2, v[28:29]
	s_delay_alu instid0(VALU_DEP_1) | instskip(SKIP_1) | instid1(VALU_DEP_2)
	v_add_co_u32 v1, vcc_lo, s18, v1
	s_wait_alu 0xfffd
	v_add_co_ci_u32_e64 v2, null, s19, v2, vcc_lo
	s_wait_loadcnt 0x0
	global_store_b32 v[1:2], v46, off
	s_wait_alu 0xfffe
	s_or_b32 exec_lo, exec_lo, s0
	s_and_saveexec_b32 s0, s14
	s_cbranch_execz .LBB19_2
.LBB19_66:                              ;   in Loop: Header=BB19_3 Depth=1
	v_lshlrev_b64_e32 v[1:2], 2, v[30:31]
	s_delay_alu instid0(VALU_DEP_1) | instskip(SKIP_1) | instid1(VALU_DEP_2)
	v_add_co_u32 v1, vcc_lo, s18, v1
	s_wait_alu 0xfffd
	v_add_co_ci_u32_e64 v2, null, s19, v2, vcc_lo
	s_wait_loadcnt 0x0
	global_store_b32 v[1:2], v47, off
	s_branch .LBB19_2
.LBB19_67:
	s_endpgm
	.section	.rodata,"a",@progbits
	.p2align	6, 0x0
	.amdhsa_kernel _ZN9rocsolver6v33100L11stedc_copyCIfPfS2_EEviT0_iilT1_iil
		.amdhsa_group_segment_fixed_size 0
		.amdhsa_private_segment_fixed_size 0
		.amdhsa_kernarg_size 312
		.amdhsa_user_sgpr_count 2
		.amdhsa_user_sgpr_dispatch_ptr 0
		.amdhsa_user_sgpr_queue_ptr 0
		.amdhsa_user_sgpr_kernarg_segment_ptr 1
		.amdhsa_user_sgpr_dispatch_id 0
		.amdhsa_user_sgpr_private_segment_size 0
		.amdhsa_wavefront_size32 1
		.amdhsa_uses_dynamic_stack 0
		.amdhsa_enable_private_segment 0
		.amdhsa_system_sgpr_workgroup_id_x 1
		.amdhsa_system_sgpr_workgroup_id_y 1
		.amdhsa_system_sgpr_workgroup_id_z 0
		.amdhsa_system_sgpr_workgroup_info 0
		.amdhsa_system_vgpr_workitem_id 0
		.amdhsa_next_free_vgpr 50
		.amdhsa_next_free_sgpr 40
		.amdhsa_reserve_vcc 1
		.amdhsa_float_round_mode_32 0
		.amdhsa_float_round_mode_16_64 0
		.amdhsa_float_denorm_mode_32 3
		.amdhsa_float_denorm_mode_16_64 3
		.amdhsa_fp16_overflow 0
		.amdhsa_workgroup_processor_mode 1
		.amdhsa_memory_ordered 1
		.amdhsa_forward_progress 1
		.amdhsa_inst_pref_size 25
		.amdhsa_round_robin_scheduling 0
		.amdhsa_exception_fp_ieee_invalid_op 0
		.amdhsa_exception_fp_denorm_src 0
		.amdhsa_exception_fp_ieee_div_zero 0
		.amdhsa_exception_fp_ieee_overflow 0
		.amdhsa_exception_fp_ieee_underflow 0
		.amdhsa_exception_fp_ieee_inexact 0
		.amdhsa_exception_int_div_zero 0
	.end_amdhsa_kernel
	.section	.text._ZN9rocsolver6v33100L11stedc_copyCIfPfS2_EEviT0_iilT1_iil,"axG",@progbits,_ZN9rocsolver6v33100L11stedc_copyCIfPfS2_EEviT0_iilT1_iil,comdat
.Lfunc_end19:
	.size	_ZN9rocsolver6v33100L11stedc_copyCIfPfS2_EEviT0_iilT1_iil, .Lfunc_end19-_ZN9rocsolver6v33100L11stedc_copyCIfPfS2_EEviT0_iilT1_iil
                                        ; -- End function
	.set _ZN9rocsolver6v33100L11stedc_copyCIfPfS2_EEviT0_iilT1_iil.num_vgpr, 50
	.set _ZN9rocsolver6v33100L11stedc_copyCIfPfS2_EEviT0_iilT1_iil.num_agpr, 0
	.set _ZN9rocsolver6v33100L11stedc_copyCIfPfS2_EEviT0_iilT1_iil.numbered_sgpr, 40
	.set _ZN9rocsolver6v33100L11stedc_copyCIfPfS2_EEviT0_iilT1_iil.num_named_barrier, 0
	.set _ZN9rocsolver6v33100L11stedc_copyCIfPfS2_EEviT0_iilT1_iil.private_seg_size, 0
	.set _ZN9rocsolver6v33100L11stedc_copyCIfPfS2_EEviT0_iilT1_iil.uses_vcc, 1
	.set _ZN9rocsolver6v33100L11stedc_copyCIfPfS2_EEviT0_iilT1_iil.uses_flat_scratch, 0
	.set _ZN9rocsolver6v33100L11stedc_copyCIfPfS2_EEviT0_iilT1_iil.has_dyn_sized_stack, 0
	.set _ZN9rocsolver6v33100L11stedc_copyCIfPfS2_EEviT0_iilT1_iil.has_recursion, 0
	.set _ZN9rocsolver6v33100L11stedc_copyCIfPfS2_EEviT0_iilT1_iil.has_indirect_call, 0
	.section	.AMDGPU.csdata,"",@progbits
; Kernel info:
; codeLenInByte = 3104
; TotalNumSgprs: 42
; NumVgprs: 50
; ScratchSize: 0
; MemoryBound: 0
; FloatMode: 240
; IeeeMode: 1
; LDSByteSize: 0 bytes/workgroup (compile time only)
; SGPRBlocks: 0
; VGPRBlocks: 6
; NumSGPRsForWavesPerEU: 42
; NumVGPRsForWavesPerEU: 50
; Occupancy: 16
; WaveLimiterHint : 0
; COMPUTE_PGM_RSRC2:SCRATCH_EN: 0
; COMPUTE_PGM_RSRC2:USER_SGPR: 2
; COMPUTE_PGM_RSRC2:TRAP_HANDLER: 0
; COMPUTE_PGM_RSRC2:TGID_X_EN: 1
; COMPUTE_PGM_RSRC2:TGID_Y_EN: 1
; COMPUTE_PGM_RSRC2:TGID_Z_EN: 0
; COMPUTE_PGM_RSRC2:TIDIG_COMP_CNT: 0
	.section	.text._ZN9rocsolver6v33100L16stedc_reshuffleCIfPfS2_EEviT0_iilT1_iilPi,"axG",@progbits,_ZN9rocsolver6v33100L16stedc_reshuffleCIfPfS2_EEviT0_iilT1_iilPi,comdat
	.globl	_ZN9rocsolver6v33100L16stedc_reshuffleCIfPfS2_EEviT0_iilT1_iilPi ; -- Begin function _ZN9rocsolver6v33100L16stedc_reshuffleCIfPfS2_EEviT0_iilT1_iilPi
	.p2align	8
	.type	_ZN9rocsolver6v33100L16stedc_reshuffleCIfPfS2_EEviT0_iilT1_iilPi,@function
_ZN9rocsolver6v33100L16stedc_reshuffleCIfPfS2_EEviT0_iilT1_iilPi: ; @_ZN9rocsolver6v33100L16stedc_reshuffleCIfPfS2_EEviT0_iilT1_iilPi
; %bb.0:
	s_clause 0x1
	s_load_b32 s2, s[0:1], 0x4c
	s_load_b32 s22, s[0:1], 0x0
	s_wait_kmcnt 0x0
	s_and_b32 s20, s2, 0xffff
	s_add_co_i32 s4, s22, -1
	s_lshl_b32 s21, s20, 4
	s_abs_i32 s5, s4
	s_cvt_f32_u32 s2, s21
	s_sub_co_i32 s3, 0, s21
	s_ashr_i32 s4, s4, 31
	s_delay_alu instid0(SALU_CYCLE_1) | instskip(NEXT) | instid1(TRANS32_DEP_1)
	v_rcp_iflag_f32_e32 v1, s2
	v_readfirstlane_b32 s2, v1
	s_mul_f32 s2, s2, 0x4f7ffffe
	s_wait_alu 0xfffe
	s_delay_alu instid0(SALU_CYCLE_2) | instskip(SKIP_1) | instid1(SALU_CYCLE_2)
	s_cvt_u32_f32 s2, s2
	s_wait_alu 0xfffe
	s_mul_i32 s3, s3, s2
	s_wait_alu 0xfffe
	s_mul_hi_u32 s3, s2, s3
	s_wait_alu 0xfffe
	s_add_co_i32 s2, s2, s3
	s_wait_alu 0xfffe
	s_mul_hi_u32 s2, s5, s2
	s_wait_alu 0xfffe
	s_mul_i32 s3, s2, s21
	s_wait_alu 0xfffe
	s_sub_co_i32 s3, s5, s3
	s_add_co_i32 s5, s2, 1
	s_wait_alu 0xfffe
	s_sub_co_i32 s6, s3, s21
	s_cmp_ge_u32 s3, s21
	s_cselect_b32 s2, s5, s2
	s_cselect_b32 s3, s6, s3
	s_wait_alu 0xfffe
	s_add_co_i32 s5, s2, 1
	s_cmp_ge_u32 s3, s21
	s_cselect_b32 s2, s5, s2
	s_wait_alu 0xfffe
	s_xor_b32 s2, s2, s4
	s_wait_alu 0xfffe
	s_sub_co_i32 s12, s2, s4
	s_delay_alu instid0(SALU_CYCLE_1)
	s_cmp_lt_i32 s12, 0
	s_cbranch_scc1 .LBB20_67
; %bb.1:
	s_clause 0x2
	s_load_b128 s[8:11], s[0:1], 0x30
	s_load_b64 s[18:19], s[0:1], 0x28
	s_load_b256 s[0:7], s[0:1], 0x8
	s_mul_i32 s13, ttmp7, s22
	s_add_co_i32 s23, s12, 1
	s_mul_i32 s12, s13, 13
	s_mul_i32 s30, s22, 10
	s_ashr_i32 s13, s12, 31
	s_ashr_i32 s31, s30, 31
	s_lshl_b64 s[12:13], s[12:13], 2
	s_mov_b32 s14, ttmp9
	s_ashr_i32 s15, ttmp9, 31
	s_lshl_b64 s[30:31], s[30:31], 2
	s_mov_b32 s16, ttmp7
	s_ashr_i32 s17, ttmp7, 31
	v_mov_b32_e32 v32, 0
	s_lshl_b32 s24, s20, 1
	s_mul_i32 s25, s20, 3
	s_lshl_b32 s26, s20, 2
	s_mul_i32 s27, s20, 5
	s_wait_kmcnt 0x0
	s_add_nc_u64 s[10:11], s[10:11], s[12:13]
	s_lshl_b64 s[12:13], s[14:15], 2
	s_add_nc_u64 s[10:11], s[10:11], s[30:31]
	s_mul_u64 s[4:5], s[4:5], s[16:17]
	s_add_nc_u64 s[10:11], s[10:11], s[12:13]
	s_mul_u64 s[8:9], s[8:9], s[16:17]
	s_load_b32 s35, s[10:11], 0x0
	s_ashr_i32 s11, s2, 31
	s_mov_b32 s10, s2
	s_ashr_i32 s13, s18, 31
	s_mov_b32 s12, s18
	s_mul_i32 s14, s19, ttmp9
	s_lshl_b64 s[4:5], s[4:5], 2
	s_lshl_b64 s[8:9], s[8:9], 2
	;; [unrolled: 1-line block ×4, first 2 shown]
	s_ashr_i32 s15, s14, 31
	s_add_nc_u64 s[0:1], s[0:1], s[4:5]
	s_add_nc_u64 s[4:5], s[6:7], s[8:9]
	v_dual_mov_b32 v33, v32 :: v_dual_mov_b32 v34, v32
	v_dual_mov_b32 v35, v32 :: v_dual_mov_b32 v36, v32
	;; [unrolled: 1-line block ×4, first 2 shown]
	s_wait_kmcnt 0x0
	s_mul_i32 s2, s35, s3
	v_dual_mov_b32 v41, v32 :: v_dual_mov_b32 v42, v32
	s_wait_alu 0xfffe
	s_ashr_i32 s3, s2, 31
	v_dual_mov_b32 v43, v32 :: v_dual_mov_b32 v44, v32
	v_dual_mov_b32 v45, v32 :: v_dual_mov_b32 v46, v32
	v_mov_b32_e32 v47, v32
	s_lshl_b64 s[6:7], s[14:15], 2
	s_add_nc_u64 s[0:1], s[0:1], s[10:11]
	s_add_nc_u64 s[4:5], s[4:5], s[12:13]
	s_wait_alu 0xfffe
	s_lshl_b64 s[2:3], s[2:3], 2
	s_mul_i32 s28, s20, 6
	s_mul_i32 s29, s20, 7
	s_lshl_b32 s30, s20, 3
	s_mul_i32 s31, s20, 9
	s_mul_i32 s33, s20, 10
	;; [unrolled: 1-line block ×3, first 2 shown]
	s_add_nc_u64 s[16:17], s[4:5], s[6:7]
	s_wait_alu 0xfffe
	s_add_nc_u64 s[18:19], s[0:1], s[2:3]
	s_mul_i32 s35, s20, 12
	s_mul_i32 s36, s20, 13
	;; [unrolled: 1-line block ×4, first 2 shown]
	s_branch .LBB20_3
.LBB20_2:                               ;   in Loop: Header=BB20_3 Depth=1
	s_wait_alu 0xfffe
	s_or_b32 exec_lo, exec_lo, s0
	v_add_nc_u32_e32 v0, s21, v0
	s_add_co_i32 s23, s23, -1
	s_wait_alu 0xfffe
	s_cmp_eq_u32 s23, 0
	s_cbranch_scc1 .LBB20_67
.LBB20_3:                               ; =>This Inner Loop Header: Depth=1
	v_cmp_gt_i32_e32 vcc_lo, s22, v0
	v_ashrrev_i32_e32 v1, 31, v0
	s_and_saveexec_b32 s1, vcc_lo
	s_cbranch_execz .LBB20_5
; %bb.4:                                ;   in Loop: Header=BB20_3 Depth=1
	s_delay_alu instid0(VALU_DEP_1) | instskip(NEXT) | instid1(VALU_DEP_1)
	v_lshlrev_b64_e32 v[2:3], 2, v[0:1]
	v_add_co_u32 v2, s0, s18, v2
	s_wait_alu 0xf1ff
	s_delay_alu instid0(VALU_DEP_2)
	v_add_co_ci_u32_e64 v3, null, s19, v3, s0
	s_wait_loadcnt 0x0
	global_load_b32 v32, v[2:3], off
.LBB20_5:                               ;   in Loop: Header=BB20_3 Depth=1
	s_wait_alu 0xfffe
	s_or_b32 exec_lo, exec_lo, s1
	v_add_nc_u32_e32 v2, s20, v0
	s_delay_alu instid0(VALU_DEP_1)
	v_cmp_gt_i32_e64 s0, s22, v2
	v_ashrrev_i32_e32 v3, 31, v2
	s_and_saveexec_b32 s2, s0
	s_cbranch_execz .LBB20_7
; %bb.6:                                ;   in Loop: Header=BB20_3 Depth=1
	s_delay_alu instid0(VALU_DEP_1) | instskip(NEXT) | instid1(VALU_DEP_1)
	v_lshlrev_b64_e32 v[4:5], 2, v[2:3]
	v_add_co_u32 v4, s1, s18, v4
	s_wait_alu 0xf1ff
	s_delay_alu instid0(VALU_DEP_2)
	v_add_co_ci_u32_e64 v5, null, s19, v5, s1
	s_wait_loadcnt 0x0
	global_load_b32 v33, v[4:5], off
.LBB20_7:                               ;   in Loop: Header=BB20_3 Depth=1
	s_wait_alu 0xfffe
	s_or_b32 exec_lo, exec_lo, s2
	v_add_nc_u32_e32 v6, s20, v2
	v_add_nc_u32_e32 v4, s24, v0
	s_delay_alu instid0(VALU_DEP_2) | instskip(NEXT) | instid1(VALU_DEP_2)
	v_cmp_gt_i32_e64 s1, s22, v6
	v_ashrrev_i32_e32 v5, 31, v4
	s_and_saveexec_b32 s3, s1
	s_cbranch_execz .LBB20_9
; %bb.8:                                ;   in Loop: Header=BB20_3 Depth=1
	s_delay_alu instid0(VALU_DEP_1) | instskip(NEXT) | instid1(VALU_DEP_1)
	v_lshlrev_b64_e32 v[7:8], 2, v[4:5]
	v_add_co_u32 v7, s2, s18, v7
	s_wait_alu 0xf1ff
	s_delay_alu instid0(VALU_DEP_2)
	v_add_co_ci_u32_e64 v8, null, s19, v8, s2
	s_wait_loadcnt 0x0
	global_load_b32 v34, v[7:8], off
.LBB20_9:                               ;   in Loop: Header=BB20_3 Depth=1
	s_wait_alu 0xfffe
	s_or_b32 exec_lo, exec_lo, s3
	v_add_nc_u32_e32 v8, s20, v6
	v_add_nc_u32_e32 v6, s25, v0
	s_delay_alu instid0(VALU_DEP_2) | instskip(NEXT) | instid1(VALU_DEP_2)
	v_cmp_gt_i32_e64 s2, s22, v8
	v_ashrrev_i32_e32 v7, 31, v6
	s_and_saveexec_b32 s4, s2
	s_cbranch_execz .LBB20_11
; %bb.10:                               ;   in Loop: Header=BB20_3 Depth=1
	s_delay_alu instid0(VALU_DEP_1) | instskip(NEXT) | instid1(VALU_DEP_1)
	v_lshlrev_b64_e32 v[9:10], 2, v[6:7]
	v_add_co_u32 v9, s3, s18, v9
	s_wait_alu 0xf1ff
	s_delay_alu instid0(VALU_DEP_2)
	v_add_co_ci_u32_e64 v10, null, s19, v10, s3
	s_wait_loadcnt 0x0
	global_load_b32 v35, v[9:10], off
.LBB20_11:                              ;   in Loop: Header=BB20_3 Depth=1
	s_wait_alu 0xfffe
	s_or_b32 exec_lo, exec_lo, s4
	v_add_nc_u32_e32 v10, s20, v8
	v_add_nc_u32_e32 v8, s26, v0
	s_delay_alu instid0(VALU_DEP_2) | instskip(NEXT) | instid1(VALU_DEP_2)
	v_cmp_gt_i32_e64 s3, s22, v10
	v_ashrrev_i32_e32 v9, 31, v8
	s_and_saveexec_b32 s5, s3
	s_cbranch_execz .LBB20_13
; %bb.12:                               ;   in Loop: Header=BB20_3 Depth=1
	s_delay_alu instid0(VALU_DEP_1) | instskip(NEXT) | instid1(VALU_DEP_1)
	v_lshlrev_b64_e32 v[11:12], 2, v[8:9]
	v_add_co_u32 v11, s4, s18, v11
	s_wait_alu 0xf1ff
	s_delay_alu instid0(VALU_DEP_2)
	v_add_co_ci_u32_e64 v12, null, s19, v12, s4
	s_wait_loadcnt 0x0
	global_load_b32 v36, v[11:12], off
.LBB20_13:                              ;   in Loop: Header=BB20_3 Depth=1
	;; [unrolled: 19-line block ×12, first 2 shown]
	s_wait_alu 0xfffe
	s_or_b32 exec_lo, exec_lo, s15
	v_add_nc_u32_e32 v31, s20, v30
	v_add_nc_u32_e32 v30, s38, v0
	s_delay_alu instid0(VALU_DEP_2) | instskip(NEXT) | instid1(VALU_DEP_2)
	v_cmp_gt_i32_e64 s14, s22, v31
	v_ashrrev_i32_e32 v31, 31, v30
	s_and_saveexec_b32 s39, s14
	s_cbranch_execnz .LBB20_50
; %bb.34:                               ;   in Loop: Header=BB20_3 Depth=1
	s_wait_alu 0xfffe
	s_or_b32 exec_lo, exec_lo, s39
	s_and_saveexec_b32 s15, vcc_lo
	s_cbranch_execnz .LBB20_51
.LBB20_35:                              ;   in Loop: Header=BB20_3 Depth=1
	s_wait_alu 0xfffe
	s_or_b32 exec_lo, exec_lo, s15
	s_and_saveexec_b32 s15, s0
	s_cbranch_execnz .LBB20_52
.LBB20_36:                              ;   in Loop: Header=BB20_3 Depth=1
	s_wait_alu 0xfffe
	s_or_b32 exec_lo, exec_lo, s15
	s_and_saveexec_b32 s0, s1
	s_cbranch_execnz .LBB20_53
.LBB20_37:                              ;   in Loop: Header=BB20_3 Depth=1
	s_wait_alu 0xfffe
	s_or_b32 exec_lo, exec_lo, s0
	s_and_saveexec_b32 s0, s2
	s_cbranch_execnz .LBB20_54
.LBB20_38:                              ;   in Loop: Header=BB20_3 Depth=1
	s_wait_alu 0xfffe
	s_or_b32 exec_lo, exec_lo, s0
	s_and_saveexec_b32 s0, s3
	s_cbranch_execnz .LBB20_55
.LBB20_39:                              ;   in Loop: Header=BB20_3 Depth=1
	s_wait_alu 0xfffe
	s_or_b32 exec_lo, exec_lo, s0
	s_and_saveexec_b32 s0, s4
	s_cbranch_execnz .LBB20_56
.LBB20_40:                              ;   in Loop: Header=BB20_3 Depth=1
	s_wait_alu 0xfffe
	s_or_b32 exec_lo, exec_lo, s0
	s_and_saveexec_b32 s0, s5
	s_cbranch_execnz .LBB20_57
.LBB20_41:                              ;   in Loop: Header=BB20_3 Depth=1
	s_wait_alu 0xfffe
	s_or_b32 exec_lo, exec_lo, s0
	s_and_saveexec_b32 s0, s6
	s_cbranch_execnz .LBB20_58
.LBB20_42:                              ;   in Loop: Header=BB20_3 Depth=1
	s_wait_alu 0xfffe
	s_or_b32 exec_lo, exec_lo, s0
	s_and_saveexec_b32 s0, s7
	s_cbranch_execnz .LBB20_59
.LBB20_43:                              ;   in Loop: Header=BB20_3 Depth=1
	s_wait_alu 0xfffe
	s_or_b32 exec_lo, exec_lo, s0
	s_and_saveexec_b32 s0, s8
	s_cbranch_execnz .LBB20_60
.LBB20_44:                              ;   in Loop: Header=BB20_3 Depth=1
	s_wait_alu 0xfffe
	s_or_b32 exec_lo, exec_lo, s0
	s_and_saveexec_b32 s0, s9
	s_cbranch_execnz .LBB20_61
.LBB20_45:                              ;   in Loop: Header=BB20_3 Depth=1
	s_wait_alu 0xfffe
	s_or_b32 exec_lo, exec_lo, s0
	s_and_saveexec_b32 s0, s10
	s_cbranch_execnz .LBB20_62
.LBB20_46:                              ;   in Loop: Header=BB20_3 Depth=1
	s_wait_alu 0xfffe
	s_or_b32 exec_lo, exec_lo, s0
	s_and_saveexec_b32 s0, s11
	s_cbranch_execnz .LBB20_63
.LBB20_47:                              ;   in Loop: Header=BB20_3 Depth=1
	s_wait_alu 0xfffe
	s_or_b32 exec_lo, exec_lo, s0
	s_and_saveexec_b32 s0, s12
	s_cbranch_execnz .LBB20_64
.LBB20_48:                              ;   in Loop: Header=BB20_3 Depth=1
	s_wait_alu 0xfffe
	s_or_b32 exec_lo, exec_lo, s0
	s_and_saveexec_b32 s0, s13
	s_cbranch_execnz .LBB20_65
.LBB20_49:                              ;   in Loop: Header=BB20_3 Depth=1
	s_wait_alu 0xfffe
	s_or_b32 exec_lo, exec_lo, s0
	s_and_saveexec_b32 s0, s14
	s_cbranch_execz .LBB20_2
	s_branch .LBB20_66
.LBB20_50:                              ;   in Loop: Header=BB20_3 Depth=1
	s_wait_loadcnt 0x0
	s_delay_alu instid0(VALU_DEP_1) | instskip(NEXT) | instid1(VALU_DEP_1)
	v_lshlrev_b64_e32 v[47:48], 2, v[30:31]
	v_add_co_u32 v47, s15, s18, v47
	s_wait_alu 0xf1ff
	s_delay_alu instid0(VALU_DEP_2)
	v_add_co_ci_u32_e64 v48, null, s19, v48, s15
	global_load_b32 v47, v[47:48], off
	s_wait_alu 0xfffe
	s_or_b32 exec_lo, exec_lo, s39
	s_and_saveexec_b32 s15, vcc_lo
	s_cbranch_execz .LBB20_35
.LBB20_51:                              ;   in Loop: Header=BB20_3 Depth=1
	v_lshlrev_b64_e32 v[48:49], 2, v[0:1]
	s_delay_alu instid0(VALU_DEP_1) | instskip(SKIP_1) | instid1(VALU_DEP_2)
	v_add_co_u32 v48, vcc_lo, s16, v48
	s_wait_alu 0xfffd
	v_add_co_ci_u32_e64 v49, null, s17, v49, vcc_lo
	s_wait_loadcnt 0x0
	global_store_b32 v[48:49], v32, off
	s_wait_alu 0xfffe
	s_or_b32 exec_lo, exec_lo, s15
	s_and_saveexec_b32 s15, s0
	s_cbranch_execz .LBB20_36
.LBB20_52:                              ;   in Loop: Header=BB20_3 Depth=1
	v_lshlrev_b64_e32 v[1:2], 2, v[2:3]
	s_delay_alu instid0(VALU_DEP_1) | instskip(SKIP_1) | instid1(VALU_DEP_2)
	v_add_co_u32 v1, vcc_lo, s16, v1
	s_wait_alu 0xfffd
	v_add_co_ci_u32_e64 v2, null, s17, v2, vcc_lo
	s_wait_loadcnt 0x0
	global_store_b32 v[1:2], v33, off
	s_wait_alu 0xfffe
	s_or_b32 exec_lo, exec_lo, s15
	s_and_saveexec_b32 s0, s1
	s_cbranch_execz .LBB20_37
.LBB20_53:                              ;   in Loop: Header=BB20_3 Depth=1
	v_lshlrev_b64_e32 v[1:2], 2, v[4:5]
	s_delay_alu instid0(VALU_DEP_1) | instskip(SKIP_1) | instid1(VALU_DEP_2)
	v_add_co_u32 v1, vcc_lo, s16, v1
	s_wait_alu 0xfffd
	v_add_co_ci_u32_e64 v2, null, s17, v2, vcc_lo
	s_wait_loadcnt 0x0
	global_store_b32 v[1:2], v34, off
	s_wait_alu 0xfffe
	s_or_b32 exec_lo, exec_lo, s0
	s_and_saveexec_b32 s0, s2
	s_cbranch_execz .LBB20_38
.LBB20_54:                              ;   in Loop: Header=BB20_3 Depth=1
	v_lshlrev_b64_e32 v[1:2], 2, v[6:7]
	s_delay_alu instid0(VALU_DEP_1) | instskip(SKIP_1) | instid1(VALU_DEP_2)
	v_add_co_u32 v1, vcc_lo, s16, v1
	s_wait_alu 0xfffd
	v_add_co_ci_u32_e64 v2, null, s17, v2, vcc_lo
	s_wait_loadcnt 0x0
	global_store_b32 v[1:2], v35, off
	s_wait_alu 0xfffe
	s_or_b32 exec_lo, exec_lo, s0
	s_and_saveexec_b32 s0, s3
	s_cbranch_execz .LBB20_39
.LBB20_55:                              ;   in Loop: Header=BB20_3 Depth=1
	v_lshlrev_b64_e32 v[1:2], 2, v[8:9]
	s_delay_alu instid0(VALU_DEP_1) | instskip(SKIP_1) | instid1(VALU_DEP_2)
	v_add_co_u32 v1, vcc_lo, s16, v1
	s_wait_alu 0xfffd
	v_add_co_ci_u32_e64 v2, null, s17, v2, vcc_lo
	s_wait_loadcnt 0x0
	global_store_b32 v[1:2], v36, off
	s_wait_alu 0xfffe
	s_or_b32 exec_lo, exec_lo, s0
	s_and_saveexec_b32 s0, s4
	s_cbranch_execz .LBB20_40
.LBB20_56:                              ;   in Loop: Header=BB20_3 Depth=1
	v_lshlrev_b64_e32 v[1:2], 2, v[10:11]
	s_delay_alu instid0(VALU_DEP_1) | instskip(SKIP_1) | instid1(VALU_DEP_2)
	v_add_co_u32 v1, vcc_lo, s16, v1
	s_wait_alu 0xfffd
	v_add_co_ci_u32_e64 v2, null, s17, v2, vcc_lo
	s_wait_loadcnt 0x0
	global_store_b32 v[1:2], v37, off
	s_wait_alu 0xfffe
	s_or_b32 exec_lo, exec_lo, s0
	s_and_saveexec_b32 s0, s5
	s_cbranch_execz .LBB20_41
.LBB20_57:                              ;   in Loop: Header=BB20_3 Depth=1
	v_lshlrev_b64_e32 v[1:2], 2, v[12:13]
	s_delay_alu instid0(VALU_DEP_1) | instskip(SKIP_1) | instid1(VALU_DEP_2)
	v_add_co_u32 v1, vcc_lo, s16, v1
	s_wait_alu 0xfffd
	v_add_co_ci_u32_e64 v2, null, s17, v2, vcc_lo
	s_wait_loadcnt 0x0
	global_store_b32 v[1:2], v38, off
	s_wait_alu 0xfffe
	s_or_b32 exec_lo, exec_lo, s0
	s_and_saveexec_b32 s0, s6
	s_cbranch_execz .LBB20_42
.LBB20_58:                              ;   in Loop: Header=BB20_3 Depth=1
	v_lshlrev_b64_e32 v[1:2], 2, v[14:15]
	s_delay_alu instid0(VALU_DEP_1) | instskip(SKIP_1) | instid1(VALU_DEP_2)
	v_add_co_u32 v1, vcc_lo, s16, v1
	s_wait_alu 0xfffd
	v_add_co_ci_u32_e64 v2, null, s17, v2, vcc_lo
	s_wait_loadcnt 0x0
	global_store_b32 v[1:2], v39, off
	s_wait_alu 0xfffe
	s_or_b32 exec_lo, exec_lo, s0
	s_and_saveexec_b32 s0, s7
	s_cbranch_execz .LBB20_43
.LBB20_59:                              ;   in Loop: Header=BB20_3 Depth=1
	v_lshlrev_b64_e32 v[1:2], 2, v[16:17]
	s_delay_alu instid0(VALU_DEP_1) | instskip(SKIP_1) | instid1(VALU_DEP_2)
	v_add_co_u32 v1, vcc_lo, s16, v1
	s_wait_alu 0xfffd
	v_add_co_ci_u32_e64 v2, null, s17, v2, vcc_lo
	s_wait_loadcnt 0x0
	global_store_b32 v[1:2], v40, off
	s_wait_alu 0xfffe
	s_or_b32 exec_lo, exec_lo, s0
	s_and_saveexec_b32 s0, s8
	s_cbranch_execz .LBB20_44
.LBB20_60:                              ;   in Loop: Header=BB20_3 Depth=1
	v_lshlrev_b64_e32 v[1:2], 2, v[18:19]
	s_delay_alu instid0(VALU_DEP_1) | instskip(SKIP_1) | instid1(VALU_DEP_2)
	v_add_co_u32 v1, vcc_lo, s16, v1
	s_wait_alu 0xfffd
	v_add_co_ci_u32_e64 v2, null, s17, v2, vcc_lo
	s_wait_loadcnt 0x0
	global_store_b32 v[1:2], v41, off
	s_wait_alu 0xfffe
	s_or_b32 exec_lo, exec_lo, s0
	s_and_saveexec_b32 s0, s9
	s_cbranch_execz .LBB20_45
.LBB20_61:                              ;   in Loop: Header=BB20_3 Depth=1
	v_lshlrev_b64_e32 v[1:2], 2, v[20:21]
	s_delay_alu instid0(VALU_DEP_1) | instskip(SKIP_1) | instid1(VALU_DEP_2)
	v_add_co_u32 v1, vcc_lo, s16, v1
	s_wait_alu 0xfffd
	v_add_co_ci_u32_e64 v2, null, s17, v2, vcc_lo
	s_wait_loadcnt 0x0
	global_store_b32 v[1:2], v42, off
	s_wait_alu 0xfffe
	s_or_b32 exec_lo, exec_lo, s0
	s_and_saveexec_b32 s0, s10
	s_cbranch_execz .LBB20_46
.LBB20_62:                              ;   in Loop: Header=BB20_3 Depth=1
	v_lshlrev_b64_e32 v[1:2], 2, v[22:23]
	s_delay_alu instid0(VALU_DEP_1) | instskip(SKIP_1) | instid1(VALU_DEP_2)
	v_add_co_u32 v1, vcc_lo, s16, v1
	s_wait_alu 0xfffd
	v_add_co_ci_u32_e64 v2, null, s17, v2, vcc_lo
	s_wait_loadcnt 0x0
	global_store_b32 v[1:2], v43, off
	s_wait_alu 0xfffe
	s_or_b32 exec_lo, exec_lo, s0
	s_and_saveexec_b32 s0, s11
	s_cbranch_execz .LBB20_47
.LBB20_63:                              ;   in Loop: Header=BB20_3 Depth=1
	v_lshlrev_b64_e32 v[1:2], 2, v[24:25]
	s_delay_alu instid0(VALU_DEP_1) | instskip(SKIP_1) | instid1(VALU_DEP_2)
	v_add_co_u32 v1, vcc_lo, s16, v1
	s_wait_alu 0xfffd
	v_add_co_ci_u32_e64 v2, null, s17, v2, vcc_lo
	s_wait_loadcnt 0x0
	global_store_b32 v[1:2], v44, off
	s_wait_alu 0xfffe
	s_or_b32 exec_lo, exec_lo, s0
	s_and_saveexec_b32 s0, s12
	s_cbranch_execz .LBB20_48
.LBB20_64:                              ;   in Loop: Header=BB20_3 Depth=1
	v_lshlrev_b64_e32 v[1:2], 2, v[26:27]
	s_delay_alu instid0(VALU_DEP_1) | instskip(SKIP_1) | instid1(VALU_DEP_2)
	v_add_co_u32 v1, vcc_lo, s16, v1
	s_wait_alu 0xfffd
	v_add_co_ci_u32_e64 v2, null, s17, v2, vcc_lo
	s_wait_loadcnt 0x0
	global_store_b32 v[1:2], v45, off
	s_wait_alu 0xfffe
	s_or_b32 exec_lo, exec_lo, s0
	s_and_saveexec_b32 s0, s13
	s_cbranch_execz .LBB20_49
.LBB20_65:                              ;   in Loop: Header=BB20_3 Depth=1
	v_lshlrev_b64_e32 v[1:2], 2, v[28:29]
	s_delay_alu instid0(VALU_DEP_1) | instskip(SKIP_1) | instid1(VALU_DEP_2)
	v_add_co_u32 v1, vcc_lo, s16, v1
	s_wait_alu 0xfffd
	v_add_co_ci_u32_e64 v2, null, s17, v2, vcc_lo
	s_wait_loadcnt 0x0
	global_store_b32 v[1:2], v46, off
	s_wait_alu 0xfffe
	s_or_b32 exec_lo, exec_lo, s0
	s_and_saveexec_b32 s0, s14
	s_cbranch_execz .LBB20_2
.LBB20_66:                              ;   in Loop: Header=BB20_3 Depth=1
	v_lshlrev_b64_e32 v[1:2], 2, v[30:31]
	s_delay_alu instid0(VALU_DEP_1) | instskip(SKIP_1) | instid1(VALU_DEP_2)
	v_add_co_u32 v1, vcc_lo, s16, v1
	s_wait_alu 0xfffd
	v_add_co_ci_u32_e64 v2, null, s17, v2, vcc_lo
	s_wait_loadcnt 0x0
	global_store_b32 v[1:2], v47, off
	s_branch .LBB20_2
.LBB20_67:
	s_endpgm
	.section	.rodata,"a",@progbits
	.p2align	6, 0x0
	.amdhsa_kernel _ZN9rocsolver6v33100L16stedc_reshuffleCIfPfS2_EEviT0_iilT1_iilPi
		.amdhsa_group_segment_fixed_size 0
		.amdhsa_private_segment_fixed_size 0
		.amdhsa_kernarg_size 320
		.amdhsa_user_sgpr_count 2
		.amdhsa_user_sgpr_dispatch_ptr 0
		.amdhsa_user_sgpr_queue_ptr 0
		.amdhsa_user_sgpr_kernarg_segment_ptr 1
		.amdhsa_user_sgpr_dispatch_id 0
		.amdhsa_user_sgpr_private_segment_size 0
		.amdhsa_wavefront_size32 1
		.amdhsa_uses_dynamic_stack 0
		.amdhsa_enable_private_segment 0
		.amdhsa_system_sgpr_workgroup_id_x 1
		.amdhsa_system_sgpr_workgroup_id_y 1
		.amdhsa_system_sgpr_workgroup_id_z 0
		.amdhsa_system_sgpr_workgroup_info 0
		.amdhsa_system_vgpr_workitem_id 0
		.amdhsa_next_free_vgpr 50
		.amdhsa_next_free_sgpr 40
		.amdhsa_reserve_vcc 1
		.amdhsa_float_round_mode_32 0
		.amdhsa_float_round_mode_16_64 0
		.amdhsa_float_denorm_mode_32 3
		.amdhsa_float_denorm_mode_16_64 3
		.amdhsa_fp16_overflow 0
		.amdhsa_workgroup_processor_mode 1
		.amdhsa_memory_ordered 1
		.amdhsa_forward_progress 1
		.amdhsa_inst_pref_size 25
		.amdhsa_round_robin_scheduling 0
		.amdhsa_exception_fp_ieee_invalid_op 0
		.amdhsa_exception_fp_denorm_src 0
		.amdhsa_exception_fp_ieee_div_zero 0
		.amdhsa_exception_fp_ieee_overflow 0
		.amdhsa_exception_fp_ieee_underflow 0
		.amdhsa_exception_fp_ieee_inexact 0
		.amdhsa_exception_int_div_zero 0
	.end_amdhsa_kernel
	.section	.text._ZN9rocsolver6v33100L16stedc_reshuffleCIfPfS2_EEviT0_iilT1_iilPi,"axG",@progbits,_ZN9rocsolver6v33100L16stedc_reshuffleCIfPfS2_EEviT0_iilT1_iilPi,comdat
.Lfunc_end20:
	.size	_ZN9rocsolver6v33100L16stedc_reshuffleCIfPfS2_EEviT0_iilT1_iilPi, .Lfunc_end20-_ZN9rocsolver6v33100L16stedc_reshuffleCIfPfS2_EEviT0_iilT1_iilPi
                                        ; -- End function
	.set _ZN9rocsolver6v33100L16stedc_reshuffleCIfPfS2_EEviT0_iilT1_iilPi.num_vgpr, 50
	.set _ZN9rocsolver6v33100L16stedc_reshuffleCIfPfS2_EEviT0_iilT1_iilPi.num_agpr, 0
	.set _ZN9rocsolver6v33100L16stedc_reshuffleCIfPfS2_EEviT0_iilT1_iilPi.numbered_sgpr, 40
	.set _ZN9rocsolver6v33100L16stedc_reshuffleCIfPfS2_EEviT0_iilT1_iilPi.num_named_barrier, 0
	.set _ZN9rocsolver6v33100L16stedc_reshuffleCIfPfS2_EEviT0_iilT1_iilPi.private_seg_size, 0
	.set _ZN9rocsolver6v33100L16stedc_reshuffleCIfPfS2_EEviT0_iilT1_iilPi.uses_vcc, 1
	.set _ZN9rocsolver6v33100L16stedc_reshuffleCIfPfS2_EEviT0_iilT1_iilPi.uses_flat_scratch, 0
	.set _ZN9rocsolver6v33100L16stedc_reshuffleCIfPfS2_EEviT0_iilT1_iilPi.has_dyn_sized_stack, 0
	.set _ZN9rocsolver6v33100L16stedc_reshuffleCIfPfS2_EEviT0_iilT1_iilPi.has_recursion, 0
	.set _ZN9rocsolver6v33100L16stedc_reshuffleCIfPfS2_EEviT0_iilT1_iilPi.has_indirect_call, 0
	.section	.AMDGPU.csdata,"",@progbits
; Kernel info:
; codeLenInByte = 3172
; TotalNumSgprs: 42
; NumVgprs: 50
; ScratchSize: 0
; MemoryBound: 0
; FloatMode: 240
; IeeeMode: 1
; LDSByteSize: 0 bytes/workgroup (compile time only)
; SGPRBlocks: 0
; VGPRBlocks: 6
; NumSGPRsForWavesPerEU: 42
; NumVGPRsForWavesPerEU: 50
; Occupancy: 16
; WaveLimiterHint : 1
; COMPUTE_PGM_RSRC2:SCRATCH_EN: 0
; COMPUTE_PGM_RSRC2:USER_SGPR: 2
; COMPUTE_PGM_RSRC2:TRAP_HANDLER: 0
; COMPUTE_PGM_RSRC2:TGID_X_EN: 1
; COMPUTE_PGM_RSRC2:TGID_Y_EN: 1
; COMPUTE_PGM_RSRC2:TGID_Z_EN: 0
; COMPUTE_PGM_RSRC2:TIDIG_COMP_CNT: 0
	.section	.text._ZN9rocsolver6v33100L30stedc_mergeValues_Solve_kernelIfEEviiPT_lS3_lS3_S3_PiS2_S2_S2_,"axG",@progbits,_ZN9rocsolver6v33100L30stedc_mergeValues_Solve_kernelIfEEviiPT_lS3_lS3_S3_PiS2_S2_S2_,comdat
	.globl	_ZN9rocsolver6v33100L30stedc_mergeValues_Solve_kernelIfEEviiPT_lS3_lS3_S3_PiS2_S2_S2_ ; -- Begin function _ZN9rocsolver6v33100L30stedc_mergeValues_Solve_kernelIfEEviiPT_lS3_lS3_S3_PiS2_S2_S2_
	.p2align	8
	.type	_ZN9rocsolver6v33100L30stedc_mergeValues_Solve_kernelIfEEviiPT_lS3_lS3_S3_PiS2_S2_S2_,@function
_ZN9rocsolver6v33100L30stedc_mergeValues_Solve_kernelIfEEviiPT_lS3_lS3_S3_PiS2_S2_S2_: ; @_ZN9rocsolver6v33100L30stedc_mergeValues_Solve_kernelIfEEviiPT_lS3_lS3_S3_PiS2_S2_S2_
; %bb.0:
	s_clause 0x1
	s_load_b32 s3, s[0:1], 0x5c
	s_load_b32 s2, s[0:1], 0x4
	s_wait_kmcnt 0x0
	s_and_b32 s3, s3, 0xffff
	s_delay_alu instid0(SALU_CYCLE_1)
	v_mad_co_u64_u32 v[2:3], null, ttmp9, s3, v[0:1]
	s_mov_b32 s3, exec_lo
	v_cmpx_gt_i32_e64 s2, v2
	s_cbranch_execz .LBB21_194
; %bb.1:
	s_load_b64 s[6:7], s[0:1], 0x38
	s_mul_i32 s4, s2, ttmp7
	v_ashrrev_i32_e32 v3, 31, v2
	s_mul_i32 s10, s4, 13
	s_mul_i32 s8, s2, 6
	s_ashr_i32 s11, s10, 31
	s_ashr_i32 s9, s8, 31
	s_lshl_b64 s[10:11], s[10:11], 2
	v_lshlrev_b64_e32 v[0:1], 2, v[2:3]
	s_ashr_i32 s3, s2, 31
	s_lshl_b64 s[8:9], s[8:9], 2
	s_wait_kmcnt 0x0
	s_add_nc_u64 s[6:7], s[6:7], s[10:11]
	s_wait_alu 0xfffe
	s_lshl_b64 s[10:11], s[2:3], 2
	s_add_nc_u64 s[6:7], s[6:7], s[8:9]
	s_delay_alu instid0(SALU_CYCLE_1) | instskip(SKIP_1) | instid1(VALU_DEP_1)
	s_add_nc_u64 s[8:9], s[6:7], s[10:11]
	v_add_co_u32 v3, vcc_lo, s6, v0
	v_add_co_ci_u32_e64 v4, null, s7, v1, vcc_lo
	v_add_co_u32 v7, vcc_lo, s8, v0
	s_wait_alu 0xfffd
	v_add_co_ci_u32_e64 v8, null, s9, v1, vcc_lo
	s_clause 0x1
	global_load_b32 v6, v[3:4], off
	global_load_b32 v14, v[7:8], off
	s_wait_loadcnt 0x1
	v_sub_nc_u32_e32 v11, v2, v6
	s_wait_loadcnt 0x0
	s_delay_alu instid0(VALU_DEP_1)
	v_cmp_lt_i32_e32 vcc_lo, v11, v14
	s_and_b32 exec_lo, exec_lo, vcc_lo
	s_cbranch_execz .LBB21_194
; %bb.2:
	s_clause 0x1
	s_load_b128 s[8:11], s[0:1], 0x28
	s_load_b32 s7, s[0:1], 0x40
	v_mul_lo_u32 v2, v2, s2
	s_mul_i32 s12, s4, 10
	s_lshl_b32 s18, s2, 3
	s_mul_i32 s4, s4, s2
	s_ashr_i32 s13, s12, 31
	s_movk_i32 s14, 0xffe4
	s_mov_b32 s15, -1
	s_mul_i32 s0, s2, s2
	v_ashrrev_i32_e32 v3, 31, v2
	s_mov_b32 s1, 0
	s_ashr_i32 s19, s18, 31
	s_lshl_b32 s4, s4, 1
	s_lshl_b64 s[16:17], s[12:13], 2
	s_lshl_b64 s[22:23], s[2:3], 5
	s_mul_u64 s[2:3], s[2:3], s[14:15]
	s_wait_alu 0xfffe
	s_lshl_b64 s[14:15], s[0:1], 2
	s_lshl_b64 s[18:19], s[18:19], 2
	s_ashr_i32 s5, s4, 31
	s_wait_kmcnt 0x0
	s_add_nc_u64 s[0:1], s[8:9], s[16:17]
	s_lshl_b64 s[20:21], s[4:5], 2
	s_wait_alu 0xfffe
	s_add_nc_u64 s[0:1], s[0:1], s[18:19]
	v_lshlrev_b64_e32 v[18:19], 2, v[2:3]
	v_ashrrev_i32_e32 v12, 31, v11
	s_wait_alu 0xfffe
	s_add_nc_u64 s[12:13], s[0:1], s[2:3]
	s_add_nc_u64 s[2:3], s[10:11], s[20:21]
	;; [unrolled: 1-line block ×3, first 2 shown]
	s_wait_alu 0xfffe
	s_add_nc_u64 s[2:3], s[2:3], s[14:15]
	v_lshlrev_b64_e32 v[12:13], 2, v[11:12]
	s_wait_alu 0xfffe
	v_add_co_u32 v2, vcc_lo, s2, v18
	s_wait_alu 0xfffd
	v_add_co_ci_u32_e64 v3, null, s3, v19, vcc_lo
	v_add_co_u32 v7, vcc_lo, s4, v0
	s_wait_alu 0xfffd
	v_add_co_ci_u32_e64 v8, null, s5, v1, vcc_lo
	;; [unrolled: 3-line block ×3, first 2 shown]
	global_load_b32 v26, v[7:8], off
	global_load_b32 v27, v[4:5], off
	v_ashrrev_i32_e32 v7, 31, v6
	v_add_nc_u32_e32 v8, -1, v14
                                        ; implicit-def: $vgpr36
	s_delay_alu instid0(VALU_DEP_2) | instskip(NEXT) | instid1(VALU_DEP_1)
	v_lshlrev_b64_e32 v[20:21], 2, v[6:7]
	v_add_co_u32 v6, s0, s0, v20
	s_wait_alu 0xf1ff
	s_delay_alu instid0(VALU_DEP_2)
	v_add_co_ci_u32_e64 v7, null, s1, v21, s0
	s_mov_b32 s0, exec_lo
	v_cmpx_ne_u32_e64 v11, v8
	s_wait_alu 0xfffe
	s_xor_b32 s22, exec_lo, s0
	s_cbranch_execz .LBB21_122
; %bb.3:
	global_load_b32 v31, v[4:5], off offset:4
	s_mov_b32 s1, exec_lo
	s_wait_loadcnt 0x0
	v_dual_mov_b32 v22, 0 :: v_dual_add_f32 v9, v27, v31
	s_delay_alu instid0(VALU_DEP_1)
	v_mul_f32_e32 v23, 0.5, v9
	v_cmpx_lt_i32_e32 0, v11
	s_cbranch_execz .LBB21_7
; %bb.4:
	v_dual_mov_b32 v10, v7 :: v_dual_mov_b32 v15, v3
	v_dual_mov_b32 v22, 0 :: v_dual_mov_b32 v9, v6
	v_mov_b32_e32 v14, v2
	v_mov_b32_e32 v16, v11
	s_mov_b32 s2, 0
.LBB21_5:                               ; =>This Inner Loop Header: Depth=1
	global_load_b32 v17, v[14:15], off
	global_load_b32 v24, v[9:10], off
	v_add_nc_u32_e32 v16, -1, v16
	s_delay_alu instid0(VALU_DEP_1)
	v_cmp_eq_u32_e64 s0, 0, v16
	s_wait_alu 0xfffe
	s_or_b32 s2, s0, s2
	s_wait_loadcnt 0x1
	v_sub_f32_e32 v17, v17, v23
	s_wait_loadcnt 0x0
	s_delay_alu instid0(VALU_DEP_1) | instskip(SKIP_1) | instid1(VALU_DEP_2)
	v_div_scale_f32 v25, null, v17, v17, v24
	v_div_scale_f32 v30, vcc_lo, v24, v17, v24
	v_rcp_f32_e32 v28, v25
	s_delay_alu instid0(TRANS32_DEP_1) | instskip(NEXT) | instid1(VALU_DEP_1)
	v_fma_f32 v29, -v25, v28, 1.0
	v_fmac_f32_e32 v28, v29, v28
	s_delay_alu instid0(VALU_DEP_1) | instskip(NEXT) | instid1(VALU_DEP_1)
	v_mul_f32_e32 v29, v30, v28
	v_fma_f32 v32, -v25, v29, v30
	s_delay_alu instid0(VALU_DEP_1) | instskip(NEXT) | instid1(VALU_DEP_1)
	v_fmac_f32_e32 v29, v32, v28
	v_fma_f32 v25, -v25, v29, v30
	s_wait_alu 0xfffd
	s_delay_alu instid0(VALU_DEP_1) | instskip(SKIP_3) | instid1(VALU_DEP_3)
	v_div_fmas_f32 v25, v25, v28, v29
	v_add_co_u32 v14, vcc_lo, v14, 4
	s_wait_alu 0xfffd
	v_add_co_ci_u32_e64 v15, null, 0, v15, vcc_lo
	v_div_fixup_f32 v17, v25, v17, v24
	v_add_co_u32 v9, vcc_lo, v9, 4
	s_wait_alu 0xfffd
	v_add_co_ci_u32_e64 v10, null, 0, v10, vcc_lo
	s_delay_alu instid0(VALU_DEP_3)
	v_fmac_f32_e32 v22, v24, v17
	s_wait_alu 0xfffe
	s_and_not1_b32 exec_lo, exec_lo, s2
	s_cbranch_execnz .LBB21_5
; %bb.6:
	s_or_b32 exec_lo, exec_lo, s2
.LBB21_7:
	s_wait_alu 0xfffe
	s_or_b32 exec_lo, exec_lo, s1
	v_add_nc_u32_e32 v10, 1, v11
	v_mov_b32_e32 v24, 0
	v_ashrrev_i32_e32 v9, 31, v8
	s_mov_b32 s1, exec_lo
	s_delay_alu instid0(VALU_DEP_3)
	v_cmpx_gt_i32_e64 v8, v10
	s_cbranch_execz .LBB21_11
; %bb.8:
	s_delay_alu instid0(VALU_DEP_2)
	v_lshlrev_b64_e32 v[14:15], 2, v[8:9]
	v_add_co_u32 v16, vcc_lo, s20, v18
	s_wait_alu 0xfffd
	v_add_co_ci_u32_e64 v17, null, s21, v19, vcc_lo
	s_add_nc_u64 s[2:3], s[18:19], s[16:17]
	v_add_co_u32 v16, vcc_lo, v16, v14
	s_wait_alu 0xfffd
	v_add_co_ci_u32_e64 v17, null, v17, v15, vcc_lo
	s_wait_alu 0xfffe
	v_add_co_u32 v24, vcc_lo, s2, v20
	s_wait_alu 0xfffd
	v_add_co_ci_u32_e64 v25, null, s3, v21, vcc_lo
	s_add_nc_u64 s[2:3], s[10:11], s[14:15]
	v_add_co_u32 v24, vcc_lo, v24, v14
	s_wait_alu 0xfffd
	v_add_co_ci_u32_e64 v25, null, v25, v15, vcc_lo
	s_wait_alu 0xfffe
	v_add_co_u32 v14, vcc_lo, s2, v16
	s_wait_alu 0xfffd
	v_add_co_ci_u32_e64 v15, null, s3, v17, vcc_lo
	v_add_co_u32 v16, vcc_lo, s8, v24
	s_wait_alu 0xfffd
	v_add_co_ci_u32_e64 v17, null, s9, v25, vcc_lo
	v_dual_mov_b32 v24, 0 :: v_dual_mov_b32 v25, v8
	s_mov_b32 s2, 0
.LBB21_9:                               ; =>This Inner Loop Header: Depth=1
	global_load_b32 v28, v[14:15], off
	global_load_b32 v29, v[16:17], off
	v_add_nc_u32_e32 v25, -1, v25
	s_delay_alu instid0(VALU_DEP_1)
	v_cmp_le_i32_e64 s0, v25, v10
	s_wait_alu 0xfffe
	s_or_b32 s2, s0, s2
	s_wait_loadcnt 0x1
	v_sub_f32_e32 v28, v28, v23
	s_wait_loadcnt 0x0
	s_delay_alu instid0(VALU_DEP_1) | instskip(SKIP_1) | instid1(VALU_DEP_2)
	v_div_scale_f32 v30, null, v28, v28, v29
	v_div_scale_f32 v34, vcc_lo, v29, v28, v29
	v_rcp_f32_e32 v32, v30
	s_delay_alu instid0(TRANS32_DEP_1) | instskip(NEXT) | instid1(VALU_DEP_1)
	v_fma_f32 v33, -v30, v32, 1.0
	v_fmac_f32_e32 v32, v33, v32
	s_delay_alu instid0(VALU_DEP_1) | instskip(NEXT) | instid1(VALU_DEP_1)
	v_mul_f32_e32 v33, v34, v32
	v_fma_f32 v35, -v30, v33, v34
	s_delay_alu instid0(VALU_DEP_1) | instskip(NEXT) | instid1(VALU_DEP_1)
	v_fmac_f32_e32 v33, v35, v32
	v_fma_f32 v30, -v30, v33, v34
	s_wait_alu 0xfffd
	s_delay_alu instid0(VALU_DEP_1) | instskip(SKIP_3) | instid1(VALU_DEP_3)
	v_div_fmas_f32 v30, v30, v32, v33
	v_add_co_u32 v14, vcc_lo, v14, -4
	s_wait_alu 0xfffd
	v_add_co_ci_u32_e64 v15, null, -1, v15, vcc_lo
	v_div_fixup_f32 v28, v30, v28, v29
	v_add_co_u32 v16, vcc_lo, v16, -4
	s_wait_alu 0xfffd
	v_add_co_ci_u32_e64 v17, null, -1, v17, vcc_lo
	s_delay_alu instid0(VALU_DEP_3)
	v_fmac_f32_e32 v24, v29, v28
	s_wait_alu 0xfffe
	s_and_not1_b32 exec_lo, exec_lo, s2
	s_cbranch_execnz .LBB21_9
; %bb.10:
	s_or_b32 exec_lo, exec_lo, s2
.LBB21_11:
	s_wait_alu 0xfffe
	s_or_b32 exec_lo, exec_lo, s1
	v_add_co_u32 v12, vcc_lo, v6, v12
	s_wait_alu 0xfffd
	v_add_co_ci_u32_e64 v13, null, v7, v13, vcc_lo
                                        ; implicit-def: $vgpr36
	global_load_b64 v[15:16], v[12:13], off
	s_wait_loadcnt 0x0
	v_dual_mul_f32 v15, v15, v15 :: v_dual_and_b32 v14, 0x7fffffff, v26
	s_delay_alu instid0(VALU_DEP_1) | instskip(SKIP_1) | instid1(VALU_DEP_3)
	v_div_scale_f32 v17, null, v14, v14, 1.0
	v_div_scale_f32 v14, vcc_lo, 1.0, v14, 1.0
	v_fma_f32 v23, v16, v16, -v15
	s_delay_alu instid0(VALU_DEP_3) | instskip(NEXT) | instid1(VALU_DEP_1)
	v_rcp_f32_e32 v25, v17
	v_dual_mul_f32 v16, v16, v16 :: v_dual_add_f32 v23, v23, v23
	s_delay_alu instid0(TRANS32_DEP_1) | instskip(NEXT) | instid1(VALU_DEP_1)
	v_fma_f32 v29, -v17, v25, 1.0
	v_dual_sub_f32 v28, v31, v27 :: v_dual_fmac_f32 v25, v29, v25
	s_delay_alu instid0(VALU_DEP_1) | instskip(NEXT) | instid1(VALU_DEP_2)
	v_div_scale_f32 v30, null, v28, v28, v23
	v_mul_f32_e32 v29, v14, v25
	s_delay_alu instid0(VALU_DEP_2) | instskip(NEXT) | instid1(VALU_DEP_1)
	v_rcp_f32_e32 v32, v30
	v_fma_f32 v34, -v17, v29, v14
	s_delay_alu instid0(VALU_DEP_1) | instskip(NEXT) | instid1(TRANS32_DEP_1)
	v_fmac_f32_e32 v29, v34, v25
	v_fma_f32 v33, -v30, v32, 1.0
	s_delay_alu instid0(VALU_DEP_2) | instskip(NEXT) | instid1(VALU_DEP_2)
	v_fma_f32 v14, -v17, v29, v14
	v_fmac_f32_e32 v32, v33, v32
	v_div_scale_f32 v35, s0, v23, v28, v23
	s_wait_alu 0xfffd
	s_delay_alu instid0(VALU_DEP_3) | instskip(SKIP_1) | instid1(VALU_DEP_2)
	v_div_fmas_f32 v14, v14, v25, v29
	s_mov_b32 vcc_lo, s0
	v_mul_f32_e32 v33, v35, v32
	s_delay_alu instid0(VALU_DEP_2) | instskip(NEXT) | instid1(VALU_DEP_2)
	v_div_fixup_f32 v29, v14, |v26|, 1.0
	v_fma_f32 v17, -v30, v33, v35
	s_delay_alu instid0(VALU_DEP_1) | instskip(NEXT) | instid1(VALU_DEP_3)
	v_fmac_f32_e32 v33, v17, v32
	v_add_f32_e32 v17, v29, v22
	s_delay_alu instid0(VALU_DEP_2) | instskip(SKIP_1) | instid1(VALU_DEP_1)
	v_fma_f32 v14, -v30, v33, v35
	s_wait_alu 0xfffe
	v_div_fmas_f32 v22, v14, v32, v33
	s_delay_alu instid0(VALU_DEP_3) | instskip(NEXT) | instid1(VALU_DEP_2)
	v_add_f32_e32 v14, v17, v24
                                        ; implicit-def: $vgpr33
                                        ; implicit-def: $vgpr32
	v_div_fixup_f32 v17, v22, v28, v23
	s_delay_alu instid0(VALU_DEP_1) | instskip(NEXT) | instid1(VALU_DEP_1)
	v_add_f32_e32 v17, v14, v17
	v_cmp_lt_f32_e64 s0, 0, v17
	v_cmp_nlt_f32_e64 s1, 0, v17
	v_mul_f32_e32 v17, v28, v14
	s_and_saveexec_b32 s2, s1
	s_wait_alu 0xfffe
	s_xor_b32 s3, exec_lo, s2
	s_cbranch_execz .LBB21_17
; %bb.12:
	v_mul_f32_e32 v11, v28, v16
	v_sub_f32_e32 v15, v17, v15
                                        ; implicit-def: $vgpr33
	s_delay_alu instid0(VALU_DEP_2) | instskip(NEXT) | instid1(VALU_DEP_1)
	v_mul_f32_e32 v17, 4.0, v11
	v_dual_sub_f32 v15, v15, v16 :: v_dual_mul_f32 v16, v14, v17
	s_delay_alu instid0(VALU_DEP_1) | instskip(NEXT) | instid1(VALU_DEP_1)
	v_fmac_f32_e32 v16, v15, v15
	v_mul_f32_e64 v17, 0x4f800000, |v16|
	v_cmp_gt_f32_e64 vcc_lo, 0xf800000, |v16|
	s_wait_alu 0xfffd
	s_delay_alu instid0(VALU_DEP_1) | instskip(NEXT) | instid1(VALU_DEP_1)
	v_cndmask_b32_e64 v16, |v16|, v17, vcc_lo
	v_sqrt_f32_e32 v17, v16
	s_delay_alu instid0(TRANS32_DEP_1) | instskip(SKIP_1) | instid1(VALU_DEP_2)
	v_add_nc_u32_e32 v22, -1, v17
	v_add_nc_u32_e32 v23, 1, v17
	v_fma_f32 v24, -v22, v17, v16
	s_delay_alu instid0(VALU_DEP_2) | instskip(NEXT) | instid1(VALU_DEP_2)
	v_fma_f32 v25, -v23, v17, v16
	v_cmp_ge_f32_e64 s2, 0, v24
	s_wait_alu 0xf1ff
	s_delay_alu instid0(VALU_DEP_1) | instskip(NEXT) | instid1(VALU_DEP_3)
	v_cndmask_b32_e64 v17, v17, v22, s2
	v_cmp_lt_f32_e64 s2, 0, v25
	s_wait_alu 0xf1ff
	s_delay_alu instid0(VALU_DEP_1) | instskip(SKIP_1) | instid1(VALU_DEP_1)
	v_cndmask_b32_e64 v17, v17, v23, s2
	s_mov_b32 s2, exec_lo
	v_mul_f32_e32 v22, 0x37800000, v17
	s_delay_alu instid0(VALU_DEP_1) | instskip(SKIP_2) | instid1(VALU_DEP_2)
	v_cndmask_b32_e32 v17, v17, v22, vcc_lo
	v_cmp_class_f32_e64 vcc_lo, v16, 0x260
	s_wait_alu 0xfffd
	v_cndmask_b32_e32 v16, v17, v16, vcc_lo
	v_cmpx_ngt_f32_e32 0, v15
	s_wait_alu 0xfffe
	s_xor_b32 s2, exec_lo, s2
	s_cbranch_execz .LBB21_14
; %bb.13:
	v_dual_add_f32 v11, v15, v16 :: v_dual_add_f32 v14, v14, v14
	s_delay_alu instid0(VALU_DEP_1) | instskip(NEXT) | instid1(VALU_DEP_1)
	v_div_scale_f32 v15, null, v14, v14, -v11
	v_rcp_f32_e32 v16, v15
	s_delay_alu instid0(TRANS32_DEP_1) | instskip(NEXT) | instid1(VALU_DEP_1)
	v_fma_f32 v17, -v15, v16, 1.0
	v_fmac_f32_e32 v16, v17, v16
	v_div_scale_f32 v17, vcc_lo, -v11, v14, -v11
	s_delay_alu instid0(VALU_DEP_1) | instskip(NEXT) | instid1(VALU_DEP_1)
	v_mul_f32_e32 v22, v17, v16
	v_fma_f32 v23, -v15, v22, v17
	s_delay_alu instid0(VALU_DEP_1) | instskip(NEXT) | instid1(VALU_DEP_1)
	v_fmac_f32_e32 v22, v23, v16
	v_fma_f32 v15, -v15, v22, v17
	s_wait_alu 0xfffd
	s_delay_alu instid0(VALU_DEP_1) | instskip(NEXT) | instid1(VALU_DEP_1)
	v_div_fmas_f32 v15, v15, v16, v22
                                        ; implicit-def: $vgpr16
	v_div_fixup_f32 v33, v15, v14, -v11
                                        ; implicit-def: $vgpr11
                                        ; implicit-def: $vgpr15
.LBB21_14:
	s_wait_alu 0xfffe
	s_and_not1_saveexec_b32 s2, s2
	s_cbranch_execz .LBB21_16
; %bb.15:
	v_add_f32_e32 v11, v11, v11
	v_sub_f32_e32 v14, v15, v16
	s_delay_alu instid0(VALU_DEP_1) | instskip(NEXT) | instid1(VALU_DEP_1)
	v_div_scale_f32 v15, null, v14, v14, v11
	v_rcp_f32_e32 v16, v15
	s_delay_alu instid0(TRANS32_DEP_1) | instskip(NEXT) | instid1(VALU_DEP_1)
	v_fma_f32 v17, -v15, v16, 1.0
	v_fmac_f32_e32 v16, v17, v16
	v_div_scale_f32 v17, vcc_lo, v11, v14, v11
	s_delay_alu instid0(VALU_DEP_1) | instskip(NEXT) | instid1(VALU_DEP_1)
	v_mul_f32_e32 v22, v17, v16
	v_fma_f32 v23, -v15, v22, v17
	s_delay_alu instid0(VALU_DEP_1) | instskip(NEXT) | instid1(VALU_DEP_1)
	v_fmac_f32_e32 v22, v23, v16
	v_fma_f32 v15, -v15, v22, v17
	s_wait_alu 0xfffd
	s_delay_alu instid0(VALU_DEP_1) | instskip(NEXT) | instid1(VALU_DEP_1)
	v_div_fmas_f32 v15, v15, v16, v22
	v_div_fixup_f32 v33, v15, v14, v11
.LBB21_16:
	s_wait_alu 0xfffe
	s_or_b32 exec_lo, exec_lo, s2
	v_mul_f32_e32 v32, -0.5, v28
	s_delay_alu instid0(VALU_DEP_2)
	v_add_f32_e32 v36, v31, v33
                                        ; implicit-def: $vgpr17
                                        ; implicit-def: $vgpr15
                                        ; implicit-def: $vgpr16
                                        ; implicit-def: $vgpr14
                                        ; implicit-def: $vgpr11
.LBB21_17:
	s_wait_alu 0xfffe
	s_or_saveexec_b32 s3, s3
	v_mov_b32_e32 v34, 0
	v_mov_b32_e32 v30, v31
	s_wait_alu 0xfffe
	s_xor_b32 exec_lo, exec_lo, s3
	s_cbranch_execz .LBB21_23
; %bb.18:
	v_mul_f32_e32 v10, v28, v15
	v_add_f32_e32 v15, v17, v15
                                        ; implicit-def: $vgpr33
	s_delay_alu instid0(VALU_DEP_1) | instskip(NEXT) | instid1(VALU_DEP_3)
	v_add_f32_e32 v15, v15, v16
	v_mul_f32_e32 v17, -4.0, v10
	s_delay_alu instid0(VALU_DEP_1) | instskip(NEXT) | instid1(VALU_DEP_1)
	v_mul_f32_e32 v16, v14, v17
	v_fmac_f32_e32 v16, v15, v15
	s_delay_alu instid0(VALU_DEP_1) | instskip(SKIP_2) | instid1(VALU_DEP_1)
	v_mul_f32_e64 v17, 0x4f800000, |v16|
	v_cmp_gt_f32_e64 vcc_lo, 0xf800000, |v16|
	s_wait_alu 0xfffd
	v_cndmask_b32_e64 v16, |v16|, v17, vcc_lo
	s_delay_alu instid0(VALU_DEP_1) | instskip(NEXT) | instid1(TRANS32_DEP_1)
	v_sqrt_f32_e32 v17, v16
	v_add_nc_u32_e32 v22, -1, v17
	v_add_nc_u32_e32 v23, 1, v17
	s_delay_alu instid0(VALU_DEP_2) | instskip(NEXT) | instid1(VALU_DEP_2)
	v_fma_f32 v24, -v22, v17, v16
	v_fma_f32 v25, -v23, v17, v16
	s_delay_alu instid0(VALU_DEP_2) | instskip(SKIP_1) | instid1(VALU_DEP_1)
	v_cmp_ge_f32_e64 s2, 0, v24
	s_wait_alu 0xf1ff
	v_cndmask_b32_e64 v17, v17, v22, s2
	s_delay_alu instid0(VALU_DEP_3) | instskip(SKIP_1) | instid1(VALU_DEP_1)
	v_cmp_lt_f32_e64 s2, 0, v25
	s_wait_alu 0xf1ff
	v_cndmask_b32_e64 v17, v17, v23, s2
	s_mov_b32 s2, exec_lo
	s_delay_alu instid0(VALU_DEP_1) | instskip(NEXT) | instid1(VALU_DEP_1)
	v_mul_f32_e32 v22, 0x37800000, v17
	v_cndmask_b32_e32 v17, v17, v22, vcc_lo
	v_cmp_class_f32_e64 vcc_lo, v16, 0x260
	s_wait_alu 0xfffd
	s_delay_alu instid0(VALU_DEP_2)
	v_cndmask_b32_e32 v16, v17, v16, vcc_lo
	v_cmpx_nlt_f32_e32 0, v15
	s_wait_alu 0xfffe
	s_xor_b32 s2, exec_lo, s2
	s_cbranch_execz .LBB21_20
; %bb.19:
	v_sub_f32_e32 v10, v15, v16
	v_add_f32_e32 v14, v14, v14
	s_delay_alu instid0(VALU_DEP_1) | instskip(NEXT) | instid1(VALU_DEP_1)
	v_div_scale_f32 v15, null, v14, v14, v10
	v_rcp_f32_e32 v16, v15
	s_delay_alu instid0(TRANS32_DEP_1) | instskip(NEXT) | instid1(VALU_DEP_1)
	v_fma_f32 v17, -v15, v16, 1.0
	v_fmac_f32_e32 v16, v17, v16
	v_div_scale_f32 v17, vcc_lo, v10, v14, v10
	s_delay_alu instid0(VALU_DEP_1) | instskip(NEXT) | instid1(VALU_DEP_1)
	v_mul_f32_e32 v22, v17, v16
	v_fma_f32 v23, -v15, v22, v17
	s_delay_alu instid0(VALU_DEP_1) | instskip(NEXT) | instid1(VALU_DEP_1)
	v_fmac_f32_e32 v22, v23, v16
	v_fma_f32 v15, -v15, v22, v17
	s_wait_alu 0xfffd
	s_delay_alu instid0(VALU_DEP_1) | instskip(NEXT) | instid1(VALU_DEP_1)
	v_div_fmas_f32 v15, v15, v16, v22
                                        ; implicit-def: $vgpr16
	v_div_fixup_f32 v33, v15, v14, v10
                                        ; implicit-def: $vgpr10
                                        ; implicit-def: $vgpr15
.LBB21_20:
	s_wait_alu 0xfffe
	s_and_not1_saveexec_b32 s2, s2
	s_cbranch_execz .LBB21_22
; %bb.21:
	v_add_f32_e32 v10, v10, v10
	v_add_f32_e32 v14, v15, v16
	s_delay_alu instid0(VALU_DEP_1) | instskip(NEXT) | instid1(VALU_DEP_1)
	v_div_scale_f32 v15, null, v14, v14, v10
	v_rcp_f32_e32 v16, v15
	s_delay_alu instid0(TRANS32_DEP_1) | instskip(NEXT) | instid1(VALU_DEP_1)
	v_fma_f32 v17, -v15, v16, 1.0
	v_fmac_f32_e32 v16, v17, v16
	v_div_scale_f32 v17, vcc_lo, v10, v14, v10
	s_delay_alu instid0(VALU_DEP_1) | instskip(NEXT) | instid1(VALU_DEP_1)
	v_mul_f32_e32 v22, v17, v16
	v_fma_f32 v23, -v15, v22, v17
	s_delay_alu instid0(VALU_DEP_1) | instskip(NEXT) | instid1(VALU_DEP_1)
	v_fmac_f32_e32 v22, v23, v16
	v_fma_f32 v15, -v15, v22, v17
	s_wait_alu 0xfffd
	s_delay_alu instid0(VALU_DEP_1) | instskip(NEXT) | instid1(VALU_DEP_1)
	v_div_fmas_f32 v15, v15, v16, v22
	v_div_fixup_f32 v33, v15, v14, v10
.LBB21_22:
	s_wait_alu 0xfffe
	s_or_b32 exec_lo, exec_lo, s2
	v_mul_f32_e32 v34, 0.5, v28
	s_delay_alu instid0(VALU_DEP_2)
	v_add_f32_e32 v36, v27, v33
	v_mov_b32_e32 v32, 0
	v_mov_b32_e32 v10, v11
	;; [unrolled: 1-line block ×3, first 2 shown]
.LBB21_23:
	s_or_b32 exec_lo, exec_lo, s3
	s_delay_alu instid0(SALU_CYCLE_1) | instskip(NEXT) | instid1(VALU_DEP_2)
	s_mov_b32 s3, exec_lo
	v_cmpx_lt_i32_e32 -1, v10
	s_cbranch_execz .LBB21_26
; %bb.24:
	v_mov_b32_e32 v15, v3
	v_dual_mov_b32 v14, v2 :: v_dual_add_nc_u32 v11, 1, v10
	s_mov_b32 s4, 0
.LBB21_25:                              ; =>This Inner Loop Header: Depth=1
	global_load_b32 v16, v[14:15], off
	s_wait_loadcnt 0x0
	v_dual_sub_f32 v16, v16, v30 :: v_dual_add_nc_u32 v11, -1, v11
	s_delay_alu instid0(VALU_DEP_1)
	v_cmp_eq_u32_e32 vcc_lo, 0, v11
	global_store_b32 v[14:15], v16, off
	v_add_co_u32 v14, s2, v14, 4
	s_wait_alu 0xf1ff
	v_add_co_ci_u32_e64 v15, null, 0, v15, s2
	s_wait_alu 0xfffe
	s_or_b32 s4, vcc_lo, s4
	s_wait_alu 0xfffe
	s_and_not1_b32 exec_lo, exec_lo, s4
	s_cbranch_execnz .LBB21_25
.LBB21_26:
	s_wait_alu 0xfffe
	s_or_b32 exec_lo, exec_lo, s3
	v_cmp_le_i32_e64 s4, v8, v10
	v_cmp_gt_i32_e64 s2, v8, v10
	s_and_saveexec_b32 s5, s2
	s_cbranch_execz .LBB21_29
; %bb.27:
	v_lshlrev_b64_e32 v[14:15], 2, v[8:9]
	v_add_co_u32 v11, vcc_lo, s20, v18
	s_wait_alu 0xfffd
	v_add_co_ci_u32_e64 v16, null, s21, v19, vcc_lo
	s_add_nc_u64 s[24:25], s[10:11], s[14:15]
	v_add_co_u32 v11, vcc_lo, v11, v14
	s_wait_alu 0xfffd
	v_add_co_ci_u32_e64 v15, null, v16, v15, vcc_lo
	s_mov_b32 s6, 0
	v_add_co_u32 v14, vcc_lo, s24, v11
	s_wait_alu 0xfffd
	v_add_co_ci_u32_e64 v15, null, s25, v15, vcc_lo
	v_mov_b32_e32 v11, v8
.LBB21_28:                              ; =>This Inner Loop Header: Depth=1
	global_load_b32 v16, v[14:15], off
	s_wait_loadcnt 0x0
	v_dual_sub_f32 v16, v16, v30 :: v_dual_add_nc_u32 v11, -1, v11
	s_delay_alu instid0(VALU_DEP_1)
	v_cmp_le_i32_e32 vcc_lo, v11, v10
	global_store_b32 v[14:15], v16, off
	v_add_co_u32 v14, s3, v14, -4
	s_wait_alu 0xf1ff
	v_add_co_ci_u32_e64 v15, null, -1, v15, s3
	s_wait_alu 0xfffe
	s_or_b32 s6, vcc_lo, s6
	s_wait_alu 0xfffe
	s_and_not1_b32 exec_lo, exec_lo, s6
	s_cbranch_execnz .LBB21_28
.LBB21_29:
	s_wait_alu 0xfffe
	s_or_b32 exec_lo, exec_lo, s5
	v_ashrrev_i32_e32 v11, 31, v10
	v_cmp_lt_i32_e64 s3, 0, v10
	v_dual_mov_b32 v35, 0 :: v_dual_mov_b32 v38, 0
	v_mov_b32_e32 v37, 0
	s_delay_alu instid0(VALU_DEP_4) | instskip(SKIP_1) | instid1(VALU_DEP_1)
	v_lshlrev_b64_e32 v[16:17], 2, v[10:11]
	s_mov_b32 s23, 0
	v_add_co_u32 v14, vcc_lo, v2, v16
	s_wait_alu 0xfffd
	s_delay_alu instid0(VALU_DEP_2)
	v_add_co_ci_u32_e64 v15, null, v3, v17, vcc_lo
	global_load_b32 v11, v[14:15], off
	s_wait_loadcnt 0x0
	v_sub_f32_e32 v11, v11, v33
	global_store_b32 v[14:15], v11, off
	s_and_saveexec_b32 s6, s3
	s_cbranch_execz .LBB21_33
; %bb.30:
	v_mov_b32_e32 v23, v7
	v_dual_mov_b32 v25, v3 :: v_dual_mov_b32 v38, v10
	v_dual_mov_b32 v35, 0 :: v_dual_mov_b32 v22, v6
	;; [unrolled: 1-line block ×3, first 2 shown]
	v_mov_b32_e32 v37, 0
.LBB21_31:                              ; =>This Inner Loop Header: Depth=1
	global_load_b32 v39, v[24:25], off
	s_wait_loadcnt 0x0
	v_dual_sub_f32 v39, v39, v33 :: v_dual_add_nc_u32 v38, -1, v38
	global_store_b32 v[24:25], v39, off
	global_load_b32 v40, v[22:23], off
	v_add_co_u32 v24, s5, v24, 4
	s_wait_alu 0xf1ff
	v_add_co_ci_u32_e64 v25, null, 0, v25, s5
	v_add_co_u32 v22, s5, v22, 4
	s_wait_alu 0xf1ff
	v_add_co_ci_u32_e64 v23, null, 0, v23, s5
	s_wait_loadcnt 0x0
	v_div_scale_f32 v41, null, v39, v39, v40
	v_div_scale_f32 v44, vcc_lo, v40, v39, v40
	s_delay_alu instid0(VALU_DEP_2) | instskip(NEXT) | instid1(TRANS32_DEP_1)
	v_rcp_f32_e32 v42, v41
	v_fma_f32 v43, -v41, v42, 1.0
	s_delay_alu instid0(VALU_DEP_1) | instskip(NEXT) | instid1(VALU_DEP_1)
	v_fmac_f32_e32 v42, v43, v42
	v_mul_f32_e32 v43, v44, v42
	s_delay_alu instid0(VALU_DEP_1) | instskip(NEXT) | instid1(VALU_DEP_1)
	v_fma_f32 v45, -v41, v43, v44
	v_fmac_f32_e32 v43, v45, v42
	s_delay_alu instid0(VALU_DEP_1) | instskip(SKIP_1) | instid1(VALU_DEP_1)
	v_fma_f32 v41, -v41, v43, v44
	s_wait_alu 0xfffd
	v_div_fmas_f32 v41, v41, v42, v43
	v_cmp_eq_u32_e32 vcc_lo, 0, v38
	s_delay_alu instid0(VALU_DEP_2) | instskip(SKIP_1) | instid1(VALU_DEP_1)
	v_div_fixup_f32 v39, v41, v39, v40
	s_or_b32 s23, vcc_lo, s23
	v_fmac_f32_e32 v37, v40, v39
	v_fmac_f32_e32 v35, v39, v39
	s_delay_alu instid0(VALU_DEP_2)
	v_add_f32_e32 v11, v11, v37
	s_and_not1_b32 exec_lo, exec_lo, s23
	s_cbranch_execnz .LBB21_31
; %bb.32:
	s_or_b32 exec_lo, exec_lo, s23
	s_delay_alu instid0(VALU_DEP_1)
	v_and_b32_e32 v38, 0x7fffffff, v11
.LBB21_33:
	s_wait_alu 0xfffe
	s_or_b32 exec_lo, exec_lo, s6
	v_dual_mov_b32 v39, 0 :: v_dual_mov_b32 v40, 0
	s_and_saveexec_b32 s6, s2
	s_cbranch_execz .LBB21_37
; %bb.34:
	v_lshlrev_b64_e32 v[22:23], 2, v[8:9]
	v_add_co_u32 v11, vcc_lo, s20, v18
	s_wait_alu 0xfffd
	v_add_co_ci_u32_e64 v24, null, s21, v19, vcc_lo
	s_add_nc_u64 s[24:25], s[18:19], s[16:17]
	v_add_co_u32 v11, vcc_lo, v11, v22
	s_wait_alu 0xfffd
	v_add_co_ci_u32_e64 v24, null, v24, v23, vcc_lo
	s_wait_alu 0xfffe
	v_add_co_u32 v25, vcc_lo, s24, v20
	s_wait_alu 0xfffd
	v_add_co_ci_u32_e64 v39, null, s25, v21, vcc_lo
	s_add_nc_u64 s[24:25], s[10:11], s[14:15]
	v_add_co_u32 v25, vcc_lo, v25, v22
	s_wait_alu 0xfffd
	v_add_co_ci_u32_e64 v39, null, v39, v23, vcc_lo
	s_wait_alu 0xfffe
	v_add_co_u32 v22, vcc_lo, s24, v11
	s_wait_alu 0xfffd
	v_add_co_ci_u32_e64 v23, null, s25, v24, vcc_lo
	v_add_co_u32 v24, vcc_lo, s8, v25
	s_wait_alu 0xfffd
	v_add_co_ci_u32_e64 v25, null, s9, v39, vcc_lo
	v_dual_mov_b32 v39, 0 :: v_dual_mov_b32 v40, 0
	v_mov_b32_e32 v11, v8
	s_mov_b32 s23, 0
.LBB21_35:                              ; =>This Inner Loop Header: Depth=1
	global_load_b32 v41, v[22:23], off
	v_add_nc_u32_e32 v11, -1, v11
	s_wait_loadcnt 0x0
	v_sub_f32_e32 v41, v41, v33
	global_store_b32 v[22:23], v41, off
	global_load_b32 v42, v[24:25], off
	v_add_co_u32 v22, s5, v22, -4
	s_wait_alu 0xf1ff
	v_add_co_ci_u32_e64 v23, null, -1, v23, s5
	v_add_co_u32 v24, s5, v24, -4
	s_wait_alu 0xf1ff
	v_add_co_ci_u32_e64 v25, null, -1, v25, s5
	s_wait_loadcnt 0x0
	v_div_scale_f32 v43, null, v41, v41, v42
	v_div_scale_f32 v46, vcc_lo, v42, v41, v42
	s_delay_alu instid0(VALU_DEP_2) | instskip(NEXT) | instid1(TRANS32_DEP_1)
	v_rcp_f32_e32 v44, v43
	v_fma_f32 v45, -v43, v44, 1.0
	s_delay_alu instid0(VALU_DEP_1) | instskip(NEXT) | instid1(VALU_DEP_1)
	v_fmac_f32_e32 v44, v45, v44
	v_mul_f32_e32 v45, v46, v44
	s_delay_alu instid0(VALU_DEP_1) | instskip(NEXT) | instid1(VALU_DEP_1)
	v_fma_f32 v47, -v43, v45, v46
	v_fmac_f32_e32 v45, v47, v44
	s_delay_alu instid0(VALU_DEP_1) | instskip(SKIP_1) | instid1(VALU_DEP_1)
	v_fma_f32 v43, -v43, v45, v46
	s_wait_alu 0xfffd
	v_div_fmas_f32 v43, v43, v44, v45
	v_cmp_le_i32_e32 vcc_lo, v11, v10
	s_delay_alu instid0(VALU_DEP_2) | instskip(SKIP_1) | instid1(VALU_DEP_1)
	v_div_fixup_f32 v41, v43, v41, v42
	s_or_b32 s23, vcc_lo, s23
	v_fmac_f32_e32 v40, v42, v41
	s_delay_alu instid0(VALU_DEP_1)
	v_dual_fmac_f32 v39, v41, v41 :: v_dual_add_f32 v38, v38, v40
	s_and_not1_b32 exec_lo, exec_lo, s23
	s_cbranch_execnz .LBB21_35
; %bb.36:
	s_or_b32 exec_lo, exec_lo, s23
.LBB21_37:
	s_wait_alu 0xfffe
	s_or_b32 exec_lo, exec_lo, s6
	v_add_co_u32 v16, vcc_lo, v6, v16
	s_wait_alu 0xfffd
	v_add_co_ci_u32_e64 v17, null, v7, v17, vcc_lo
	v_add_f32_e32 v39, v35, v39
	s_mov_b32 s23, exec_lo
	global_load_b32 v24, v[14:15], off
	global_load_b32 v22, v[16:17], off
	s_wait_loadcnt 0x0
	v_div_scale_f32 v11, null, v24, v24, v22
	v_div_scale_f32 v41, vcc_lo, v22, v24, v22
	s_delay_alu instid0(VALU_DEP_2) | instskip(NEXT) | instid1(TRANS32_DEP_1)
	v_rcp_f32_e32 v23, v11
	v_fma_f32 v25, -v11, v23, 1.0
	s_delay_alu instid0(VALU_DEP_1) | instskip(NEXT) | instid1(VALU_DEP_1)
	v_fmac_f32_e32 v23, v25, v23
	v_mul_f32_e32 v25, v41, v23
	s_delay_alu instid0(VALU_DEP_1) | instskip(NEXT) | instid1(VALU_DEP_1)
	v_fma_f32 v42, -v11, v25, v41
	v_fmac_f32_e32 v25, v42, v23
	s_delay_alu instid0(VALU_DEP_1) | instskip(SKIP_1) | instid1(VALU_DEP_1)
	v_fma_f32 v11, -v11, v25, v41
	s_wait_alu 0xfffd
	v_div_fmas_f32 v11, v11, v23, v25
	v_sub_f32_e32 v23, v40, v37
	s_delay_alu instid0(VALU_DEP_2) | instskip(SKIP_1) | instid1(VALU_DEP_2)
	v_div_fixup_f32 v41, v11, v24, v22
	v_add_f32_e32 v11, v29, v29
	v_mul_f32_e32 v35, v22, v41
	s_delay_alu instid0(VALU_DEP_2) | instskip(SKIP_1) | instid1(VALU_DEP_2)
	v_fmamk_f32 v23, v23, 0x41000000, v11
	v_fma_f32 v25, v41, v41, v39
	v_fma_f32 v23, 0x40400000, |v35|, v23
	v_add_f32_e32 v35, v29, v37
	s_delay_alu instid0(VALU_DEP_2) | instskip(NEXT) | instid1(VALU_DEP_2)
	v_fma_f32 v23, |v33|, v25, v23
	v_add_f32_e32 v35, v35, v40
	s_delay_alu instid0(VALU_DEP_2) | instskip(NEXT) | instid1(VALU_DEP_1)
	v_add_f32_e32 v23, v38, v23
	v_dual_fmac_f32 v35, v22, v41 :: v_dual_mul_f32 v22, s7, v23
	s_delay_alu instid0(VALU_DEP_1)
	v_cmpx_nle_f32_e64 |v35|, v22
	s_cbranch_execz .LBB21_121
; %bb.38:
	global_load_b64 v[22:23], v[4:5], off
                                        ; implicit-def: $vgpr37
	s_and_saveexec_b32 s5, s1
	s_wait_alu 0xfffe
	s_xor_b32 s5, exec_lo, s5
	s_cbranch_execz .LBB21_40
; %bb.39:
	global_load_b32 v36, v[12:13], off offset:4
	s_wait_loadcnt 0x0
	v_mul_f32_e32 v37, v28, v36
	s_delay_alu instid0(VALU_DEP_1) | instskip(NEXT) | instid1(VALU_DEP_1)
	v_mul_f32_e32 v36, v36, v37
	v_div_scale_f32 v37, null, v23, v23, v36
	v_div_scale_f32 v41, vcc_lo, v36, v23, v36
	s_delay_alu instid0(VALU_DEP_2) | instskip(NEXT) | instid1(TRANS32_DEP_1)
	v_rcp_f32_e32 v38, v37
	v_fma_f32 v40, -v37, v38, 1.0
	s_delay_alu instid0(VALU_DEP_1) | instskip(NEXT) | instid1(VALU_DEP_1)
	v_fmac_f32_e32 v38, v40, v38
	v_mul_f32_e32 v40, v41, v38
	s_delay_alu instid0(VALU_DEP_1) | instskip(NEXT) | instid1(VALU_DEP_1)
	v_fma_f32 v42, -v37, v40, v41
	v_fmac_f32_e32 v40, v42, v38
	s_delay_alu instid0(VALU_DEP_1) | instskip(SKIP_1) | instid1(VALU_DEP_1)
	v_fma_f32 v37, -v37, v40, v41
	s_wait_alu 0xfffd
	v_div_fmas_f32 v37, v37, v38, v40
	s_delay_alu instid0(VALU_DEP_1) | instskip(NEXT) | instid1(VALU_DEP_1)
	v_div_fixup_f32 v36, v37, v23, v36
	v_div_scale_f32 v37, null, v23, v23, v36
	s_delay_alu instid0(VALU_DEP_1) | instskip(NEXT) | instid1(TRANS32_DEP_1)
	v_rcp_f32_e32 v38, v37
	v_fma_f32 v40, -v37, v38, 1.0
	s_delay_alu instid0(VALU_DEP_1) | instskip(SKIP_1) | instid1(VALU_DEP_1)
	v_fmac_f32_e32 v38, v40, v38
	v_div_scale_f32 v40, vcc_lo, v36, v23, v36
	v_mul_f32_e32 v41, v40, v38
	s_delay_alu instid0(VALU_DEP_1) | instskip(NEXT) | instid1(VALU_DEP_1)
	v_fma_f32 v42, -v37, v41, v40
	v_fmac_f32_e32 v41, v42, v38
	s_delay_alu instid0(VALU_DEP_1) | instskip(SKIP_1) | instid1(VALU_DEP_1)
	v_fma_f32 v37, -v37, v41, v40
	s_wait_alu 0xfffd
	v_div_fmas_f32 v37, v37, v38, v41
	v_fma_f32 v38, -v25, v22, v35
	s_delay_alu instid0(VALU_DEP_2) | instskip(NEXT) | instid1(VALU_DEP_1)
	v_div_fixup_f32 v36, v37, v23, v36
	v_sub_f32_e32 v37, v38, v36
.LBB21_40:
	s_wait_alu 0xfffe
	s_or_saveexec_b32 s5, s5
	v_sub_f32_e32 v27, v27, v31
	s_wait_alu 0xfffe
	s_xor_b32 exec_lo, exec_lo, s5
	s_cbranch_execz .LBB21_42
; %bb.41:
	global_load_b32 v31, v[12:13], off
	s_wait_loadcnt 0x0
	v_mul_f32_e32 v36, v27, v31
	s_delay_alu instid0(VALU_DEP_1) | instskip(NEXT) | instid1(VALU_DEP_1)
	v_mul_f32_e32 v31, v31, v36
	v_div_scale_f32 v36, null, v22, v22, v31
	v_div_scale_f32 v40, vcc_lo, v31, v22, v31
	s_delay_alu instid0(VALU_DEP_2) | instskip(NEXT) | instid1(TRANS32_DEP_1)
	v_rcp_f32_e32 v37, v36
	v_fma_f32 v38, -v36, v37, 1.0
	s_delay_alu instid0(VALU_DEP_1) | instskip(NEXT) | instid1(VALU_DEP_1)
	v_fmac_f32_e32 v37, v38, v37
	v_mul_f32_e32 v38, v40, v37
	s_delay_alu instid0(VALU_DEP_1) | instskip(NEXT) | instid1(VALU_DEP_1)
	v_fma_f32 v41, -v36, v38, v40
	v_fmac_f32_e32 v38, v41, v37
	s_delay_alu instid0(VALU_DEP_1) | instskip(SKIP_1) | instid1(VALU_DEP_1)
	v_fma_f32 v36, -v36, v38, v40
	s_wait_alu 0xfffd
	v_div_fmas_f32 v36, v36, v37, v38
	s_delay_alu instid0(VALU_DEP_1) | instskip(NEXT) | instid1(VALU_DEP_1)
	v_div_fixup_f32 v31, v36, v22, v31
	v_div_scale_f32 v36, null, v22, v22, v31
	s_delay_alu instid0(VALU_DEP_1) | instskip(NEXT) | instid1(TRANS32_DEP_1)
	v_rcp_f32_e32 v37, v36
	v_fma_f32 v38, -v36, v37, 1.0
	s_delay_alu instid0(VALU_DEP_1) | instskip(SKIP_1) | instid1(VALU_DEP_1)
	v_fmac_f32_e32 v37, v38, v37
	v_div_scale_f32 v38, vcc_lo, v31, v22, v31
	v_mul_f32_e32 v40, v38, v37
	s_delay_alu instid0(VALU_DEP_1) | instskip(NEXT) | instid1(VALU_DEP_1)
	v_fma_f32 v41, -v36, v40, v38
	v_fmac_f32_e32 v40, v41, v37
	s_delay_alu instid0(VALU_DEP_1) | instskip(SKIP_1) | instid1(VALU_DEP_1)
	v_fma_f32 v36, -v36, v40, v38
	s_wait_alu 0xfffd
	v_div_fmas_f32 v36, v36, v37, v40
	v_fma_f32 v37, -v25, v23, v35
	s_delay_alu instid0(VALU_DEP_2) | instskip(NEXT) | instid1(VALU_DEP_1)
	v_div_fixup_f32 v31, v36, v22, v31
	v_sub_f32_e32 v37, v37, v31
.LBB21_42:
	s_or_b32 exec_lo, exec_lo, s5
	s_wait_loadcnt 0x0
	v_mul_f32_e32 v31, v22, v23
	v_add_f32_e32 v36, v22, v23
	s_mov_b32 s5, exec_lo
	s_delay_alu instid0(VALU_DEP_2) | instskip(SKIP_1) | instid1(VALU_DEP_2)
	v_mul_f32_e32 v38, v25, v31
	v_mul_f32_e32 v31, v35, v31
	v_fma_f32 v36, v35, v36, -v38
                                        ; implicit-def: $vgpr38
	v_cmpx_neq_f32_e32 0, v37
	s_wait_alu 0xfffe
	s_xor_b32 s6, exec_lo, s5
	s_cbranch_execz .LBB21_48
; %bb.43:
	v_mul_f32_e32 v22, -4.0, v31
	s_delay_alu instid0(VALU_DEP_1) | instskip(NEXT) | instid1(VALU_DEP_1)
	v_mul_f32_e32 v22, v22, v37
	v_fmac_f32_e32 v22, v36, v36
	s_delay_alu instid0(VALU_DEP_1) | instskip(SKIP_2) | instid1(VALU_DEP_1)
	v_mul_f32_e64 v23, 0x4f800000, |v22|
	v_cmp_gt_f32_e64 vcc_lo, 0xf800000, |v22|
	s_wait_alu 0xfffd
	v_cndmask_b32_e64 v22, |v22|, v23, vcc_lo
	s_delay_alu instid0(VALU_DEP_1) | instskip(NEXT) | instid1(TRANS32_DEP_1)
	v_sqrt_f32_e32 v23, v22
	v_add_nc_u32_e32 v38, -1, v23
	v_add_nc_u32_e32 v39, 1, v23
	s_delay_alu instid0(VALU_DEP_2) | instskip(NEXT) | instid1(VALU_DEP_2)
	v_fma_f32 v40, -v38, v23, v22
	v_fma_f32 v41, -v39, v23, v22
	s_delay_alu instid0(VALU_DEP_2) | instskip(SKIP_1) | instid1(VALU_DEP_1)
	v_cmp_ge_f32_e64 s5, 0, v40
	s_wait_alu 0xf1ff
	v_cndmask_b32_e64 v23, v23, v38, s5
	s_delay_alu instid0(VALU_DEP_3) | instskip(SKIP_1) | instid1(VALU_DEP_1)
	v_cmp_lt_f32_e64 s5, 0, v41
	s_wait_alu 0xf1ff
	v_cndmask_b32_e64 v23, v23, v39, s5
	s_mov_b32 s5, exec_lo
	s_delay_alu instid0(VALU_DEP_1) | instskip(NEXT) | instid1(VALU_DEP_1)
	v_mul_f32_e32 v38, 0x37800000, v23
	v_cndmask_b32_e32 v23, v23, v38, vcc_lo
	v_cmp_class_f32_e64 vcc_lo, v22, 0x260
                                        ; implicit-def: $vgpr38
	s_wait_alu 0xfffd
	s_delay_alu instid0(VALU_DEP_2)
	v_cndmask_b32_e32 v22, v23, v22, vcc_lo
	v_cmpx_ge_f32_e32 0, v36
	s_wait_alu 0xfffe
	s_xor_b32 s5, exec_lo, s5
	s_cbranch_execz .LBB21_45
; %bb.44:
	v_dual_sub_f32 v22, v36, v22 :: v_dual_add_f32 v23, v37, v37
	s_delay_alu instid0(VALU_DEP_1) | instskip(NEXT) | instid1(VALU_DEP_1)
	v_div_scale_f32 v31, null, v23, v23, v22
	v_rcp_f32_e32 v36, v31
	s_delay_alu instid0(TRANS32_DEP_1) | instskip(NEXT) | instid1(VALU_DEP_1)
	v_fma_f32 v37, -v31, v36, 1.0
	v_fmac_f32_e32 v36, v37, v36
	v_div_scale_f32 v37, vcc_lo, v22, v23, v22
	s_delay_alu instid0(VALU_DEP_1) | instskip(NEXT) | instid1(VALU_DEP_1)
	v_mul_f32_e32 v38, v37, v36
	v_fma_f32 v39, -v31, v38, v37
	s_delay_alu instid0(VALU_DEP_1) | instskip(NEXT) | instid1(VALU_DEP_1)
	v_fmac_f32_e32 v38, v39, v36
	v_fma_f32 v31, -v31, v38, v37
	s_wait_alu 0xfffd
	s_delay_alu instid0(VALU_DEP_1) | instskip(NEXT) | instid1(VALU_DEP_1)
	v_div_fmas_f32 v31, v31, v36, v38
                                        ; implicit-def: $vgpr36
	v_div_fixup_f32 v38, v31, v23, v22
                                        ; implicit-def: $vgpr31
                                        ; implicit-def: $vgpr22
.LBB21_45:
	s_wait_alu 0xfffe
	s_and_not1_saveexec_b32 s5, s5
	s_cbranch_execz .LBB21_47
; %bb.46:
	v_dual_add_f32 v23, v31, v31 :: v_dual_add_f32 v22, v36, v22
	s_delay_alu instid0(VALU_DEP_1) | instskip(NEXT) | instid1(VALU_DEP_1)
	v_div_scale_f32 v31, null, v22, v22, v23
	v_rcp_f32_e32 v36, v31
	s_delay_alu instid0(TRANS32_DEP_1) | instskip(NEXT) | instid1(VALU_DEP_1)
	v_fma_f32 v37, -v31, v36, 1.0
	v_fmac_f32_e32 v36, v37, v36
	v_div_scale_f32 v37, vcc_lo, v23, v22, v23
	s_delay_alu instid0(VALU_DEP_1) | instskip(NEXT) | instid1(VALU_DEP_1)
	v_mul_f32_e32 v38, v37, v36
	v_fma_f32 v39, -v31, v38, v37
	s_delay_alu instid0(VALU_DEP_1) | instskip(NEXT) | instid1(VALU_DEP_1)
	v_fmac_f32_e32 v38, v39, v36
	v_fma_f32 v31, -v31, v38, v37
	s_wait_alu 0xfffd
	s_delay_alu instid0(VALU_DEP_1) | instskip(NEXT) | instid1(VALU_DEP_1)
	v_div_fmas_f32 v31, v31, v36, v38
	v_div_fixup_f32 v38, v31, v22, v23
.LBB21_47:
	s_wait_alu 0xfffe
	s_or_b32 exec_lo, exec_lo, s5
                                        ; implicit-def: $vgpr36
                                        ; implicit-def: $vgpr31
                                        ; implicit-def: $vgpr22_vgpr23
                                        ; implicit-def: $vgpr39
.LBB21_48:
	s_wait_alu 0xfffe
	s_and_not1_saveexec_b32 s5, s6
	s_cbranch_execz .LBB21_56
; %bb.49:
	s_mov_b32 s6, exec_lo
	v_cmpx_eq_f32_e32 0, v36
	s_cbranch_execz .LBB21_55
; %bb.50:
                                        ; implicit-def: $vgpr36
	s_and_saveexec_b32 s24, s1
	s_wait_alu 0xfffe
	s_xor_b32 s24, exec_lo, s24
	s_cbranch_execz .LBB21_52
; %bb.51:
	global_load_b32 v23, v[12:13], off offset:4
	v_mul_f32_e32 v22, v22, v22
	s_wait_loadcnt 0x0
	v_mul_f32_e32 v36, v23, v23
	s_delay_alu instid0(VALU_DEP_1)
	v_fmac_f32_e32 v36, v39, v22
                                        ; implicit-def: $vgpr22_vgpr23
                                        ; implicit-def: $vgpr39
.LBB21_52:
	s_wait_alu 0xfffe
	s_and_not1_saveexec_b32 s24, s24
	s_cbranch_execz .LBB21_54
; %bb.53:
	global_load_b32 v22, v[12:13], off
	s_wait_loadcnt 0x0
	v_mul_f32_e32 v36, v22, v22
	v_mul_f32_e32 v22, v23, v23
	s_delay_alu instid0(VALU_DEP_1)
	v_fmac_f32_e32 v36, v39, v22
.LBB21_54:
	s_wait_alu 0xfffe
	s_or_b32 exec_lo, exec_lo, s24
.LBB21_55:
	s_wait_alu 0xfffe
	s_or_b32 exec_lo, exec_lo, s6
	v_div_scale_f32 v22, null, v36, v36, v31
	s_delay_alu instid0(VALU_DEP_1) | instskip(NEXT) | instid1(TRANS32_DEP_1)
	v_rcp_f32_e32 v23, v22
	v_fma_f32 v37, -v22, v23, 1.0
	s_delay_alu instid0(VALU_DEP_1) | instskip(SKIP_1) | instid1(VALU_DEP_1)
	v_fmac_f32_e32 v23, v37, v23
	v_div_scale_f32 v37, vcc_lo, v31, v36, v31
	v_mul_f32_e32 v38, v37, v23
	s_delay_alu instid0(VALU_DEP_1) | instskip(NEXT) | instid1(VALU_DEP_1)
	v_fma_f32 v39, -v22, v38, v37
	v_fmac_f32_e32 v38, v39, v23
	s_delay_alu instid0(VALU_DEP_1) | instskip(SKIP_1) | instid1(VALU_DEP_1)
	v_fma_f32 v22, -v22, v38, v37
	s_wait_alu 0xfffd
	v_div_fmas_f32 v22, v22, v23, v38
	s_delay_alu instid0(VALU_DEP_1)
	v_div_fixup_f32 v38, v22, v36, v31
.LBB21_56:
	s_wait_alu 0xfffe
	s_or_b32 exec_lo, exec_lo, s5
	s_delay_alu instid0(VALU_DEP_1) | instskip(SKIP_1) | instid1(VALU_DEP_1)
	v_mul_f32_e32 v22, v35, v38
	s_mov_b32 s5, exec_lo
	v_cmpx_le_f32_e32 0, v22
	s_cbranch_execz .LBB21_58
; %bb.57:
	v_div_scale_f32 v22, null, v25, v25, -v35
	s_delay_alu instid0(VALU_DEP_1) | instskip(NEXT) | instid1(TRANS32_DEP_1)
	v_rcp_f32_e32 v23, v22
	v_fma_f32 v31, -v22, v23, 1.0
	s_delay_alu instid0(VALU_DEP_1) | instskip(SKIP_1) | instid1(VALU_DEP_1)
	v_fmac_f32_e32 v23, v31, v23
	v_div_scale_f32 v31, vcc_lo, -v35, v25, -v35
	v_mul_f32_e32 v36, v31, v23
	s_delay_alu instid0(VALU_DEP_1) | instskip(NEXT) | instid1(VALU_DEP_1)
	v_fma_f32 v37, -v22, v36, v31
	v_fmac_f32_e32 v36, v37, v23
	s_delay_alu instid0(VALU_DEP_1) | instskip(SKIP_1) | instid1(VALU_DEP_1)
	v_fma_f32 v22, -v22, v36, v31
	s_wait_alu 0xfffd
	v_div_fmas_f32 v22, v22, v23, v36
	s_delay_alu instid0(VALU_DEP_1)
	v_div_fixup_f32 v38, v22, v25, -v35
.LBB21_58:
	s_wait_alu 0xfffe
	s_or_b32 exec_lo, exec_lo, s5
	v_cmp_lt_f32_e32 vcc_lo, 0, v35
	v_cmp_lt_f32_e64 s5, v33, v34
	v_cmp_lt_f32_e64 s6, v32, v33
	s_and_b32 vcc_lo, vcc_lo, s5
	v_cndmask_b32_e64 v22, v32, v33, s6
	s_wait_alu 0xfffe
	v_cndmask_b32_e32 v31, v34, v33, vcc_lo
	v_cmp_nge_f32_e32 vcc_lo, 0, v35
	s_wait_alu 0xfffd
	v_dual_add_f32 v23, v33, v38 :: v_dual_cndmask_b32 v32, v22, v32
	s_delay_alu instid0(VALU_DEP_1) | instskip(NEXT) | instid1(VALU_DEP_2)
	v_cmp_gt_f32_e32 vcc_lo, v23, v31
	v_cmp_lt_f32_e64 s5, v23, v32
	s_or_b32 s6, vcc_lo, s5
	s_wait_alu 0xfffe
	s_and_saveexec_b32 s5, s6
	s_cbranch_execz .LBB21_64
; %bb.59:
	s_mov_b32 s6, exec_lo
                                        ; implicit-def: $vgpr38
	v_cmpx_ngt_f32_e32 0, v35
	s_wait_alu 0xfffe
	s_xor_b32 s6, exec_lo, s6
; %bb.60:
	v_sub_f32_e32 v22, v32, v33
	s_delay_alu instid0(VALU_DEP_1)
	v_mul_f32_e32 v38, 0.5, v22
; %bb.61:
	s_wait_alu 0xfffe
	s_and_not1_saveexec_b32 s6, s6
; %bb.62:
	v_sub_f32_e32 v22, v31, v33
	s_delay_alu instid0(VALU_DEP_1)
	v_mul_f32_e32 v38, 0.5, v22
; %bb.63:
	s_wait_alu 0xfffe
	s_or_b32 exec_lo, exec_lo, s6
.LBB21_64:
	s_wait_alu 0xfffe
	s_or_b32 exec_lo, exec_lo, s5
	v_dual_sub_f32 v22, v24, v38 :: v_dual_mov_b32 v39, 0
	v_mov_b32_e32 v34, 0
	v_mov_b32_e32 v40, 0
	global_store_b32 v[14:15], v22, off
	s_and_saveexec_b32 s6, s3
	s_cbranch_execz .LBB21_68
; %bb.65:
	v_dual_mov_b32 v34, 0 :: v_dual_mov_b32 v23, v7
	v_dual_mov_b32 v22, v6 :: v_dual_mov_b32 v25, v3
	v_dual_mov_b32 v24, v2 :: v_dual_mov_b32 v37, v10
	v_dual_mov_b32 v36, 0 :: v_dual_mov_b32 v39, 0
	s_mov_b32 s24, 0
.LBB21_66:                              ; =>This Inner Loop Header: Depth=1
	global_load_b32 v40, v[24:25], off
	s_wait_loadcnt 0x0
	v_dual_sub_f32 v40, v40, v38 :: v_dual_add_nc_u32 v37, -1, v37
	global_store_b32 v[24:25], v40, off
	global_load_b32 v41, v[22:23], off
	v_add_co_u32 v24, s5, v24, 4
	s_wait_alu 0xf1ff
	v_add_co_ci_u32_e64 v25, null, 0, v25, s5
	v_add_co_u32 v22, s5, v22, 4
	s_wait_alu 0xf1ff
	v_add_co_ci_u32_e64 v23, null, 0, v23, s5
	s_wait_loadcnt 0x0
	v_div_scale_f32 v42, null, v40, v40, v41
	v_div_scale_f32 v45, vcc_lo, v41, v40, v41
	s_delay_alu instid0(VALU_DEP_2) | instskip(NEXT) | instid1(TRANS32_DEP_1)
	v_rcp_f32_e32 v43, v42
	v_fma_f32 v44, -v42, v43, 1.0
	s_delay_alu instid0(VALU_DEP_1) | instskip(NEXT) | instid1(VALU_DEP_1)
	v_fmac_f32_e32 v43, v44, v43
	v_mul_f32_e32 v44, v45, v43
	s_delay_alu instid0(VALU_DEP_1) | instskip(NEXT) | instid1(VALU_DEP_1)
	v_fma_f32 v46, -v42, v44, v45
	v_fmac_f32_e32 v44, v46, v43
	s_delay_alu instid0(VALU_DEP_1) | instskip(SKIP_1) | instid1(VALU_DEP_1)
	v_fma_f32 v42, -v42, v44, v45
	s_wait_alu 0xfffd
	v_div_fmas_f32 v42, v42, v43, v44
	v_cmp_eq_u32_e32 vcc_lo, 0, v37
	s_delay_alu instid0(VALU_DEP_2) | instskip(SKIP_2) | instid1(VALU_DEP_1)
	v_div_fixup_f32 v40, v42, v40, v41
	s_wait_alu 0xfffe
	s_or_b32 s24, vcc_lo, s24
	v_fmac_f32_e32 v39, v41, v40
	v_fmac_f32_e32 v34, v40, v40
	s_delay_alu instid0(VALU_DEP_2)
	v_add_f32_e32 v36, v36, v39
	s_wait_alu 0xfffe
	s_and_not1_b32 exec_lo, exec_lo, s24
	s_cbranch_execnz .LBB21_66
; %bb.67:
	s_or_b32 exec_lo, exec_lo, s24
	v_and_b32_e32 v40, 0x7fffffff, v36
.LBB21_68:
	s_wait_alu 0xfffe
	s_or_b32 exec_lo, exec_lo, s6
                                        ; implicit-def: $vgpr24_vgpr25
                                        ; implicit-def: $vgpr22_vgpr23
	s_and_saveexec_b32 s5, s4
	s_wait_alu 0xfffe
	s_xor_b32 s4, exec_lo, s5
	s_cbranch_execz .LBB21_70
; %bb.69:
	v_lshlrev_b64_e32 v[22:23], 2, v[8:9]
	v_add_co_u32 v9, vcc_lo, s20, v18
	s_wait_alu 0xfffd
	v_add_co_ci_u32_e64 v18, null, s21, v19, vcc_lo
	s_add_nc_u64 s[24:25], s[18:19], s[16:17]
	v_add_co_u32 v9, vcc_lo, v9, v22
	s_wait_alu 0xfffd
	v_add_co_ci_u32_e64 v18, null, v18, v23, vcc_lo
	s_wait_alu 0xfffe
	v_add_co_u32 v19, vcc_lo, s24, v20
	s_wait_alu 0xfffd
	v_add_co_ci_u32_e64 v20, null, s25, v21, vcc_lo
	v_add_co_u32 v24, vcc_lo, v9, s14
	s_wait_alu 0xfffd
	v_add_co_ci_u32_e64 v25, null, s15, v18, vcc_lo
	;; [unrolled: 3-line block ×3, first 2 shown]
                                        ; implicit-def: $vgpr18_vgpr19
                                        ; implicit-def: $vgpr20_vgpr21
.LBB21_70:
	s_wait_alu 0xfffe
	s_or_saveexec_b32 s5, s4
	v_dual_mov_b32 v37, 0 :: v_dual_mov_b32 v42, 0
	s_wait_alu 0xfffe
	s_xor_b32 exec_lo, exec_lo, s5
	s_cbranch_execz .LBB21_74
; %bb.71:
	v_lshlrev_b64_e32 v[22:23], 2, v[8:9]
	v_add_co_u32 v9, vcc_lo, s20, v18
	s_wait_alu 0xfffd
	v_add_co_ci_u32_e64 v18, null, s21, v19, vcc_lo
	s_add_nc_u64 s[16:17], s[18:19], s[16:17]
	v_add_co_u32 v9, vcc_lo, v9, v22
	s_wait_alu 0xfffd
	v_add_co_ci_u32_e64 v18, null, v18, v23, vcc_lo
	v_add_co_u32 v19, vcc_lo, s16, v20
	s_wait_alu 0xfffd
	v_add_co_ci_u32_e64 v20, null, s17, v21, vcc_lo
	;; [unrolled: 3-line block ×6, first 2 shown]
	v_dual_mov_b32 v37, 0 :: v_dual_mov_b32 v42, 0
	v_mov_b32_e32 v9, v8
	s_mov_b32 s6, 0
.LBB21_72:                              ; =>This Inner Loop Header: Depth=1
	global_load_b32 v36, v[18:19], off
	s_wait_loadcnt 0x0
	v_dual_sub_f32 v36, v36, v38 :: v_dual_add_nc_u32 v9, -1, v9
	global_store_b32 v[18:19], v36, off
	global_load_b32 v41, v[20:21], off
	v_add_co_u32 v18, s4, v18, -4
	s_wait_alu 0xf1ff
	v_add_co_ci_u32_e64 v19, null, -1, v19, s4
	v_add_co_u32 v20, s4, v20, -4
	s_wait_alu 0xf1ff
	v_add_co_ci_u32_e64 v21, null, -1, v21, s4
	s_wait_loadcnt 0x0
	v_div_scale_f32 v43, null, v36, v36, v41
	v_div_scale_f32 v46, vcc_lo, v41, v36, v41
	s_delay_alu instid0(VALU_DEP_2) | instskip(NEXT) | instid1(TRANS32_DEP_1)
	v_rcp_f32_e32 v44, v43
	v_fma_f32 v45, -v43, v44, 1.0
	s_delay_alu instid0(VALU_DEP_1) | instskip(NEXT) | instid1(VALU_DEP_1)
	v_fmac_f32_e32 v44, v45, v44
	v_mul_f32_e32 v45, v46, v44
	s_delay_alu instid0(VALU_DEP_1) | instskip(NEXT) | instid1(VALU_DEP_1)
	v_fma_f32 v47, -v43, v45, v46
	v_fmac_f32_e32 v45, v47, v44
	s_delay_alu instid0(VALU_DEP_1) | instskip(SKIP_1) | instid1(VALU_DEP_1)
	v_fma_f32 v43, -v43, v45, v46
	s_wait_alu 0xfffd
	v_div_fmas_f32 v43, v43, v44, v45
	v_cmp_le_i32_e32 vcc_lo, v9, v10
	s_delay_alu instid0(VALU_DEP_2) | instskip(SKIP_2) | instid1(VALU_DEP_1)
	v_div_fixup_f32 v36, v43, v36, v41
	s_wait_alu 0xfffe
	s_or_b32 s6, vcc_lo, s6
	v_fmac_f32_e32 v42, v41, v36
	v_fmac_f32_e32 v37, v36, v36
	s_delay_alu instid0(VALU_DEP_2)
	v_add_f32_e32 v40, v40, v42
	s_wait_alu 0xfffe
	s_and_not1_b32 exec_lo, exec_lo, s6
	s_cbranch_execnz .LBB21_72
; %bb.73:
	s_or_b32 exec_lo, exec_lo, s6
.LBB21_74:
	s_delay_alu instid0(SALU_CYCLE_1)
	s_or_b32 exec_lo, exec_lo, s5
	global_load_b32 v18, v[16:17], off
	global_load_b32 v36, v[14:15], off
	v_and_b32_e32 v20, 0x7fffffff, v35
	s_mov_b32 s6, 0
	s_wait_loadcnt 0x0
	v_div_scale_f32 v9, null, v36, v36, v18
	v_div_scale_f32 v44, vcc_lo, v18, v36, v18
	s_delay_alu instid0(VALU_DEP_2) | instskip(NEXT) | instid1(TRANS32_DEP_1)
	v_rcp_f32_e32 v19, v9
	v_fma_f32 v41, -v9, v19, 1.0
	s_delay_alu instid0(VALU_DEP_1) | instskip(NEXT) | instid1(VALU_DEP_1)
	v_fmac_f32_e32 v19, v41, v19
	v_mul_f32_e32 v41, v44, v19
	s_delay_alu instid0(VALU_DEP_1) | instskip(NEXT) | instid1(VALU_DEP_1)
	v_fma_f32 v46, -v9, v41, v44
	v_fmac_f32_e32 v41, v46, v19
	s_delay_alu instid0(VALU_DEP_1) | instskip(SKIP_1) | instid1(VALU_DEP_1)
	v_fma_f32 v9, -v9, v41, v44
	s_wait_alu 0xfffd
	v_div_fmas_f32 v19, v9, v19, v41
	v_add_f32_e32 v9, v33, v38
	v_div_scale_f32 v21, null, 0x41200000, 0x41200000, v20
	v_div_scale_f32 v20, s4, v20, 0x41200000, v20
	s_delay_alu instid0(VALU_DEP_4) | instskip(NEXT) | instid1(VALU_DEP_3)
	v_div_fixup_f32 v41, v19, v36, v18
	v_rcp_f32_e32 v43, v21
	v_dual_add_f32 v38, v34, v37 :: v_dual_add_f32 v33, v29, v39
	v_sub_f32_e32 v39, v42, v39
	s_mov_b32 vcc_lo, s4
	s_delay_alu instid0(VALU_DEP_2) | instskip(NEXT) | instid1(VALU_DEP_3)
	v_fmac_f32_e32 v38, v41, v41
	v_add_f32_e32 v33, v33, v42
	s_delay_alu instid0(TRANS32_DEP_1) | instskip(NEXT) | instid1(VALU_DEP_2)
	v_fma_f32 v45, -v21, v43, 1.0
	v_fmac_f32_e32 v33, v18, v41
	s_delay_alu instid0(VALU_DEP_2) | instskip(NEXT) | instid1(VALU_DEP_1)
	v_fmac_f32_e32 v43, v45, v43
	v_mul_f32_e32 v45, v20, v43
	s_delay_alu instid0(VALU_DEP_1) | instskip(NEXT) | instid1(VALU_DEP_1)
	v_fma_f32 v44, -v21, v45, v20
	v_fmac_f32_e32 v45, v44, v43
	s_delay_alu instid0(VALU_DEP_1) | instskip(SKIP_2) | instid1(VALU_DEP_2)
	v_fma_f32 v19, -v21, v45, v20
	v_dual_fmamk_f32 v20, v39, 0x41000000, v11 :: v_dual_mul_f32 v21, v18, v41
	s_wait_alu 0xfffe
	v_div_fmas_f32 v19, v19, v43, v45
	s_delay_alu instid0(VALU_DEP_2) | instskip(SKIP_1) | instid1(VALU_DEP_3)
	v_fma_f32 v18, 0x40400000, |v21|, v20
	v_cndmask_b32_e64 v21, v33, -v33, s0
	v_div_fixup_f32 v20, v19, 0x41200000, |v35|
	s_delay_alu instid0(VALU_DEP_3)
	v_fma_f32 v35, |v9|, v38, v18
	v_add_co_u32 v18, vcc_lo, s10, v24
	s_wait_alu 0xfffd
	v_add_co_ci_u32_e64 v19, null, s11, v25, vcc_lo
	v_cmp_gt_f32_e64 s10, v21, v20
	v_add_co_u32 v20, vcc_lo, s8, v22
	v_add_f32_e32 v24, v40, v35
	s_wait_alu 0xfffd
	v_add_co_ci_u32_e64 v21, null, s9, v23, vcc_lo
	s_mov_b32 s8, 1
                                        ; implicit-def: $sgpr9
	s_branch .LBB21_77
.LBB21_75:                              ;   in Loop: Header=BB21_77 Depth=1
	s_wait_alu 0xfffe
	s_or_b32 exec_lo, exec_lo, s5
	global_load_b32 v22, v[16:17], off
	global_load_b32 v36, v[14:15], off
	v_dual_add_f32 v9, v9, v35 :: v_dual_and_b32 v24, 0x7fffffff, v33
	s_add_co_i32 s8, s8, 1
	s_delay_alu instid0(VALU_DEP_1) | instskip(NEXT) | instid1(VALU_DEP_1)
	v_div_scale_f32 v41, null, 0x41200000, 0x41200000, v24
	v_rcp_f32_e32 v42, v41
	s_wait_loadcnt 0x0
	v_div_scale_f32 v23, null, v36, v36, v22
	v_div_scale_f32 v44, vcc_lo, v22, v36, v22
	s_delay_alu instid0(VALU_DEP_2) | instskip(NEXT) | instid1(TRANS32_DEP_1)
	v_rcp_f32_e32 v25, v23
	v_fma_f32 v43, -v23, v25, 1.0
	s_delay_alu instid0(VALU_DEP_1) | instskip(NEXT) | instid1(TRANS32_DEP_2)
	v_fmac_f32_e32 v25, v43, v25
	v_fma_f32 v43, -v41, v42, 1.0
	s_delay_alu instid0(VALU_DEP_1) | instskip(NEXT) | instid1(VALU_DEP_1)
	v_dual_mul_f32 v45, v44, v25 :: v_dual_fmac_f32 v42, v43, v42
	v_fma_f32 v43, -v23, v45, v44
	s_delay_alu instid0(VALU_DEP_1) | instskip(NEXT) | instid1(VALU_DEP_1)
	v_fmac_f32_e32 v45, v43, v25
	v_fma_f32 v23, -v23, v45, v44
	v_add_f32_e32 v44, v29, v38
	s_wait_alu 0xfffd
	s_delay_alu instid0(VALU_DEP_2) | instskip(NEXT) | instid1(VALU_DEP_2)
	v_div_fmas_f32 v23, v23, v25, v45
	v_add_f32_e32 v25, v44, v40
	v_div_scale_f32 v24, s4, v24, 0x41200000, v24
	s_mov_b32 vcc_lo, s4
	v_mul_f32_e32 v46, v24, v42
	s_delay_alu instid0(VALU_DEP_1) | instskip(NEXT) | instid1(VALU_DEP_1)
	v_fma_f32 v43, -v41, v46, v24
	v_fmac_f32_e32 v46, v43, v42
	s_delay_alu instid0(VALU_DEP_1) | instskip(SKIP_2) | instid1(VALU_DEP_2)
	v_fma_f32 v24, -v41, v46, v24
	v_div_fixup_f32 v41, v23, v36, v22
	v_dual_sub_f32 v23, v40, v38 :: v_dual_add_f32 v38, v34, v37
	v_fmac_f32_e32 v25, v22, v41
	s_delay_alu instid0(VALU_DEP_2) | instskip(SKIP_3) | instid1(VALU_DEP_3)
	v_dual_fmamk_f32 v23, v23, 0x41000000, v11 :: v_dual_mul_f32 v22, v22, v41
	s_wait_alu 0xfffe
	v_div_fmas_f32 v24, v24, v42, v46
	v_fmac_f32_e32 v38, v41, v41
	v_fma_f32 v22, 0x40400000, |v22|, v23
	s_delay_alu instid0(VALU_DEP_3) | instskip(NEXT) | instid1(VALU_DEP_2)
	v_div_fixup_f32 v24, v24, 0x41200000, |v33|
	v_fma_f32 v22, |v9|, v38, v22
	v_mul_f32_e32 v33, v33, v25
	s_delay_alu instid0(VALU_DEP_3) | instskip(NEXT) | instid1(VALU_DEP_3)
	v_cmp_gt_f32_e64 s4, |v25|, v24
	v_add_f32_e32 v24, v39, v22
	s_delay_alu instid0(VALU_DEP_3)
	v_cmp_lt_f32_e32 vcc_lo, 0, v33
	v_mov_b32_e32 v33, v25
	s_and_b32 s4, vcc_lo, s4
	s_wait_alu 0xfffe
	s_xor_b32 s4, s10, s4
	s_cmp_eq_u32 s8, 50
                                        ; implicit-def: $sgpr10
	s_cselect_b32 s5, -1, 0
	s_and_not1_b32 s9, s9, exec_lo
	s_wait_alu 0xfffe
	s_and_b32 s5, s5, exec_lo
	s_wait_alu 0xfffe
	s_or_b32 s9, s9, s5
.LBB21_76:                              ;   in Loop: Header=BB21_77 Depth=1
	s_wait_alu 0xfffe
	s_or_b32 exec_lo, exec_lo, s11
	s_delay_alu instid0(SALU_CYCLE_1)
	s_and_b32 s5, exec_lo, s9
	s_wait_alu 0xfffe
	s_or_b32 s6, s5, s6
	s_and_not1_b32 s5, s10, exec_lo
	s_and_b32 s4, s4, exec_lo
	s_wait_alu 0xfffe
	s_or_b32 s10, s5, s4
	s_and_not1_b32 exec_lo, exec_lo, s6
	s_cbranch_execz .LBB21_120
.LBB21_77:                              ; =>This Loop Header: Depth=1
                                        ;     Child Loop BB21_114 Depth 2
                                        ;     Child Loop BB21_118 Depth 2
	v_mul_f32_e32 v22, s7, v24
	s_or_b32 s9, s9, exec_lo
	s_mov_b32 s11, exec_lo
                                        ; implicit-def: $sgpr4
                                        ; implicit-def: $vgpr24
	s_delay_alu instid0(VALU_DEP_1)
	v_cmpx_nle_f32_e64 |v33|, v22
	s_cbranch_execz .LBB21_76
; %bb.78:                               ;   in Loop: Header=BB21_77 Depth=1
	global_load_b64 v[22:23], v[4:5], off
	s_wait_alu 0xfffe
	s_xor_b32 s5, s10, -1
                                        ; implicit-def: $vgpr39
	s_wait_alu 0xfffe
	s_and_saveexec_b32 s4, s5
	s_wait_alu 0xfffe
	s_xor_b32 s4, exec_lo, s4
	s_cbranch_execz .LBB21_80
; %bb.79:                               ;   in Loop: Header=BB21_77 Depth=1
	v_fma_f32 v24, v41, v41, v34
	v_fma_f32 v25, v41, v41, v37
	s_delay_alu instid0(VALU_DEP_2) | instskip(NEXT) | instid1(VALU_DEP_2)
	v_cndmask_b32_e64 v34, v34, v24, s0
	v_cndmask_b32_e64 v37, v25, v37, s0
	s_wait_loadcnt 0x0
	s_delay_alu instid0(VALU_DEP_2) | instskip(NEXT) | instid1(VALU_DEP_1)
	v_fma_f32 v24, -v34, v22, v33
	v_fma_f32 v39, -v37, v23, v24
.LBB21_80:                              ;   in Loop: Header=BB21_77 Depth=1
	s_wait_alu 0xfffe
	s_and_not1_saveexec_b32 s4, s4
	s_cbranch_execz .LBB21_86
; %bb.81:                               ;   in Loop: Header=BB21_77 Depth=1
                                        ; implicit-def: $vgpr39
	s_and_saveexec_b32 s14, s1
	s_wait_alu 0xfffe
	s_xor_b32 s14, exec_lo, s14
	s_cbranch_execz .LBB21_83
; %bb.82:                               ;   in Loop: Header=BB21_77 Depth=1
	global_load_b32 v24, v[12:13], off offset:4
	s_wait_loadcnt 0x0
	v_mul_f32_e32 v25, v28, v24
	s_delay_alu instid0(VALU_DEP_1) | instskip(NEXT) | instid1(VALU_DEP_1)
	v_mul_f32_e32 v24, v24, v25
	v_div_scale_f32 v25, null, v23, v23, v24
	s_delay_alu instid0(VALU_DEP_1) | instskip(NEXT) | instid1(TRANS32_DEP_1)
	v_rcp_f32_e32 v35, v25
	v_fma_f32 v39, -v25, v35, 1.0
	s_delay_alu instid0(VALU_DEP_1) | instskip(SKIP_1) | instid1(VALU_DEP_1)
	v_fmac_f32_e32 v35, v39, v35
	v_div_scale_f32 v40, vcc_lo, v24, v23, v24
	v_mul_f32_e32 v39, v40, v35
	s_delay_alu instid0(VALU_DEP_1) | instskip(NEXT) | instid1(VALU_DEP_1)
	v_fma_f32 v41, -v25, v39, v40
	v_fmac_f32_e32 v39, v41, v35
	s_delay_alu instid0(VALU_DEP_1) | instskip(SKIP_1) | instid1(VALU_DEP_1)
	v_fma_f32 v25, -v25, v39, v40
	s_wait_alu 0xfffd
	v_div_fmas_f32 v25, v25, v35, v39
	s_delay_alu instid0(VALU_DEP_1) | instskip(NEXT) | instid1(VALU_DEP_1)
	v_div_fixup_f32 v24, v25, v23, v24
	v_div_scale_f32 v25, null, v23, v23, v24
	s_delay_alu instid0(VALU_DEP_1) | instskip(NEXT) | instid1(TRANS32_DEP_1)
	v_rcp_f32_e32 v35, v25
	v_fma_f32 v39, -v25, v35, 1.0
	s_delay_alu instid0(VALU_DEP_1) | instskip(SKIP_1) | instid1(VALU_DEP_1)
	v_fmac_f32_e32 v35, v39, v35
	v_div_scale_f32 v39, vcc_lo, v24, v23, v24
	v_mul_f32_e32 v40, v39, v35
	s_delay_alu instid0(VALU_DEP_1) | instskip(NEXT) | instid1(VALU_DEP_1)
	v_fma_f32 v41, -v25, v40, v39
	v_fmac_f32_e32 v40, v41, v35
	s_delay_alu instid0(VALU_DEP_1) | instskip(SKIP_1) | instid1(VALU_DEP_1)
	v_fma_f32 v25, -v25, v40, v39
	s_wait_alu 0xfffd
	v_div_fmas_f32 v25, v25, v35, v40
	v_fma_f32 v35, -v38, v22, v33
	s_delay_alu instid0(VALU_DEP_2) | instskip(NEXT) | instid1(VALU_DEP_1)
	v_div_fixup_f32 v24, v25, v23, v24
	v_sub_f32_e32 v39, v35, v24
.LBB21_83:                              ;   in Loop: Header=BB21_77 Depth=1
	s_wait_alu 0xfffe
	s_and_not1_saveexec_b32 s14, s14
	s_cbranch_execz .LBB21_85
; %bb.84:                               ;   in Loop: Header=BB21_77 Depth=1
	global_load_b32 v24, v[12:13], off
	s_wait_loadcnt 0x0
	v_mul_f32_e32 v25, v27, v24
	s_delay_alu instid0(VALU_DEP_1) | instskip(NEXT) | instid1(VALU_DEP_1)
	v_mul_f32_e32 v24, v24, v25
	v_div_scale_f32 v25, null, v22, v22, v24
	s_delay_alu instid0(VALU_DEP_1) | instskip(NEXT) | instid1(TRANS32_DEP_1)
	v_rcp_f32_e32 v35, v25
	v_fma_f32 v39, -v25, v35, 1.0
	s_delay_alu instid0(VALU_DEP_1) | instskip(SKIP_1) | instid1(VALU_DEP_1)
	v_fmac_f32_e32 v35, v39, v35
	v_div_scale_f32 v40, vcc_lo, v24, v22, v24
	v_mul_f32_e32 v39, v40, v35
	s_delay_alu instid0(VALU_DEP_1) | instskip(NEXT) | instid1(VALU_DEP_1)
	v_fma_f32 v41, -v25, v39, v40
	v_fmac_f32_e32 v39, v41, v35
	s_delay_alu instid0(VALU_DEP_1) | instskip(SKIP_1) | instid1(VALU_DEP_1)
	v_fma_f32 v25, -v25, v39, v40
	s_wait_alu 0xfffd
	v_div_fmas_f32 v25, v25, v35, v39
	s_delay_alu instid0(VALU_DEP_1) | instskip(NEXT) | instid1(VALU_DEP_1)
	v_div_fixup_f32 v24, v25, v22, v24
	v_div_scale_f32 v25, null, v22, v22, v24
	s_delay_alu instid0(VALU_DEP_1) | instskip(NEXT) | instid1(TRANS32_DEP_1)
	v_rcp_f32_e32 v35, v25
	v_fma_f32 v39, -v25, v35, 1.0
	s_delay_alu instid0(VALU_DEP_1) | instskip(SKIP_1) | instid1(VALU_DEP_1)
	v_fmac_f32_e32 v35, v39, v35
	v_div_scale_f32 v39, vcc_lo, v24, v22, v24
	v_mul_f32_e32 v40, v39, v35
	s_delay_alu instid0(VALU_DEP_1) | instskip(NEXT) | instid1(VALU_DEP_1)
	v_fma_f32 v41, -v25, v40, v39
	v_fmac_f32_e32 v40, v41, v35
	s_delay_alu instid0(VALU_DEP_1) | instskip(SKIP_1) | instid1(VALU_DEP_1)
	v_fma_f32 v25, -v25, v40, v39
	s_wait_alu 0xfffd
	v_div_fmas_f32 v25, v25, v35, v40
	v_fma_f32 v35, -v38, v23, v33
	s_delay_alu instid0(VALU_DEP_2) | instskip(NEXT) | instid1(VALU_DEP_1)
	v_div_fixup_f32 v24, v25, v22, v24
	v_sub_f32_e32 v39, v35, v24
.LBB21_85:                              ;   in Loop: Header=BB21_77 Depth=1
	s_wait_alu 0xfffe
	s_or_b32 exec_lo, exec_lo, s14
.LBB21_86:                              ;   in Loop: Header=BB21_77 Depth=1
	s_wait_alu 0xfffe
	s_or_b32 exec_lo, exec_lo, s4
	s_wait_loadcnt 0x0
	v_mul_f32_e32 v24, v22, v23
	v_add_f32_e32 v25, v22, v23
	s_mov_b32 s4, exec_lo
	s_delay_alu instid0(VALU_DEP_2) | instskip(SKIP_1) | instid1(VALU_DEP_2)
	v_mul_f32_e32 v35, v38, v24
	v_mul_f32_e32 v24, v33, v24
	v_fma_f32 v25, v33, v25, -v35
                                        ; implicit-def: $vgpr35
	v_cmpx_neq_f32_e32 0, v39
	s_wait_alu 0xfffe
	s_xor_b32 s14, exec_lo, s4
	s_cbranch_execz .LBB21_92
; %bb.87:                               ;   in Loop: Header=BB21_77 Depth=1
	v_mul_f32_e32 v22, -4.0, v24
	s_delay_alu instid0(VALU_DEP_1) | instskip(NEXT) | instid1(VALU_DEP_1)
	v_mul_f32_e32 v22, v22, v39
	v_fmac_f32_e32 v22, v25, v25
	s_delay_alu instid0(VALU_DEP_1) | instskip(SKIP_2) | instid1(VALU_DEP_1)
	v_mul_f32_e64 v23, 0x4f800000, |v22|
	v_cmp_gt_f32_e64 vcc_lo, 0xf800000, |v22|
	s_wait_alu 0xfffd
	v_cndmask_b32_e64 v22, |v22|, v23, vcc_lo
	s_delay_alu instid0(VALU_DEP_1) | instskip(NEXT) | instid1(TRANS32_DEP_1)
	v_sqrt_f32_e32 v23, v22
	v_add_nc_u32_e32 v34, -1, v23
	v_add_nc_u32_e32 v35, 1, v23
	s_delay_alu instid0(VALU_DEP_2) | instskip(NEXT) | instid1(VALU_DEP_2)
	v_fma_f32 v37, -v34, v23, v22
	v_fma_f32 v40, -v35, v23, v22
	s_delay_alu instid0(VALU_DEP_2) | instskip(SKIP_1) | instid1(VALU_DEP_1)
	v_cmp_ge_f32_e64 s4, 0, v37
	s_wait_alu 0xf1ff
	v_cndmask_b32_e64 v23, v23, v34, s4
	s_delay_alu instid0(VALU_DEP_3) | instskip(SKIP_1) | instid1(VALU_DEP_1)
	v_cmp_lt_f32_e64 s4, 0, v40
	s_wait_alu 0xf1ff
	v_cndmask_b32_e64 v23, v23, v35, s4
	s_mov_b32 s4, exec_lo
                                        ; implicit-def: $vgpr35
	s_delay_alu instid0(VALU_DEP_1) | instskip(NEXT) | instid1(VALU_DEP_1)
	v_mul_f32_e32 v34, 0x37800000, v23
	v_cndmask_b32_e32 v23, v23, v34, vcc_lo
	v_cmp_class_f32_e64 vcc_lo, v22, 0x260
	s_wait_alu 0xfffd
	s_delay_alu instid0(VALU_DEP_2)
	v_cndmask_b32_e32 v22, v23, v22, vcc_lo
	v_cmpx_ge_f32_e32 0, v25
	s_wait_alu 0xfffe
	s_xor_b32 s4, exec_lo, s4
	s_cbranch_execz .LBB21_89
; %bb.88:                               ;   in Loop: Header=BB21_77 Depth=1
	v_dual_sub_f32 v22, v25, v22 :: v_dual_add_f32 v23, v39, v39
	s_delay_alu instid0(VALU_DEP_1) | instskip(NEXT) | instid1(VALU_DEP_1)
	v_div_scale_f32 v24, null, v23, v23, v22
	v_rcp_f32_e32 v25, v24
	s_delay_alu instid0(TRANS32_DEP_1) | instskip(NEXT) | instid1(VALU_DEP_1)
	v_fma_f32 v34, -v24, v25, 1.0
	v_fmac_f32_e32 v25, v34, v25
	v_div_scale_f32 v34, vcc_lo, v22, v23, v22
	s_delay_alu instid0(VALU_DEP_1) | instskip(NEXT) | instid1(VALU_DEP_1)
	v_mul_f32_e32 v35, v34, v25
	v_fma_f32 v37, -v24, v35, v34
	s_delay_alu instid0(VALU_DEP_1) | instskip(NEXT) | instid1(VALU_DEP_1)
	v_fmac_f32_e32 v35, v37, v25
	v_fma_f32 v24, -v24, v35, v34
	s_wait_alu 0xfffd
	s_delay_alu instid0(VALU_DEP_1) | instskip(NEXT) | instid1(VALU_DEP_1)
	v_div_fmas_f32 v24, v24, v25, v35
                                        ; implicit-def: $vgpr25
	v_div_fixup_f32 v35, v24, v23, v22
                                        ; implicit-def: $vgpr24
                                        ; implicit-def: $vgpr22
.LBB21_89:                              ;   in Loop: Header=BB21_77 Depth=1
	s_wait_alu 0xfffe
	s_and_not1_saveexec_b32 s4, s4
	s_cbranch_execz .LBB21_91
; %bb.90:                               ;   in Loop: Header=BB21_77 Depth=1
	v_dual_add_f32 v23, v24, v24 :: v_dual_add_f32 v22, v25, v22
	s_delay_alu instid0(VALU_DEP_1) | instskip(NEXT) | instid1(VALU_DEP_1)
	v_div_scale_f32 v24, null, v22, v22, v23
	v_rcp_f32_e32 v25, v24
	s_delay_alu instid0(TRANS32_DEP_1) | instskip(NEXT) | instid1(VALU_DEP_1)
	v_fma_f32 v34, -v24, v25, 1.0
	v_fmac_f32_e32 v25, v34, v25
	v_div_scale_f32 v34, vcc_lo, v23, v22, v23
	s_delay_alu instid0(VALU_DEP_1) | instskip(NEXT) | instid1(VALU_DEP_1)
	v_mul_f32_e32 v35, v34, v25
	v_fma_f32 v37, -v24, v35, v34
	s_delay_alu instid0(VALU_DEP_1) | instskip(NEXT) | instid1(VALU_DEP_1)
	v_fmac_f32_e32 v35, v37, v25
	v_fma_f32 v24, -v24, v35, v34
	s_wait_alu 0xfffd
	s_delay_alu instid0(VALU_DEP_1) | instskip(NEXT) | instid1(VALU_DEP_1)
	v_div_fmas_f32 v24, v24, v25, v35
	v_div_fixup_f32 v35, v24, v22, v23
.LBB21_91:                              ;   in Loop: Header=BB21_77 Depth=1
	s_wait_alu 0xfffe
	s_or_b32 exec_lo, exec_lo, s4
                                        ; implicit-def: $vgpr25
                                        ; implicit-def: $vgpr24
                                        ; implicit-def: $vgpr22_vgpr23
                                        ; implicit-def: $vgpr37
                                        ; implicit-def: $vgpr34
.LBB21_92:                              ;   in Loop: Header=BB21_77 Depth=1
	s_wait_alu 0xfffe
	s_and_not1_saveexec_b32 s4, s14
	s_cbranch_execz .LBB21_104
; %bb.93:                               ;   in Loop: Header=BB21_77 Depth=1
	s_mov_b32 s14, exec_lo
	v_cmpx_eq_f32_e32 0, v25
	s_cbranch_execz .LBB21_103
; %bb.94:                               ;   in Loop: Header=BB21_77 Depth=1
                                        ; implicit-def: $vgpr25
	s_and_saveexec_b32 s15, s5
	s_wait_alu 0xfffe
	s_xor_b32 s5, exec_lo, s15
; %bb.95:                               ;   in Loop: Header=BB21_77 Depth=1
	v_dual_mul_f32 v23, v23, v23 :: v_dual_mul_f32 v22, v22, v22
	s_delay_alu instid0(VALU_DEP_1) | instskip(NEXT) | instid1(VALU_DEP_1)
	v_mul_f32_e32 v25, v23, v37
                                        ; implicit-def: $vgpr37
	v_fmac_f32_e32 v25, v22, v34
                                        ; implicit-def: $vgpr22_vgpr23
                                        ; implicit-def: $vgpr34
; %bb.96:                               ;   in Loop: Header=BB21_77 Depth=1
	s_wait_alu 0xfffe
	s_and_not1_saveexec_b32 s5, s5
	s_cbranch_execz .LBB21_102
; %bb.97:                               ;   in Loop: Header=BB21_77 Depth=1
	v_add_f32_e32 v34, v34, v37
                                        ; implicit-def: $vgpr25
	s_and_saveexec_b32 s15, s1
	s_wait_alu 0xfffe
	s_xor_b32 s15, exec_lo, s15
	s_cbranch_execz .LBB21_99
; %bb.98:                               ;   in Loop: Header=BB21_77 Depth=1
	global_load_b32 v23, v[12:13], off offset:4
	s_wait_loadcnt 0x0
	v_dual_mul_f32 v22, v22, v22 :: v_dual_mul_f32 v25, v23, v23
	s_delay_alu instid0(VALU_DEP_1)
	v_fmac_f32_e32 v25, v22, v34
                                        ; implicit-def: $vgpr22_vgpr23
                                        ; implicit-def: $vgpr34
.LBB21_99:                              ;   in Loop: Header=BB21_77 Depth=1
	s_wait_alu 0xfffe
	s_and_not1_saveexec_b32 s15, s15
	s_cbranch_execz .LBB21_101
; %bb.100:                              ;   in Loop: Header=BB21_77 Depth=1
	global_load_b32 v22, v[12:13], off
	s_wait_loadcnt 0x0
	v_dual_mul_f32 v25, v22, v22 :: v_dual_mul_f32 v22, v23, v23
	s_delay_alu instid0(VALU_DEP_1)
	v_fmac_f32_e32 v25, v22, v34
.LBB21_101:                             ;   in Loop: Header=BB21_77 Depth=1
	s_wait_alu 0xfffe
	s_or_b32 exec_lo, exec_lo, s15
.LBB21_102:                             ;   in Loop: Header=BB21_77 Depth=1
	s_wait_alu 0xfffe
	s_or_b32 exec_lo, exec_lo, s5
.LBB21_103:                             ;   in Loop: Header=BB21_77 Depth=1
	s_wait_alu 0xfffe
	s_or_b32 exec_lo, exec_lo, s14
	v_div_scale_f32 v22, null, v25, v25, v24
	s_delay_alu instid0(VALU_DEP_1) | instskip(NEXT) | instid1(TRANS32_DEP_1)
	v_rcp_f32_e32 v23, v22
	v_fma_f32 v34, -v22, v23, 1.0
	s_delay_alu instid0(VALU_DEP_1) | instskip(SKIP_1) | instid1(VALU_DEP_1)
	v_fmac_f32_e32 v23, v34, v23
	v_div_scale_f32 v34, vcc_lo, v24, v25, v24
	v_mul_f32_e32 v35, v34, v23
	s_delay_alu instid0(VALU_DEP_1) | instskip(NEXT) | instid1(VALU_DEP_1)
	v_fma_f32 v37, -v22, v35, v34
	v_fmac_f32_e32 v35, v37, v23
	s_delay_alu instid0(VALU_DEP_1) | instskip(SKIP_1) | instid1(VALU_DEP_1)
	v_fma_f32 v22, -v22, v35, v34
	s_wait_alu 0xfffd
	v_div_fmas_f32 v22, v22, v23, v35
	s_delay_alu instid0(VALU_DEP_1)
	v_div_fixup_f32 v35, v22, v25, v24
.LBB21_104:                             ;   in Loop: Header=BB21_77 Depth=1
	s_wait_alu 0xfffe
	s_or_b32 exec_lo, exec_lo, s4
	s_delay_alu instid0(VALU_DEP_1) | instskip(SKIP_1) | instid1(VALU_DEP_1)
	v_mul_f32_e32 v22, v33, v35
	s_mov_b32 s4, exec_lo
	v_cmpx_le_f32_e32 0, v22
	s_cbranch_execz .LBB21_106
; %bb.105:                              ;   in Loop: Header=BB21_77 Depth=1
	v_div_scale_f32 v22, null, v38, v38, -v33
	s_delay_alu instid0(VALU_DEP_1) | instskip(NEXT) | instid1(TRANS32_DEP_1)
	v_rcp_f32_e32 v23, v22
	v_fma_f32 v24, -v22, v23, 1.0
	s_delay_alu instid0(VALU_DEP_1) | instskip(SKIP_1) | instid1(VALU_DEP_1)
	v_fmac_f32_e32 v23, v24, v23
	v_div_scale_f32 v24, vcc_lo, -v33, v38, -v33
	v_mul_f32_e32 v25, v24, v23
	s_delay_alu instid0(VALU_DEP_1) | instskip(NEXT) | instid1(VALU_DEP_1)
	v_fma_f32 v34, -v22, v25, v24
	v_fmac_f32_e32 v25, v34, v23
	s_delay_alu instid0(VALU_DEP_1) | instskip(SKIP_1) | instid1(VALU_DEP_1)
	v_fma_f32 v22, -v22, v25, v24
	s_wait_alu 0xfffd
	v_div_fmas_f32 v22, v22, v23, v25
	s_delay_alu instid0(VALU_DEP_1)
	v_div_fixup_f32 v35, v22, v38, -v33
.LBB21_106:                             ;   in Loop: Header=BB21_77 Depth=1
	s_wait_alu 0xfffe
	s_or_b32 exec_lo, exec_lo, s4
	v_cmp_lt_f32_e32 vcc_lo, 0, v33
	v_cmp_lt_f32_e64 s4, v9, v31
	v_cmp_lt_f32_e64 s5, v32, v9
	v_add_f32_e32 v23, v9, v35
	s_and_b32 vcc_lo, vcc_lo, s4
	v_cndmask_b32_e64 v22, v32, v9, s5
	s_wait_alu 0xfffe
	v_cndmask_b32_e32 v31, v31, v9, vcc_lo
	v_cmp_nge_f32_e32 vcc_lo, 0, v33
	s_wait_alu 0xfffd
	v_cndmask_b32_e32 v32, v22, v32, vcc_lo
	s_delay_alu instid0(VALU_DEP_3) | instskip(NEXT) | instid1(VALU_DEP_2)
	v_cmp_gt_f32_e32 vcc_lo, v23, v31
	v_cmp_lt_f32_e64 s4, v23, v32
	s_or_b32 s5, vcc_lo, s4
	s_wait_alu 0xfffe
	s_and_saveexec_b32 s4, s5
	s_cbranch_execz .LBB21_112
; %bb.107:                              ;   in Loop: Header=BB21_77 Depth=1
	s_mov_b32 s5, exec_lo
                                        ; implicit-def: $vgpr35
	v_cmpx_ngt_f32_e32 0, v33
	s_wait_alu 0xfffe
	s_xor_b32 s5, exec_lo, s5
; %bb.108:                              ;   in Loop: Header=BB21_77 Depth=1
	v_sub_f32_e32 v22, v32, v9
	s_delay_alu instid0(VALU_DEP_1)
	v_mul_f32_e32 v35, 0.5, v22
; %bb.109:                              ;   in Loop: Header=BB21_77 Depth=1
	s_wait_alu 0xfffe
	s_and_not1_saveexec_b32 s5, s5
; %bb.110:                              ;   in Loop: Header=BB21_77 Depth=1
	v_sub_f32_e32 v22, v31, v9
	s_delay_alu instid0(VALU_DEP_1)
	v_mul_f32_e32 v35, 0.5, v22
; %bb.111:                              ;   in Loop: Header=BB21_77 Depth=1
	s_wait_alu 0xfffe
	s_or_b32 exec_lo, exec_lo, s5
.LBB21_112:                             ;   in Loop: Header=BB21_77 Depth=1
	s_wait_alu 0xfffe
	s_or_b32 exec_lo, exec_lo, s4
	v_dual_sub_f32 v22, v36, v35 :: v_dual_mov_b32 v39, 0
	v_mov_b32_e32 v34, 0
	v_mov_b32_e32 v38, 0
	global_store_b32 v[14:15], v22, off
	s_and_saveexec_b32 s5, s3
	s_cbranch_execz .LBB21_116
; %bb.113:                              ;   in Loop: Header=BB21_77 Depth=1
	v_dual_mov_b32 v34, 0 :: v_dual_mov_b32 v23, v7
	v_dual_mov_b32 v22, v6 :: v_dual_mov_b32 v25, v3
	;; [unrolled: 1-line block ×3, first 2 shown]
	v_mov_b32_e32 v36, 0
	v_mov_b32_e32 v38, 0
	s_mov_b32 s14, 0
.LBB21_114:                             ;   Parent Loop BB21_77 Depth=1
                                        ; =>  This Inner Loop Header: Depth=2
	global_load_b32 v39, v[24:25], off
	v_add_nc_u32_e32 v37, -1, v37
	s_wait_loadcnt 0x0
	v_sub_f32_e32 v39, v39, v35
	global_store_b32 v[24:25], v39, off
	global_load_b32 v40, v[22:23], off
	v_add_co_u32 v24, s4, v24, 4
	s_wait_alu 0xf1ff
	v_add_co_ci_u32_e64 v25, null, 0, v25, s4
	v_add_co_u32 v22, s4, v22, 4
	s_wait_alu 0xf1ff
	v_add_co_ci_u32_e64 v23, null, 0, v23, s4
	s_wait_loadcnt 0x0
	v_div_scale_f32 v41, null, v39, v39, v40
	v_div_scale_f32 v44, vcc_lo, v40, v39, v40
	s_delay_alu instid0(VALU_DEP_2) | instskip(NEXT) | instid1(TRANS32_DEP_1)
	v_rcp_f32_e32 v42, v41
	v_fma_f32 v43, -v41, v42, 1.0
	s_delay_alu instid0(VALU_DEP_1) | instskip(NEXT) | instid1(VALU_DEP_1)
	v_fmac_f32_e32 v42, v43, v42
	v_mul_f32_e32 v43, v44, v42
	s_delay_alu instid0(VALU_DEP_1) | instskip(NEXT) | instid1(VALU_DEP_1)
	v_fma_f32 v45, -v41, v43, v44
	v_fmac_f32_e32 v43, v45, v42
	s_delay_alu instid0(VALU_DEP_1) | instskip(SKIP_1) | instid1(VALU_DEP_1)
	v_fma_f32 v41, -v41, v43, v44
	s_wait_alu 0xfffd
	v_div_fmas_f32 v41, v41, v42, v43
	v_cmp_eq_u32_e32 vcc_lo, 0, v37
	s_delay_alu instid0(VALU_DEP_2) | instskip(SKIP_2) | instid1(VALU_DEP_1)
	v_div_fixup_f32 v39, v41, v39, v40
	s_wait_alu 0xfffe
	s_or_b32 s14, vcc_lo, s14
	v_fmac_f32_e32 v38, v40, v39
	v_fmac_f32_e32 v34, v39, v39
	s_delay_alu instid0(VALU_DEP_2)
	v_add_f32_e32 v36, v36, v38
	s_wait_alu 0xfffe
	s_and_not1_b32 exec_lo, exec_lo, s14
	s_cbranch_execnz .LBB21_114
; %bb.115:                              ;   in Loop: Header=BB21_77 Depth=1
	s_or_b32 exec_lo, exec_lo, s14
	v_and_b32_e32 v39, 0x7fffffff, v36
.LBB21_116:                             ;   in Loop: Header=BB21_77 Depth=1
	s_wait_alu 0xfffe
	s_or_b32 exec_lo, exec_lo, s5
	v_dual_mov_b32 v37, 0 :: v_dual_mov_b32 v40, 0
	s_and_saveexec_b32 s5, s2
	s_cbranch_execz .LBB21_75
; %bb.117:                              ;   in Loop: Header=BB21_77 Depth=1
	v_mov_b32_e32 v23, v21
	v_dual_mov_b32 v25, v19 :: v_dual_mov_b32 v36, v8
	v_dual_mov_b32 v37, 0 :: v_dual_mov_b32 v22, v20
	v_mov_b32_e32 v24, v18
	v_mov_b32_e32 v40, 0
	s_mov_b32 s14, 0
.LBB21_118:                             ;   Parent Loop BB21_77 Depth=1
                                        ; =>  This Inner Loop Header: Depth=2
	global_load_b32 v41, v[24:25], off
	s_wait_loadcnt 0x0
	v_dual_sub_f32 v41, v41, v35 :: v_dual_add_nc_u32 v36, -1, v36
	global_store_b32 v[24:25], v41, off
	global_load_b32 v42, v[22:23], off
	v_add_co_u32 v24, s4, v24, -4
	s_wait_alu 0xf1ff
	v_add_co_ci_u32_e64 v25, null, -1, v25, s4
	v_add_co_u32 v22, s4, v22, -4
	s_wait_alu 0xf1ff
	v_add_co_ci_u32_e64 v23, null, -1, v23, s4
	s_wait_loadcnt 0x0
	v_div_scale_f32 v43, null, v41, v41, v42
	v_div_scale_f32 v46, vcc_lo, v42, v41, v42
	s_delay_alu instid0(VALU_DEP_2) | instskip(NEXT) | instid1(TRANS32_DEP_1)
	v_rcp_f32_e32 v44, v43
	v_fma_f32 v45, -v43, v44, 1.0
	s_delay_alu instid0(VALU_DEP_1) | instskip(NEXT) | instid1(VALU_DEP_1)
	v_fmac_f32_e32 v44, v45, v44
	v_mul_f32_e32 v45, v46, v44
	s_delay_alu instid0(VALU_DEP_1) | instskip(NEXT) | instid1(VALU_DEP_1)
	v_fma_f32 v47, -v43, v45, v46
	v_fmac_f32_e32 v45, v47, v44
	s_delay_alu instid0(VALU_DEP_1) | instskip(SKIP_1) | instid1(VALU_DEP_1)
	v_fma_f32 v43, -v43, v45, v46
	s_wait_alu 0xfffd
	v_div_fmas_f32 v43, v43, v44, v45
	v_cmp_le_i32_e32 vcc_lo, v36, v10
	s_delay_alu instid0(VALU_DEP_2) | instskip(SKIP_2) | instid1(VALU_DEP_1)
	v_div_fixup_f32 v41, v43, v41, v42
	s_wait_alu 0xfffe
	s_or_b32 s14, vcc_lo, s14
	v_fmac_f32_e32 v40, v42, v41
	v_fmac_f32_e32 v37, v41, v41
	s_delay_alu instid0(VALU_DEP_2)
	v_add_f32_e32 v39, v39, v40
	s_wait_alu 0xfffe
	s_and_not1_b32 exec_lo, exec_lo, s14
	s_cbranch_execnz .LBB21_118
; %bb.119:                              ;   in Loop: Header=BB21_77 Depth=1
	s_or_b32 exec_lo, exec_lo, s14
	s_branch .LBB21_75
.LBB21_120:
	s_or_b32 exec_lo, exec_lo, s6
	v_add_f32_e32 v36, v30, v9
.LBB21_121:
	s_or_b32 exec_lo, exec_lo, s23
                                        ; implicit-def: $vgpr14
                                        ; implicit-def: $vgpr11
                                        ; implicit-def: $vgpr2_vgpr3
                                        ; implicit-def: $vgpr6_vgpr7
                                        ; implicit-def: $vgpr4_vgpr5
                                        ; implicit-def: $vgpr27
                                        ; implicit-def: $vgpr12_vgpr13
.LBB21_122:
	s_and_not1_saveexec_b32 s3, s22
	s_cbranch_execz .LBB21_192
; %bb.123:
	v_ashrrev_i32_e32 v15, 31, v14
	s_wait_loadcnt 0x0
	v_fma_f32 v10, |v26|, 0.5, v27
	v_mov_b32_e32 v22, 0
	s_mov_b32 s1, exec_lo
	v_lshlrev_b64_e32 v[15:16], 2, v[14:15]
	s_delay_alu instid0(VALU_DEP_1) | instskip(SKIP_1) | instid1(VALU_DEP_2)
	v_add_co_u32 v8, vcc_lo, v2, v15
	s_wait_alu 0xfffd
	v_add_co_ci_u32_e64 v9, null, v3, v16, vcc_lo
	global_load_b32 v21, v[8:9], off offset:-8
	v_cmpx_lt_i32_e32 2, v14
	s_cbranch_execz .LBB21_127
; %bb.124:
	v_dual_mov_b32 v22, 0 :: v_dual_add_nc_u32 v23, -2, v14
	v_dual_mov_b32 v18, v7 :: v_dual_mov_b32 v17, v6
	v_dual_mov_b32 v20, v3 :: v_dual_mov_b32 v19, v2
	s_mov_b32 s2, 0
.LBB21_125:                             ; =>This Inner Loop Header: Depth=1
	global_load_b32 v24, v[19:20], off
	global_load_b32 v25, v[17:18], off
	v_add_nc_u32_e32 v23, -1, v23
	s_delay_alu instid0(VALU_DEP_1)
	v_cmp_eq_u32_e64 s0, 0, v23
	s_wait_alu 0xfffe
	s_or_b32 s2, s0, s2
	s_wait_loadcnt 0x1
	v_sub_f32_e32 v24, v24, v10
	s_wait_loadcnt 0x0
	s_delay_alu instid0(VALU_DEP_1) | instskip(NEXT) | instid1(VALU_DEP_1)
	v_div_scale_f32 v28, null, v24, v24, v25
	v_rcp_f32_e32 v29, v28
	s_delay_alu instid0(TRANS32_DEP_1) | instskip(NEXT) | instid1(VALU_DEP_1)
	v_fma_f32 v30, -v28, v29, 1.0
	v_fmac_f32_e32 v29, v30, v29
	v_div_scale_f32 v31, vcc_lo, v25, v24, v25
	s_delay_alu instid0(VALU_DEP_1) | instskip(NEXT) | instid1(VALU_DEP_1)
	v_mul_f32_e32 v30, v31, v29
	v_fma_f32 v32, -v28, v30, v31
	s_delay_alu instid0(VALU_DEP_1) | instskip(NEXT) | instid1(VALU_DEP_1)
	v_fmac_f32_e32 v30, v32, v29
	v_fma_f32 v28, -v28, v30, v31
	s_wait_alu 0xfffd
	s_delay_alu instid0(VALU_DEP_1) | instskip(SKIP_3) | instid1(VALU_DEP_3)
	v_div_fmas_f32 v28, v28, v29, v30
	v_add_co_u32 v19, vcc_lo, v19, 4
	s_wait_alu 0xfffd
	v_add_co_ci_u32_e64 v20, null, 0, v20, vcc_lo
	v_div_fixup_f32 v24, v28, v24, v25
	v_add_co_u32 v17, vcc_lo, v17, 4
	s_wait_alu 0xfffd
	v_add_co_ci_u32_e64 v18, null, 0, v18, vcc_lo
	s_delay_alu instid0(VALU_DEP_3)
	v_fmac_f32_e32 v22, v25, v24
	s_wait_alu 0xfffe
	s_and_not1_b32 exec_lo, exec_lo, s2
	s_cbranch_execnz .LBB21_125
; %bb.126:
	s_or_b32 exec_lo, exec_lo, s2
.LBB21_127:
	s_wait_alu 0xfffe
	s_or_b32 exec_lo, exec_lo, s1
	v_add_co_u32 v15, vcc_lo, v6, v15
	s_wait_alu 0xfffd
	v_add_co_ci_u32_e64 v16, null, v7, v16, vcc_lo
	v_add_co_u32 v12, vcc_lo, v6, v12
	s_wait_alu 0xfffd
	v_add_co_ci_u32_e64 v13, null, v7, v13, vcc_lo
	global_load_b32 v15, v[15:16], off offset:-8
	s_wait_loadcnt 0x1
	v_sub_f32_e32 v24, v21, v10
	v_mul_f32_e64 v17, |v26|, 0.5
	global_load_b32 v18, v[12:13], off
	v_and_b32_e32 v19, 0x7fffffff, v26
	v_sub_f32_e32 v21, v27, v21
	s_wait_loadcnt 0x1
	v_mul_f32_e32 v16, v15, v15
	s_delay_alu instid0(VALU_DEP_3) | instskip(SKIP_1) | instid1(VALU_DEP_3)
	v_div_scale_f32 v20, null, v19, v19, 1.0
	v_div_scale_f32 v28, vcc_lo, 1.0, v19, 1.0
	v_div_scale_f32 v15, null, v24, v24, v16
	s_delay_alu instid0(VALU_DEP_3) | instskip(NEXT) | instid1(VALU_DEP_1)
	v_rcp_f32_e32 v10, v20
	v_rcp_f32_e32 v25, v15
	s_delay_alu instid0(TRANS32_DEP_2) | instskip(NEXT) | instid1(VALU_DEP_1)
	v_fma_f32 v23, -v20, v10, 1.0
	v_fmac_f32_e32 v10, v23, v10
	s_delay_alu instid0(TRANS32_DEP_1) | instskip(NEXT) | instid1(VALU_DEP_1)
	v_fma_f32 v23, -v15, v25, 1.0
	v_fmac_f32_e32 v25, v23, v25
	v_div_scale_f32 v30, s0, v16, v24, v16
	s_delay_alu instid0(VALU_DEP_1) | instskip(SKIP_1) | instid1(VALU_DEP_1)
	v_mul_f32_e32 v31, v30, v25
	v_mul_f32_e32 v29, v28, v10
	v_fma_f32 v23, -v20, v29, v28
	s_delay_alu instid0(VALU_DEP_1) | instskip(NEXT) | instid1(VALU_DEP_4)
	v_fmac_f32_e32 v29, v23, v10
	v_fma_f32 v23, -v15, v31, v30
	s_delay_alu instid0(VALU_DEP_2) | instskip(NEXT) | instid1(VALU_DEP_2)
	v_fma_f32 v20, -v20, v29, v28
	v_fmac_f32_e32 v31, v23, v25
	s_wait_loadcnt 0x0
	v_mul_f32_e32 v23, v18, v18
	s_wait_alu 0xfffd
	v_div_fmas_f32 v10, v20, v10, v29
	v_fma_f32 v15, -v15, v31, v30
	s_mov_b32 vcc_lo, s0
	v_add_f32_e32 v20, v23, v23
	s_delay_alu instid0(VALU_DEP_3) | instskip(SKIP_2) | instid1(VALU_DEP_2)
	v_div_fixup_f32 v10, v10, |v26|, 1.0
	s_wait_alu 0xfffe
	v_div_fmas_f32 v18, v15, v25, v31
	v_add_f32_e32 v15, v10, v22
	s_delay_alu instid0(VALU_DEP_2) | instskip(SKIP_1) | instid1(VALU_DEP_2)
	v_div_fixup_f32 v18, v18, v24, v16
	v_mul_f32_e32 v20, v10, v20
	v_add_f32_e32 v18, v15, v18
	s_delay_alu instid0(VALU_DEP_1)
	v_cmp_ngt_f32_e32 vcc_lo, v18, v20
                                        ; implicit-def: $vgpr18
	s_and_saveexec_b32 s0, vcc_lo
	s_wait_alu 0xfffe
	s_xor_b32 s1, exec_lo, s0
	s_cbranch_execz .LBB21_135
; %bb.128:
	v_add_f32_e64 v18, |v26|, v21
	v_div_scale_f32 v22, null, v19, v19, v23
	s_delay_alu instid0(VALU_DEP_2) | instskip(NEXT) | instid1(VALU_DEP_2)
	v_div_scale_f32 v20, null, v18, v18, v16
	v_rcp_f32_e32 v25, v22
	v_div_scale_f32 v30, vcc_lo, v16, v18, v16
	s_delay_alu instid0(VALU_DEP_2) | instskip(NEXT) | instid1(TRANS32_DEP_2)
	v_rcp_f32_e32 v24, v20
	v_fma_f32 v29, -v22, v25, 1.0
	s_delay_alu instid0(TRANS32_DEP_1) | instskip(NEXT) | instid1(VALU_DEP_1)
	v_fma_f32 v28, -v20, v24, 1.0
	v_dual_fmac_f32 v25, v29, v25 :: v_dual_fmac_f32 v24, v28, v24
	v_div_scale_f32 v28, s0, v23, v19, v23
	s_delay_alu instid0(VALU_DEP_2) | instskip(NEXT) | instid1(VALU_DEP_1)
	v_mul_f32_e32 v29, v30, v24
	v_fma_f32 v32, -v20, v29, v30
	s_delay_alu instid0(VALU_DEP_1) | instskip(NEXT) | instid1(VALU_DEP_1)
	v_fmac_f32_e32 v29, v32, v24
	v_fma_f32 v20, -v20, v29, v30
	s_wait_alu 0xfffd
	s_delay_alu instid0(VALU_DEP_1) | instskip(SKIP_1) | instid1(VALU_DEP_1)
	v_div_fmas_f32 v20, v20, v24, v29
	s_mov_b32 vcc_lo, s0
	v_div_fixup_f32 v18, v20, v18, v16
	v_mul_f32_e32 v31, v28, v25
	s_delay_alu instid0(VALU_DEP_1) | instskip(NEXT) | instid1(VALU_DEP_1)
	v_fma_f32 v33, -v22, v31, v28
	v_fmac_f32_e32 v31, v33, v25
	s_delay_alu instid0(VALU_DEP_1) | instskip(SKIP_1) | instid1(VALU_DEP_1)
	v_fma_f32 v22, -v22, v31, v28
	s_wait_alu 0xfffe
	v_div_fmas_f32 v22, v22, v25, v31
	s_delay_alu instid0(VALU_DEP_1) | instskip(NEXT) | instid1(VALU_DEP_1)
	v_div_fixup_f32 v20, v22, |v26|, v23
	v_add_f32_e32 v18, v18, v20
	s_delay_alu instid0(VALU_DEP_1)
	v_cmp_nle_f32_e32 vcc_lo, v15, v18
	v_mov_b32_e32 v18, v19
	s_and_saveexec_b32 s2, vcc_lo
	s_cbranch_execz .LBB21_134
; %bb.129:
	v_mul_f32_e32 v20, v21, v23
	v_fma_f32 v16, -v21, v15, v16
	s_delay_alu instid0(VALU_DEP_2) | instskip(NEXT) | instid1(VALU_DEP_2)
	v_mul_f32_e32 v18, 4.0, v20
	v_add_f32_e32 v16, v23, v16
	s_delay_alu instid0(VALU_DEP_2) | instskip(NEXT) | instid1(VALU_DEP_1)
	v_mul_f32_e32 v18, v15, v18
	v_fmac_f32_e32 v18, v16, v16
	s_delay_alu instid0(VALU_DEP_1) | instskip(SKIP_2) | instid1(VALU_DEP_2)
	v_mul_f32_e32 v21, 0x4f800000, v18
	v_cmp_gt_f32_e32 vcc_lo, 0xf800000, v18
	s_wait_alu 0xfffd
	v_cndmask_b32_e32 v18, v18, v21, vcc_lo
	s_delay_alu instid0(VALU_DEP_1) | instskip(NEXT) | instid1(TRANS32_DEP_1)
	v_sqrt_f32_e32 v21, v18
	v_add_nc_u32_e32 v22, -1, v21
	v_add_nc_u32_e32 v23, 1, v21
	s_delay_alu instid0(VALU_DEP_2) | instskip(NEXT) | instid1(VALU_DEP_2)
	v_fma_f32 v24, -v22, v21, v18
	v_fma_f32 v25, -v23, v21, v18
	s_delay_alu instid0(VALU_DEP_2) | instskip(SKIP_1) | instid1(VALU_DEP_1)
	v_cmp_ge_f32_e64 s0, 0, v24
	s_wait_alu 0xf1ff
	v_cndmask_b32_e64 v21, v21, v22, s0
	s_delay_alu instid0(VALU_DEP_3) | instskip(SKIP_1) | instid1(VALU_DEP_1)
	v_cmp_lt_f32_e64 s0, 0, v25
	s_wait_alu 0xf1ff
	v_cndmask_b32_e64 v21, v21, v23, s0
	s_mov_b32 s0, exec_lo
	s_delay_alu instid0(VALU_DEP_1) | instskip(NEXT) | instid1(VALU_DEP_1)
	v_mul_f32_e32 v22, 0x37800000, v21
	v_cndmask_b32_e32 v21, v21, v22, vcc_lo
	v_cmp_class_f32_e64 vcc_lo, v18, 0x260
	s_wait_alu 0xfffd
	s_delay_alu instid0(VALU_DEP_2)
	v_cndmask_b32_e32 v21, v21, v18, vcc_lo
                                        ; implicit-def: $vgpr18
	v_cmpx_ngt_f32_e32 0, v16
	s_wait_alu 0xfffe
	s_xor_b32 s0, exec_lo, s0
	s_cbranch_execz .LBB21_131
; %bb.130:
	v_dual_add_f32 v16, v16, v21 :: v_dual_add_f32 v15, v15, v15
	s_delay_alu instid0(VALU_DEP_1) | instskip(NEXT) | instid1(VALU_DEP_1)
	v_div_scale_f32 v18, null, v15, v15, v16
	v_rcp_f32_e32 v20, v18
	s_delay_alu instid0(TRANS32_DEP_1) | instskip(NEXT) | instid1(VALU_DEP_1)
	v_fma_f32 v21, -v18, v20, 1.0
	v_fmac_f32_e32 v20, v21, v20
	v_div_scale_f32 v21, vcc_lo, v16, v15, v16
	s_delay_alu instid0(VALU_DEP_1) | instskip(NEXT) | instid1(VALU_DEP_1)
	v_mul_f32_e32 v22, v21, v20
	v_fma_f32 v23, -v18, v22, v21
	s_delay_alu instid0(VALU_DEP_1) | instskip(NEXT) | instid1(VALU_DEP_1)
	v_fmac_f32_e32 v22, v23, v20
	v_fma_f32 v18, -v18, v22, v21
                                        ; implicit-def: $vgpr21
	s_wait_alu 0xfffd
	s_delay_alu instid0(VALU_DEP_1) | instskip(NEXT) | instid1(VALU_DEP_1)
	v_div_fmas_f32 v18, v18, v20, v22
                                        ; implicit-def: $vgpr20
	v_div_fixup_f32 v18, v18, v15, v16
                                        ; implicit-def: $vgpr16
.LBB21_131:
	s_wait_alu 0xfffe
	s_and_not1_saveexec_b32 s0, s0
	s_cbranch_execz .LBB21_133
; %bb.132:
	v_add_f32_e32 v15, v20, v20
	v_sub_f32_e32 v16, v21, v16
	s_delay_alu instid0(VALU_DEP_1) | instskip(NEXT) | instid1(VALU_DEP_1)
	v_div_scale_f32 v18, null, v16, v16, v15
	v_rcp_f32_e32 v20, v18
	s_delay_alu instid0(TRANS32_DEP_1) | instskip(NEXT) | instid1(VALU_DEP_1)
	v_fma_f32 v21, -v18, v20, 1.0
	v_fmac_f32_e32 v20, v21, v20
	v_div_scale_f32 v21, vcc_lo, v15, v16, v15
	s_delay_alu instid0(VALU_DEP_1) | instskip(NEXT) | instid1(VALU_DEP_1)
	v_mul_f32_e32 v22, v21, v20
	v_fma_f32 v23, -v18, v22, v21
	s_delay_alu instid0(VALU_DEP_1) | instskip(NEXT) | instid1(VALU_DEP_1)
	v_fmac_f32_e32 v22, v23, v20
	v_fma_f32 v18, -v18, v22, v21
	s_wait_alu 0xfffd
	s_delay_alu instid0(VALU_DEP_1) | instskip(NEXT) | instid1(VALU_DEP_1)
	v_div_fmas_f32 v18, v18, v20, v22
	v_div_fixup_f32 v18, v18, v16, v15
.LBB21_133:
	s_wait_alu 0xfffe
	s_or_b32 exec_lo, exec_lo, s0
.LBB21_134:
	s_wait_alu 0xfffe
	s_or_b32 exec_lo, exec_lo, s2
                                        ; implicit-def: $vgpr21
                                        ; implicit-def: $vgpr15
                                        ; implicit-def: $vgpr16
                                        ; implicit-def: $vgpr23
.LBB21_135:
	s_wait_alu 0xfffe
	s_or_saveexec_b32 s1, s1
	v_mov_b32_e32 v20, v17
	s_wait_alu 0xfffe
	s_xor_b32 exec_lo, exec_lo, s1
	s_cbranch_execz .LBB21_141
; %bb.136:
	v_fma_f32 v16, -v21, v15, v16
	s_delay_alu instid0(VALU_DEP_1) | instskip(NEXT) | instid1(VALU_DEP_1)
	v_dual_mul_f32 v19, v21, v23 :: v_dual_add_f32 v16, v23, v16
	v_mul_f32_e32 v18, 4.0, v19
	s_delay_alu instid0(VALU_DEP_1) | instskip(NEXT) | instid1(VALU_DEP_1)
	v_mul_f32_e32 v18, v15, v18
	v_fmac_f32_e32 v18, v16, v16
	s_delay_alu instid0(VALU_DEP_1) | instskip(SKIP_2) | instid1(VALU_DEP_2)
	v_mul_f32_e32 v20, 0x4f800000, v18
	v_cmp_gt_f32_e32 vcc_lo, 0xf800000, v18
	s_wait_alu 0xfffd
	v_cndmask_b32_e32 v18, v18, v20, vcc_lo
	s_delay_alu instid0(VALU_DEP_1) | instskip(NEXT) | instid1(TRANS32_DEP_1)
	v_sqrt_f32_e32 v20, v18
	v_add_nc_u32_e32 v21, -1, v20
	v_add_nc_u32_e32 v22, 1, v20
	s_delay_alu instid0(VALU_DEP_2) | instskip(NEXT) | instid1(VALU_DEP_2)
	v_fma_f32 v23, -v21, v20, v18
	v_fma_f32 v24, -v22, v20, v18
	s_delay_alu instid0(VALU_DEP_2) | instskip(SKIP_1) | instid1(VALU_DEP_1)
	v_cmp_ge_f32_e64 s0, 0, v23
	s_wait_alu 0xf1ff
	v_cndmask_b32_e64 v20, v20, v21, s0
	s_delay_alu instid0(VALU_DEP_3) | instskip(SKIP_1) | instid1(VALU_DEP_1)
	v_cmp_lt_f32_e64 s0, 0, v24
	s_wait_alu 0xf1ff
	v_cndmask_b32_e64 v20, v20, v22, s0
	s_mov_b32 s0, exec_lo
	s_delay_alu instid0(VALU_DEP_1) | instskip(NEXT) | instid1(VALU_DEP_1)
	v_mul_f32_e32 v21, 0x37800000, v20
	v_cndmask_b32_e32 v20, v20, v21, vcc_lo
	v_cmp_class_f32_e64 vcc_lo, v18, 0x260
	s_wait_alu 0xfffd
	s_delay_alu instid0(VALU_DEP_2)
	v_cndmask_b32_e32 v20, v20, v18, vcc_lo
                                        ; implicit-def: $vgpr18
	v_cmpx_ngt_f32_e32 0, v16
	s_wait_alu 0xfffe
	s_xor_b32 s0, exec_lo, s0
	s_cbranch_execz .LBB21_138
; %bb.137:
	v_dual_add_f32 v16, v16, v20 :: v_dual_add_f32 v15, v15, v15
	s_delay_alu instid0(VALU_DEP_1) | instskip(NEXT) | instid1(VALU_DEP_1)
	v_div_scale_f32 v18, null, v15, v15, v16
	v_rcp_f32_e32 v19, v18
	s_delay_alu instid0(TRANS32_DEP_1) | instskip(NEXT) | instid1(VALU_DEP_1)
	v_fma_f32 v20, -v18, v19, 1.0
	v_fmac_f32_e32 v19, v20, v19
	v_div_scale_f32 v20, vcc_lo, v16, v15, v16
	s_delay_alu instid0(VALU_DEP_1) | instskip(NEXT) | instid1(VALU_DEP_1)
	v_mul_f32_e32 v21, v20, v19
	v_fma_f32 v22, -v18, v21, v20
	s_delay_alu instid0(VALU_DEP_1) | instskip(NEXT) | instid1(VALU_DEP_1)
	v_fmac_f32_e32 v21, v22, v19
	v_fma_f32 v18, -v18, v21, v20
                                        ; implicit-def: $vgpr20
	s_wait_alu 0xfffd
	s_delay_alu instid0(VALU_DEP_1) | instskip(NEXT) | instid1(VALU_DEP_1)
	v_div_fmas_f32 v18, v18, v19, v21
                                        ; implicit-def: $vgpr19
	v_div_fixup_f32 v18, v18, v15, v16
                                        ; implicit-def: $vgpr16
.LBB21_138:
	s_wait_alu 0xfffe
	s_and_not1_saveexec_b32 s0, s0
	s_cbranch_execz .LBB21_140
; %bb.139:
	v_dual_add_f32 v15, v19, v19 :: v_dual_sub_f32 v16, v20, v16
	s_delay_alu instid0(VALU_DEP_1) | instskip(NEXT) | instid1(VALU_DEP_1)
	v_div_scale_f32 v18, null, v16, v16, v15
	v_rcp_f32_e32 v19, v18
	s_delay_alu instid0(TRANS32_DEP_1) | instskip(NEXT) | instid1(VALU_DEP_1)
	v_fma_f32 v20, -v18, v19, 1.0
	v_fmac_f32_e32 v19, v20, v19
	v_div_scale_f32 v20, vcc_lo, v15, v16, v15
	s_delay_alu instid0(VALU_DEP_1) | instskip(NEXT) | instid1(VALU_DEP_1)
	v_mul_f32_e32 v21, v20, v19
	v_fma_f32 v22, -v18, v21, v20
	s_delay_alu instid0(VALU_DEP_1) | instskip(NEXT) | instid1(VALU_DEP_1)
	v_fmac_f32_e32 v21, v22, v19
	v_fma_f32 v18, -v18, v21, v20
	s_wait_alu 0xfffd
	s_delay_alu instid0(VALU_DEP_1) | instskip(NEXT) | instid1(VALU_DEP_1)
	v_div_fmas_f32 v18, v18, v19, v21
	v_div_fixup_f32 v18, v18, v16, v15
.LBB21_140:
	s_wait_alu 0xfffe
	s_or_b32 exec_lo, exec_lo, s0
	v_dual_mov_b32 v20, 0 :: v_dual_mov_b32 v19, v17
.LBB21_141:
	s_or_b32 exec_lo, exec_lo, s1
	v_cmp_lt_i32_e64 s0, 1, v14
	v_mov_b32_e32 v14, v27
	s_and_saveexec_b32 s2, s0
	s_cbranch_execz .LBB21_145
; %bb.142:
	v_dual_mov_b32 v15, v3 :: v_dual_mov_b32 v14, v2
	v_mov_b32_e32 v16, v11
	s_mov_b32 s4, 0
.LBB21_143:                             ; =>This Inner Loop Header: Depth=1
	global_load_b32 v17, v[14:15], off
	s_wait_loadcnt 0x0
	v_dual_sub_f32 v17, v17, v27 :: v_dual_add_nc_u32 v16, -1, v16
	s_delay_alu instid0(VALU_DEP_1)
	v_cmp_eq_u32_e32 vcc_lo, 0, v16
	global_store_b32 v[14:15], v17, off
	v_add_co_u32 v14, s1, v14, 4
	s_wait_alu 0xf1ff
	v_add_co_ci_u32_e64 v15, null, 0, v15, s1
	s_wait_alu 0xfffe
	s_or_b32 s4, vcc_lo, s4
	s_wait_alu 0xfffe
	s_and_not1_b32 exec_lo, exec_lo, s4
	s_cbranch_execnz .LBB21_143
; %bb.144:
	s_or_b32 exec_lo, exec_lo, s4
	global_load_b32 v14, v[4:5], off
.LBB21_145:
	s_wait_alu 0xfffe
	s_or_b32 exec_lo, exec_lo, s2
	s_wait_loadcnt 0x0
	v_dual_sub_f32 v14, v14, v27 :: v_dual_mov_b32 v21, 0
	v_dual_mov_b32 v15, 0 :: v_dual_mov_b32 v22, 0
	global_store_b32 v[4:5], v14, off
	s_and_saveexec_b32 s2, s0
	s_cbranch_execz .LBB21_149
; %bb.146:
	v_mov_b32_e32 v15, v7
	v_dual_mov_b32 v17, v3 :: v_dual_mov_b32 v24, v11
	v_dual_mov_b32 v21, 0 :: v_dual_mov_b32 v14, v6
	;; [unrolled: 1-line block ×3, first 2 shown]
	v_mov_b32_e32 v22, 0
	s_mov_b32 s4, 0
.LBB21_147:                             ; =>This Inner Loop Header: Depth=1
	global_load_b32 v25, v[16:17], off
	s_wait_loadcnt 0x0
	v_dual_sub_f32 v25, v25, v18 :: v_dual_add_nc_u32 v24, -1, v24
	global_store_b32 v[16:17], v25, off
	global_load_b32 v28, v[14:15], off
	v_add_co_u32 v16, s1, v16, 4
	s_wait_alu 0xf1ff
	v_add_co_ci_u32_e64 v17, null, 0, v17, s1
	v_add_co_u32 v14, s1, v14, 4
	s_wait_alu 0xf1ff
	v_add_co_ci_u32_e64 v15, null, 0, v15, s1
	s_wait_loadcnt 0x0
	v_div_scale_f32 v29, null, v25, v25, v28
	v_div_scale_f32 v32, vcc_lo, v28, v25, v28
	s_delay_alu instid0(VALU_DEP_2) | instskip(NEXT) | instid1(TRANS32_DEP_1)
	v_rcp_f32_e32 v30, v29
	v_fma_f32 v31, -v29, v30, 1.0
	s_delay_alu instid0(VALU_DEP_1) | instskip(NEXT) | instid1(VALU_DEP_1)
	v_fmac_f32_e32 v30, v31, v30
	v_mul_f32_e32 v31, v32, v30
	s_delay_alu instid0(VALU_DEP_1) | instskip(NEXT) | instid1(VALU_DEP_1)
	v_fma_f32 v33, -v29, v31, v32
	v_fmac_f32_e32 v31, v33, v30
	s_delay_alu instid0(VALU_DEP_1) | instskip(SKIP_1) | instid1(VALU_DEP_1)
	v_fma_f32 v29, -v29, v31, v32
	s_wait_alu 0xfffd
	v_div_fmas_f32 v29, v29, v30, v31
	v_cmp_eq_u32_e32 vcc_lo, 0, v24
	s_delay_alu instid0(VALU_DEP_2) | instskip(SKIP_2) | instid1(VALU_DEP_1)
	v_div_fixup_f32 v25, v29, v25, v28
	s_wait_alu 0xfffe
	s_or_b32 s4, vcc_lo, s4
	v_fmac_f32_e32 v22, v28, v25
	v_fmac_f32_e32 v21, v25, v25
	s_delay_alu instid0(VALU_DEP_2)
	v_add_f32_e32 v23, v23, v22
	s_wait_alu 0xfffe
	s_and_not1_b32 exec_lo, exec_lo, s4
	s_cbranch_execnz .LBB21_147
; %bb.148:
	s_or_b32 exec_lo, exec_lo, s4
	global_load_b32 v14, v[4:5], off
	v_and_b32_e32 v15, 0x7fffffff, v23
.LBB21_149:
	s_wait_alu 0xfffe
	s_or_b32 exec_lo, exec_lo, s2
	s_wait_loadcnt 0x0
	v_sub_f32_e32 v14, v14, v18
	s_mov_b32 s4, exec_lo
	global_store_b32 v[4:5], v14, off
	global_load_b32 v16, v[12:13], off
	s_wait_loadcnt 0x0
	v_div_scale_f32 v17, null, v14, v14, v16
	s_delay_alu instid0(VALU_DEP_1) | instskip(NEXT) | instid1(TRANS32_DEP_1)
	v_rcp_f32_e32 v23, v17
	v_fma_f32 v24, -v17, v23, 1.0
	s_delay_alu instid0(VALU_DEP_1) | instskip(SKIP_1) | instid1(VALU_DEP_1)
	v_fmac_f32_e32 v23, v24, v23
	v_div_scale_f32 v24, vcc_lo, v16, v14, v16
	v_mul_f32_e32 v25, v24, v23
	s_delay_alu instid0(VALU_DEP_1) | instskip(NEXT) | instid1(VALU_DEP_1)
	v_fma_f32 v28, -v17, v25, v24
	v_fmac_f32_e32 v25, v28, v23
	s_delay_alu instid0(VALU_DEP_1) | instskip(SKIP_1) | instid1(VALU_DEP_1)
	v_fma_f32 v17, -v17, v25, v24
	s_wait_alu 0xfffd
	v_div_fmas_f32 v17, v17, v23, v25
	s_delay_alu instid0(VALU_DEP_1) | instskip(NEXT) | instid1(VALU_DEP_1)
	v_div_fixup_f32 v17, v17, v14, v16
	v_fma_f32 v23, v16, v17, 0
	v_fma_f32 v16, v17, v17, v21
	s_delay_alu instid0(VALU_DEP_2) | instskip(SKIP_1) | instid1(VALU_DEP_2)
	v_add_f32_e32 v24, v22, v23
	v_dual_add_f32 v15, v15, v23 :: v_dual_add_f32 v22, v10, v22
	v_mul_f32_e32 v24, 0xc1000000, v24
	s_delay_alu instid0(VALU_DEP_1) | instskip(NEXT) | instid1(VALU_DEP_1)
	v_fma_f32 v24, |v18|, v16, v24
	v_sub_f32_e32 v24, v24, v23
	s_delay_alu instid0(VALU_DEP_1) | instskip(NEXT) | instid1(VALU_DEP_1)
	v_add_f32_e32 v24, v10, v24
	v_dual_add_f32 v24, v15, v24 :: v_dual_add_f32 v15, v22, v23
	s_delay_alu instid0(VALU_DEP_1) | instskip(NEXT) | instid1(VALU_DEP_1)
	v_mul_f32_e32 v22, s7, v24
	v_cmpx_nle_f32_e64 |v15|, v22
	s_cbranch_execz .LBB21_191
; %bb.150:
	global_load_b32 v23, v[8:9], off offset:-8
	v_mul_f32_e32 v17, v17, v17
	v_cmp_lt_f32_e32 vcc_lo, 0, v15
	v_cmp_lt_f32_e64 s1, v18, v19
	s_mov_b32 s5, exec_lo
                                        ; implicit-def: $vgpr22
	s_and_b32 s1, s1, vcc_lo
	s_wait_loadcnt 0x0
	v_fma_f32 v21, -v21, v23, v15
	s_delay_alu instid0(VALU_DEP_1) | instskip(NEXT) | instid1(VALU_DEP_1)
	v_fma_f32 v17, -v14, v17, v21
	v_cmpx_neq_f32_e32 0, v17
	s_wait_alu 0xfffe
	s_xor_b32 s5, exec_lo, s5
	s_cbranch_execz .LBB21_156
; %bb.151:
	v_mul_f32_e32 v22, v14, v23
	v_add_f32_e32 v23, v14, v23
	s_delay_alu instid0(VALU_DEP_2) | instskip(SKIP_1) | instid1(VALU_DEP_2)
	v_mul_f32_e32 v21, v15, v22
	v_mul_f32_e32 v22, v16, v22
	v_mul_f32_e32 v24, -4.0, v21
	s_delay_alu instid0(VALU_DEP_2) | instskip(NEXT) | instid1(VALU_DEP_2)
	v_fma_f32 v23, v15, v23, -v22
	v_mul_f32_e64 v22, v24, |v17|
	s_delay_alu instid0(VALU_DEP_1) | instskip(NEXT) | instid1(VALU_DEP_1)
	v_fmac_f32_e32 v22, v23, v23
	v_mul_f32_e64 v24, 0x4f800000, |v22|
	v_cmp_gt_f32_e64 vcc_lo, 0xf800000, |v22|
	s_wait_alu 0xfffd
	s_delay_alu instid0(VALU_DEP_1) | instskip(NEXT) | instid1(VALU_DEP_1)
	v_cndmask_b32_e64 v22, |v22|, v24, vcc_lo
	v_sqrt_f32_e32 v24, v22
	s_delay_alu instid0(TRANS32_DEP_1) | instskip(SKIP_1) | instid1(VALU_DEP_2)
	v_add_nc_u32_e32 v25, -1, v24
	v_add_nc_u32_e32 v28, 1, v24
	v_fma_f32 v29, -v25, v24, v22
	s_delay_alu instid0(VALU_DEP_2) | instskip(NEXT) | instid1(VALU_DEP_2)
	v_fma_f32 v30, -v28, v24, v22
	v_cmp_ge_f32_e64 s2, 0, v29
	s_wait_alu 0xf1ff
	s_delay_alu instid0(VALU_DEP_1) | instskip(NEXT) | instid1(VALU_DEP_3)
	v_cndmask_b32_e64 v24, v24, v25, s2
	v_cmp_lt_f32_e64 s2, 0, v30
	s_wait_alu 0xf1ff
	s_delay_alu instid0(VALU_DEP_1) | instskip(SKIP_1) | instid1(VALU_DEP_1)
	v_cndmask_b32_e64 v24, v24, v28, s2
	s_mov_b32 s2, exec_lo
	v_mul_f32_e32 v25, 0x37800000, v24
	s_delay_alu instid0(VALU_DEP_1) | instskip(SKIP_2) | instid1(VALU_DEP_2)
	v_cndmask_b32_e32 v24, v24, v25, vcc_lo
	v_cmp_class_f32_e64 vcc_lo, v22, 0x260
	s_wait_alu 0xfffd
	v_cndmask_b32_e32 v24, v24, v22, vcc_lo
                                        ; implicit-def: $vgpr22
	v_cmpx_le_f32_e32 0, v23
	s_wait_alu 0xfffe
	s_xor_b32 s2, exec_lo, s2
	s_cbranch_execz .LBB21_153
; %bb.152:
	v_add_f32_e32 v21, v23, v24
	v_add_f32_e64 v17, |v17|, |v17|
	s_delay_alu instid0(VALU_DEP_1) | instskip(NEXT) | instid1(VALU_DEP_1)
	v_div_scale_f32 v22, null, v17, v17, v21
	v_rcp_f32_e32 v23, v22
	s_delay_alu instid0(TRANS32_DEP_1) | instskip(NEXT) | instid1(VALU_DEP_1)
	v_fma_f32 v24, -v22, v23, 1.0
	v_fmac_f32_e32 v23, v24, v23
	v_div_scale_f32 v24, vcc_lo, v21, v17, v21
	s_delay_alu instid0(VALU_DEP_1) | instskip(NEXT) | instid1(VALU_DEP_1)
	v_mul_f32_e32 v25, v24, v23
	v_fma_f32 v28, -v22, v25, v24
	s_delay_alu instid0(VALU_DEP_1) | instskip(NEXT) | instid1(VALU_DEP_1)
	v_fmac_f32_e32 v25, v28, v23
	v_fma_f32 v22, -v22, v25, v24
                                        ; implicit-def: $vgpr24
	s_wait_alu 0xfffd
	s_delay_alu instid0(VALU_DEP_1) | instskip(NEXT) | instid1(VALU_DEP_1)
	v_div_fmas_f32 v22, v22, v23, v25
                                        ; implicit-def: $vgpr23
	v_div_fixup_f32 v22, v22, v17, v21
                                        ; implicit-def: $vgpr21
.LBB21_153:
	s_wait_alu 0xfffe
	s_and_not1_saveexec_b32 s2, s2
	s_cbranch_execz .LBB21_155
; %bb.154:
	v_add_f32_e32 v17, v21, v21
	v_sub_f32_e32 v21, v23, v24
	s_delay_alu instid0(VALU_DEP_1) | instskip(NEXT) | instid1(VALU_DEP_1)
	v_div_scale_f32 v22, null, v21, v21, v17
	v_rcp_f32_e32 v23, v22
	s_delay_alu instid0(TRANS32_DEP_1) | instskip(NEXT) | instid1(VALU_DEP_1)
	v_fma_f32 v24, -v22, v23, 1.0
	v_fmac_f32_e32 v23, v24, v23
	v_div_scale_f32 v24, vcc_lo, v17, v21, v17
	s_delay_alu instid0(VALU_DEP_1) | instskip(NEXT) | instid1(VALU_DEP_1)
	v_mul_f32_e32 v25, v24, v23
	v_fma_f32 v28, -v22, v25, v24
	s_delay_alu instid0(VALU_DEP_1) | instskip(NEXT) | instid1(VALU_DEP_1)
	v_fmac_f32_e32 v25, v28, v23
	v_fma_f32 v22, -v22, v25, v24
	s_wait_alu 0xfffd
	s_delay_alu instid0(VALU_DEP_1) | instskip(NEXT) | instid1(VALU_DEP_1)
	v_div_fmas_f32 v22, v22, v23, v25
	v_div_fixup_f32 v22, v22, v21, v17
.LBB21_155:
	s_wait_alu 0xfffe
	s_or_b32 exec_lo, exec_lo, s2
.LBB21_156:
	s_wait_alu 0xfffe
	s_or_saveexec_b32 s2, s5
	v_cndmask_b32_e64 v19, v19, v18, s1
	s_wait_alu 0xfffe
	s_xor_b32 exec_lo, exec_lo, s2
; %bb.157:
	s_delay_alu instid0(VALU_DEP_1)
	v_sub_f32_e32 v22, v19, v18
; %bb.158:
	s_or_b32 exec_lo, exec_lo, s2
	s_delay_alu instid0(VALU_DEP_1) | instskip(SKIP_1) | instid1(VALU_DEP_1)
	v_mul_f32_e32 v17, v15, v22
	s_mov_b32 s1, exec_lo
	v_cmpx_lt_f32_e32 0, v17
	s_cbranch_execz .LBB21_160
; %bb.159:
	v_div_scale_f32 v17, null, v16, v16, -v15
	s_delay_alu instid0(VALU_DEP_1) | instskip(NEXT) | instid1(TRANS32_DEP_1)
	v_rcp_f32_e32 v21, v17
	v_fma_f32 v22, -v17, v21, 1.0
	s_delay_alu instid0(VALU_DEP_1) | instskip(SKIP_1) | instid1(VALU_DEP_1)
	v_fmac_f32_e32 v21, v22, v21
	v_div_scale_f32 v22, vcc_lo, -v15, v16, -v15
	v_mul_f32_e32 v23, v22, v21
	s_delay_alu instid0(VALU_DEP_1) | instskip(NEXT) | instid1(VALU_DEP_1)
	v_fma_f32 v24, -v17, v23, v22
	v_fmac_f32_e32 v23, v24, v21
	s_delay_alu instid0(VALU_DEP_1) | instskip(SKIP_1) | instid1(VALU_DEP_1)
	v_fma_f32 v17, -v17, v23, v22
	s_wait_alu 0xfffd
	v_div_fmas_f32 v17, v17, v21, v23
	s_delay_alu instid0(VALU_DEP_1)
	v_div_fixup_f32 v22, v17, v16, -v15
.LBB21_160:
	s_wait_alu 0xfffe
	s_or_b32 exec_lo, exec_lo, s1
	v_cmp_lt_f32_e32 vcc_lo, v20, v18
	s_wait_alu 0xfffd
	v_cndmask_b32_e32 v16, v20, v18, vcc_lo
	v_cmp_nge_f32_e32 vcc_lo, 0, v15
	s_wait_alu 0xfffd
	s_delay_alu instid0(VALU_DEP_2) | instskip(NEXT) | instid1(VALU_DEP_1)
	v_dual_add_f32 v17, v18, v22 :: v_dual_cndmask_b32 v20, v16, v20
	v_cmp_gt_f32_e32 vcc_lo, v17, v19
	s_delay_alu instid0(VALU_DEP_2)
	v_cmp_lt_f32_e64 s1, v17, v20
	s_or_b32 s2, vcc_lo, s1
	s_wait_alu 0xfffe
	s_and_saveexec_b32 s1, s2
	s_cbranch_execz .LBB21_166
; %bb.161:
	s_mov_b32 s2, exec_lo
                                        ; implicit-def: $vgpr22
	v_cmpx_ngt_f32_e32 0, v15
	s_wait_alu 0xfffe
	s_xor_b32 s2, exec_lo, s2
; %bb.162:
	v_sub_f32_e32 v15, v20, v18
	s_delay_alu instid0(VALU_DEP_1)
	v_mul_f32_e32 v22, 0.5, v15
; %bb.163:
	s_wait_alu 0xfffe
	s_and_not1_saveexec_b32 s2, s2
; %bb.164:
	v_sub_f32_e32 v15, v19, v18
	s_delay_alu instid0(VALU_DEP_1)
	v_mul_f32_e32 v22, 0.5, v15
; %bb.165:
	s_wait_alu 0xfffe
	s_or_b32 exec_lo, exec_lo, s2
.LBB21_166:
	s_wait_alu 0xfffe
	s_or_b32 exec_lo, exec_lo, s1
	v_mov_b32_e32 v21, 0
	v_mov_b32_e32 v15, 0
	;; [unrolled: 1-line block ×3, first 2 shown]
	s_and_saveexec_b32 s2, s0
	s_cbranch_execz .LBB21_170
; %bb.167:
	v_mov_b32_e32 v15, v7
	v_dual_mov_b32 v17, v3 :: v_dual_mov_b32 v24, 0
	v_dual_mov_b32 v21, 0 :: v_dual_mov_b32 v14, v6
	;; [unrolled: 1-line block ×3, first 2 shown]
	v_mov_b32_e32 v23, 0
	s_mov_b32 s5, 0
.LBB21_168:                             ; =>This Inner Loop Header: Depth=1
	global_load_b32 v28, v[16:17], off
	s_wait_loadcnt 0x0
	v_dual_sub_f32 v28, v28, v22 :: v_dual_add_nc_u32 v25, -1, v25
	global_store_b32 v[16:17], v28, off
	global_load_b32 v29, v[14:15], off
	v_add_co_u32 v16, s1, v16, 4
	s_wait_alu 0xf1ff
	v_add_co_ci_u32_e64 v17, null, 0, v17, s1
	v_add_co_u32 v14, s1, v14, 4
	s_wait_alu 0xf1ff
	v_add_co_ci_u32_e64 v15, null, 0, v15, s1
	s_wait_loadcnt 0x0
	v_div_scale_f32 v30, null, v28, v28, v29
	v_div_scale_f32 v33, vcc_lo, v29, v28, v29
	s_delay_alu instid0(VALU_DEP_2) | instskip(NEXT) | instid1(TRANS32_DEP_1)
	v_rcp_f32_e32 v31, v30
	v_fma_f32 v32, -v30, v31, 1.0
	s_delay_alu instid0(VALU_DEP_1) | instskip(NEXT) | instid1(VALU_DEP_1)
	v_fmac_f32_e32 v31, v32, v31
	v_mul_f32_e32 v32, v33, v31
	s_delay_alu instid0(VALU_DEP_1) | instskip(NEXT) | instid1(VALU_DEP_1)
	v_fma_f32 v34, -v30, v32, v33
	v_fmac_f32_e32 v32, v34, v31
	s_delay_alu instid0(VALU_DEP_1) | instskip(SKIP_1) | instid1(VALU_DEP_1)
	v_fma_f32 v30, -v30, v32, v33
	s_wait_alu 0xfffd
	v_div_fmas_f32 v30, v30, v31, v32
	v_cmp_eq_u32_e32 vcc_lo, 0, v25
	s_delay_alu instid0(VALU_DEP_2) | instskip(SKIP_2) | instid1(VALU_DEP_1)
	v_div_fixup_f32 v28, v30, v28, v29
	s_wait_alu 0xfffe
	s_or_b32 s5, vcc_lo, s5
	v_fmac_f32_e32 v23, v29, v28
	v_fmac_f32_e32 v21, v28, v28
	s_delay_alu instid0(VALU_DEP_2)
	v_add_f32_e32 v24, v24, v23
	s_wait_alu 0xfffe
	s_and_not1_b32 exec_lo, exec_lo, s5
	s_cbranch_execnz .LBB21_168
; %bb.169:
	s_or_b32 exec_lo, exec_lo, s5
	global_load_b32 v14, v[4:5], off
	v_and_b32_e32 v15, 0x7fffffff, v24
.LBB21_170:
	s_wait_alu 0xfffe
	s_or_b32 exec_lo, exec_lo, s2
	s_wait_loadcnt 0x0
	v_sub_f32_e32 v14, v14, v22
	v_add_f32_e32 v18, v18, v22
	s_mov_b32 s5, exec_lo
	global_store_b32 v[4:5], v14, off
	global_load_b32 v17, v[12:13], off
	s_wait_loadcnt 0x0
	v_div_scale_f32 v16, null, v14, v14, v17
	s_delay_alu instid0(VALU_DEP_1) | instskip(NEXT) | instid1(TRANS32_DEP_1)
	v_rcp_f32_e32 v24, v16
	v_fma_f32 v25, -v16, v24, 1.0
	s_delay_alu instid0(VALU_DEP_1) | instskip(SKIP_1) | instid1(VALU_DEP_1)
	v_fmac_f32_e32 v24, v25, v24
	v_div_scale_f32 v25, vcc_lo, v17, v14, v17
	v_mul_f32_e32 v28, v25, v24
	s_delay_alu instid0(VALU_DEP_1) | instskip(NEXT) | instid1(VALU_DEP_1)
	v_fma_f32 v29, -v16, v28, v25
	v_fmac_f32_e32 v28, v29, v24
	s_delay_alu instid0(VALU_DEP_1) | instskip(SKIP_1) | instid1(VALU_DEP_1)
	v_fma_f32 v16, -v16, v28, v25
	s_wait_alu 0xfffd
	v_div_fmas_f32 v16, v16, v24, v28
	s_delay_alu instid0(VALU_DEP_1) | instskip(NEXT) | instid1(VALU_DEP_1)
	v_div_fixup_f32 v16, v16, v14, v17
	v_fma_f32 v17, v17, v16, 0
	v_fma_f32 v22, v16, v16, v21
	s_delay_alu instid0(VALU_DEP_2) | instskip(SKIP_1) | instid1(VALU_DEP_2)
	v_add_f32_e32 v24, v23, v17
	v_add_f32_e32 v15, v15, v17
	v_dual_add_f32 v23, v10, v23 :: v_dual_mul_f32 v24, 0xc1000000, v24
	s_delay_alu instid0(VALU_DEP_1) | instskip(NEXT) | instid1(VALU_DEP_1)
	v_fma_f32 v22, |v18|, v22, v24
	v_sub_f32_e32 v22, v22, v17
	s_delay_alu instid0(VALU_DEP_1) | instskip(NEXT) | instid1(VALU_DEP_1)
	v_add_f32_e32 v22, v10, v22
	v_add_f32_e32 v22, v15, v22
	;; [unrolled: 1-line block ×3, first 2 shown]
	s_delay_alu instid0(VALU_DEP_2) | instskip(NEXT) | instid1(VALU_DEP_1)
	v_mul_f32_e32 v17, s7, v22
	v_cmpx_nle_f32_e64 |v15|, v17
	s_cbranch_execz .LBB21_190
; %bb.171:
	v_mul_f32_e32 v22, v16, v16
	s_mov_b32 s8, 1
	s_mov_b32 s6, 0
	s_branch .LBB21_173
.LBB21_172:                             ;   in Loop: Header=BB21_173 Depth=1
	s_wait_alu 0xfffe
	s_or_b32 exec_lo, exec_lo, s2
	s_wait_loadcnt 0x0
	v_sub_f32_e32 v14, v14, v22
	s_add_co_i32 s1, s8, 1
	s_cmp_gt_u32 s8, 48
	s_cselect_b32 s8, -1, 0
	global_store_b32 v[4:5], v14, off
	global_load_b32 v16, v[12:13], off
	s_wait_loadcnt 0x0
	v_div_scale_f32 v17, null, v14, v14, v16
	s_delay_alu instid0(VALU_DEP_1) | instskip(NEXT) | instid1(TRANS32_DEP_1)
	v_rcp_f32_e32 v24, v17
	v_fma_f32 v25, -v17, v24, 1.0
	s_delay_alu instid0(VALU_DEP_1) | instskip(SKIP_1) | instid1(VALU_DEP_1)
	v_fmac_f32_e32 v24, v25, v24
	v_div_scale_f32 v25, vcc_lo, v16, v14, v16
	v_mul_f32_e32 v28, v25, v24
	s_delay_alu instid0(VALU_DEP_1) | instskip(NEXT) | instid1(VALU_DEP_1)
	v_fma_f32 v29, -v17, v28, v25
	v_fmac_f32_e32 v28, v29, v24
	s_delay_alu instid0(VALU_DEP_1) | instskip(SKIP_1) | instid1(VALU_DEP_1)
	v_fma_f32 v17, -v17, v28, v25
	s_wait_alu 0xfffd
	v_div_fmas_f32 v17, v17, v24, v28
	s_delay_alu instid0(VALU_DEP_1) | instskip(NEXT) | instid1(VALU_DEP_1)
	v_div_fixup_f32 v17, v17, v14, v16
	v_fma_f32 v16, v16, v17, 0
	s_delay_alu instid0(VALU_DEP_1) | instskip(SKIP_3) | instid1(VALU_DEP_4)
	v_dual_add_f32 v24, v23, v16 :: v_dual_add_f32 v23, v10, v23
	v_add_f32_e32 v18, v18, v22
	v_fma_f32 v22, v17, v17, v21
	v_add_f32_e32 v15, v15, v16
	v_mul_f32_e32 v24, 0xc1000000, v24
	s_delay_alu instid0(VALU_DEP_1) | instskip(NEXT) | instid1(VALU_DEP_1)
	v_fma_f32 v22, |v18|, v22, v24
	v_sub_f32_e32 v22, v22, v16
	s_delay_alu instid0(VALU_DEP_1) | instskip(NEXT) | instid1(VALU_DEP_1)
	v_add_f32_e32 v22, v10, v22
	v_add_f32_e32 v22, v15, v22
	s_delay_alu instid0(VALU_DEP_1) | instskip(SKIP_1) | instid1(VALU_DEP_2)
	v_dual_add_f32 v15, v23, v16 :: v_dual_mul_f32 v16, s7, v22
	v_mul_f32_e32 v22, v17, v17
	v_cmp_le_f32_e64 s2, |v15|, v16
	s_wait_alu 0xfffe
	s_or_b32 s2, s8, s2
	s_mov_b32 s8, s1
	s_wait_alu 0xfffe
	s_and_b32 s2, exec_lo, s2
	s_wait_alu 0xfffe
	s_or_b32 s6, s2, s6
	s_wait_alu 0xfffe
	s_and_not1_b32 exec_lo, exec_lo, s6
	s_cbranch_execz .LBB21_189
.LBB21_173:                             ; =>This Loop Header: Depth=1
                                        ;     Child Loop BB21_187 Depth 2
	global_load_b32 v23, v[8:9], off offset:-8
	s_wait_loadcnt 0x0
	v_mul_f32_e32 v24, v14, v23
	v_fma_f32 v25, -v21, v23, v15
	s_delay_alu instid0(VALU_DEP_2) | instskip(SKIP_1) | instid1(VALU_DEP_3)
	v_dual_add_f32 v16, v22, v21 :: v_dual_mul_f32 v17, v15, v24
	v_add_f32_e32 v21, v14, v23
	v_fma_f32 v23, -v14, v22, v25
	s_delay_alu instid0(VALU_DEP_3) | instskip(NEXT) | instid1(VALU_DEP_4)
	v_mul_f32_e32 v22, v16, v24
	v_mul_f32_e32 v24, -4.0, v17
	s_delay_alu instid0(VALU_DEP_2) | instskip(NEXT) | instid1(VALU_DEP_2)
	v_fma_f32 v21, v15, v21, -v22
	v_mul_f32_e32 v22, v24, v23
	s_delay_alu instid0(VALU_DEP_1) | instskip(NEXT) | instid1(VALU_DEP_1)
	v_fmac_f32_e32 v22, v21, v21
	v_mul_f32_e64 v24, 0x4f800000, |v22|
	v_cmp_gt_f32_e64 vcc_lo, 0xf800000, |v22|
	s_wait_alu 0xfffd
	s_delay_alu instid0(VALU_DEP_1) | instskip(NEXT) | instid1(VALU_DEP_1)
	v_cndmask_b32_e64 v22, |v22|, v24, vcc_lo
	v_sqrt_f32_e32 v24, v22
	s_delay_alu instid0(TRANS32_DEP_1) | instskip(SKIP_1) | instid1(VALU_DEP_2)
	v_add_nc_u32_e32 v25, -1, v24
	v_add_nc_u32_e32 v28, 1, v24
	v_fma_f32 v29, -v25, v24, v22
	s_delay_alu instid0(VALU_DEP_2) | instskip(NEXT) | instid1(VALU_DEP_2)
	v_fma_f32 v30, -v28, v24, v22
	v_cmp_ge_f32_e64 s1, 0, v29
	s_wait_alu 0xf1ff
	s_delay_alu instid0(VALU_DEP_1) | instskip(NEXT) | instid1(VALU_DEP_3)
	v_cndmask_b32_e64 v24, v24, v25, s1
	v_cmp_lt_f32_e64 s1, 0, v30
	s_wait_alu 0xf1ff
	s_delay_alu instid0(VALU_DEP_1) | instskip(SKIP_1) | instid1(VALU_DEP_1)
	v_cndmask_b32_e64 v24, v24, v28, s1
	s_mov_b32 s1, exec_lo
	v_mul_f32_e32 v25, 0x37800000, v24
	s_delay_alu instid0(VALU_DEP_1) | instskip(SKIP_2) | instid1(VALU_DEP_2)
	v_cndmask_b32_e32 v24, v24, v25, vcc_lo
	v_cmp_class_f32_e64 vcc_lo, v22, 0x260
	s_wait_alu 0xfffd
	v_cndmask_b32_e32 v24, v24, v22, vcc_lo
                                        ; implicit-def: $vgpr22
	v_cmpx_le_f32_e32 0, v21
	s_wait_alu 0xfffe
	s_xor_b32 s1, exec_lo, s1
	s_cbranch_execz .LBB21_175
; %bb.174:                              ;   in Loop: Header=BB21_173 Depth=1
	v_add_f32_e32 v17, v21, v24
	v_add_f32_e32 v21, v23, v23
	s_delay_alu instid0(VALU_DEP_1) | instskip(NEXT) | instid1(VALU_DEP_1)
	v_div_scale_f32 v22, null, v21, v21, v17
	v_rcp_f32_e32 v23, v22
	s_delay_alu instid0(TRANS32_DEP_1) | instskip(NEXT) | instid1(VALU_DEP_1)
	v_fma_f32 v24, -v22, v23, 1.0
	v_fmac_f32_e32 v23, v24, v23
	v_div_scale_f32 v24, vcc_lo, v17, v21, v17
	s_delay_alu instid0(VALU_DEP_1) | instskip(NEXT) | instid1(VALU_DEP_1)
	v_mul_f32_e32 v25, v24, v23
	v_fma_f32 v28, -v22, v25, v24
	s_delay_alu instid0(VALU_DEP_1) | instskip(NEXT) | instid1(VALU_DEP_1)
	v_fmac_f32_e32 v25, v28, v23
	v_fma_f32 v22, -v22, v25, v24
                                        ; implicit-def: $vgpr24
	s_wait_alu 0xfffd
	s_delay_alu instid0(VALU_DEP_1) | instskip(NEXT) | instid1(VALU_DEP_1)
	v_div_fmas_f32 v22, v22, v23, v25
	v_div_fixup_f32 v22, v22, v21, v17
                                        ; implicit-def: $vgpr17
                                        ; implicit-def: $vgpr21
.LBB21_175:                             ;   in Loop: Header=BB21_173 Depth=1
	s_wait_alu 0xfffe
	s_and_not1_saveexec_b32 s1, s1
	s_cbranch_execz .LBB21_177
; %bb.176:                              ;   in Loop: Header=BB21_173 Depth=1
	v_add_f32_e32 v17, v17, v17
	v_sub_f32_e32 v21, v21, v24
	s_delay_alu instid0(VALU_DEP_1) | instskip(NEXT) | instid1(VALU_DEP_1)
	v_div_scale_f32 v22, null, v21, v21, v17
	v_rcp_f32_e32 v23, v22
	s_delay_alu instid0(TRANS32_DEP_1) | instskip(NEXT) | instid1(VALU_DEP_1)
	v_fma_f32 v24, -v22, v23, 1.0
	v_fmac_f32_e32 v23, v24, v23
	v_div_scale_f32 v24, vcc_lo, v17, v21, v17
	s_delay_alu instid0(VALU_DEP_1) | instskip(NEXT) | instid1(VALU_DEP_1)
	v_mul_f32_e32 v25, v24, v23
	v_fma_f32 v28, -v22, v25, v24
	s_delay_alu instid0(VALU_DEP_1) | instskip(NEXT) | instid1(VALU_DEP_1)
	v_fmac_f32_e32 v25, v28, v23
	v_fma_f32 v22, -v22, v25, v24
	s_wait_alu 0xfffd
	s_delay_alu instid0(VALU_DEP_1) | instskip(NEXT) | instid1(VALU_DEP_1)
	v_div_fmas_f32 v22, v22, v23, v25
	v_div_fixup_f32 v22, v22, v21, v17
.LBB21_177:                             ;   in Loop: Header=BB21_173 Depth=1
	s_wait_alu 0xfffe
	s_or_b32 exec_lo, exec_lo, s1
	s_delay_alu instid0(VALU_DEP_1) | instskip(SKIP_1) | instid1(VALU_DEP_1)
	v_mul_f32_e32 v17, v15, v22
	s_mov_b32 s1, exec_lo
	v_cmpx_lt_f32_e32 0, v17
	s_cbranch_execz .LBB21_179
; %bb.178:                              ;   in Loop: Header=BB21_173 Depth=1
	v_div_scale_f32 v17, null, v16, v16, -v15
	s_delay_alu instid0(VALU_DEP_1) | instskip(NEXT) | instid1(TRANS32_DEP_1)
	v_rcp_f32_e32 v21, v17
	v_fma_f32 v22, -v17, v21, 1.0
	s_delay_alu instid0(VALU_DEP_1) | instskip(SKIP_1) | instid1(VALU_DEP_1)
	v_fmac_f32_e32 v21, v22, v21
	v_div_scale_f32 v22, vcc_lo, -v15, v16, -v15
	v_mul_f32_e32 v23, v22, v21
	s_delay_alu instid0(VALU_DEP_1) | instskip(NEXT) | instid1(VALU_DEP_1)
	v_fma_f32 v24, -v17, v23, v22
	v_fmac_f32_e32 v23, v24, v21
	s_delay_alu instid0(VALU_DEP_1) | instskip(SKIP_1) | instid1(VALU_DEP_1)
	v_fma_f32 v17, -v17, v23, v22
	s_wait_alu 0xfffd
	v_div_fmas_f32 v17, v17, v21, v23
	s_delay_alu instid0(VALU_DEP_1)
	v_div_fixup_f32 v22, v17, v16, -v15
.LBB21_179:                             ;   in Loop: Header=BB21_173 Depth=1
	s_wait_alu 0xfffe
	s_or_b32 exec_lo, exec_lo, s1
	v_cmp_lt_f32_e32 vcc_lo, 0, v15
	v_cmp_lt_f32_e64 s1, v18, v19
	v_cmp_lt_f32_e64 s2, v20, v18
	v_add_f32_e32 v17, v18, v22
	s_and_b32 vcc_lo, vcc_lo, s1
	v_cndmask_b32_e64 v16, v20, v18, s2
	s_wait_alu 0xfffe
	v_cndmask_b32_e32 v19, v19, v18, vcc_lo
	v_cmp_nge_f32_e32 vcc_lo, 0, v15
	s_wait_alu 0xfffd
	v_cndmask_b32_e32 v20, v16, v20, vcc_lo
	s_delay_alu instid0(VALU_DEP_3) | instskip(NEXT) | instid1(VALU_DEP_2)
	v_cmp_gt_f32_e32 vcc_lo, v17, v19
	v_cmp_lt_f32_e64 s1, v17, v20
	s_or_b32 s2, vcc_lo, s1
	s_wait_alu 0xfffe
	s_and_saveexec_b32 s1, s2
	s_cbranch_execz .LBB21_185
; %bb.180:                              ;   in Loop: Header=BB21_173 Depth=1
	s_mov_b32 s2, exec_lo
                                        ; implicit-def: $vgpr22
	v_cmpx_ngt_f32_e32 0, v15
	s_wait_alu 0xfffe
	s_xor_b32 s2, exec_lo, s2
; %bb.181:                              ;   in Loop: Header=BB21_173 Depth=1
	v_sub_f32_e32 v15, v20, v18
	s_delay_alu instid0(VALU_DEP_1)
	v_mul_f32_e32 v22, 0.5, v15
; %bb.182:                              ;   in Loop: Header=BB21_173 Depth=1
	s_wait_alu 0xfffe
	s_and_not1_saveexec_b32 s2, s2
; %bb.183:                              ;   in Loop: Header=BB21_173 Depth=1
	v_sub_f32_e32 v15, v19, v18
	s_delay_alu instid0(VALU_DEP_1)
	v_mul_f32_e32 v22, 0.5, v15
; %bb.184:                              ;   in Loop: Header=BB21_173 Depth=1
	s_wait_alu 0xfffe
	s_or_b32 exec_lo, exec_lo, s2
.LBB21_185:                             ;   in Loop: Header=BB21_173 Depth=1
	s_wait_alu 0xfffe
	s_or_b32 exec_lo, exec_lo, s1
	v_mov_b32_e32 v21, 0
	v_mov_b32_e32 v15, 0
	;; [unrolled: 1-line block ×3, first 2 shown]
	s_and_saveexec_b32 s2, s0
	s_cbranch_execz .LBB21_172
; %bb.186:                              ;   in Loop: Header=BB21_173 Depth=1
	v_mov_b32_e32 v15, v7
	v_dual_mov_b32 v17, v3 :: v_dual_mov_b32 v24, 0
	v_dual_mov_b32 v21, 0 :: v_dual_mov_b32 v14, v6
	;; [unrolled: 1-line block ×3, first 2 shown]
	v_mov_b32_e32 v23, 0
	s_mov_b32 s9, 0
.LBB21_187:                             ;   Parent Loop BB21_173 Depth=1
                                        ; =>  This Inner Loop Header: Depth=2
	global_load_b32 v28, v[16:17], off
	s_wait_loadcnt 0x0
	v_dual_sub_f32 v28, v28, v22 :: v_dual_add_nc_u32 v25, -1, v25
	global_store_b32 v[16:17], v28, off
	global_load_b32 v29, v[14:15], off
	v_add_co_u32 v16, s1, v16, 4
	s_wait_alu 0xf1ff
	v_add_co_ci_u32_e64 v17, null, 0, v17, s1
	v_add_co_u32 v14, s1, v14, 4
	s_wait_alu 0xf1ff
	v_add_co_ci_u32_e64 v15, null, 0, v15, s1
	s_wait_loadcnt 0x0
	v_div_scale_f32 v30, null, v28, v28, v29
	v_div_scale_f32 v33, vcc_lo, v29, v28, v29
	s_delay_alu instid0(VALU_DEP_2) | instskip(NEXT) | instid1(TRANS32_DEP_1)
	v_rcp_f32_e32 v31, v30
	v_fma_f32 v32, -v30, v31, 1.0
	s_delay_alu instid0(VALU_DEP_1) | instskip(NEXT) | instid1(VALU_DEP_1)
	v_fmac_f32_e32 v31, v32, v31
	v_mul_f32_e32 v32, v33, v31
	s_delay_alu instid0(VALU_DEP_1) | instskip(NEXT) | instid1(VALU_DEP_1)
	v_fma_f32 v34, -v30, v32, v33
	v_fmac_f32_e32 v32, v34, v31
	s_delay_alu instid0(VALU_DEP_1) | instskip(SKIP_1) | instid1(VALU_DEP_1)
	v_fma_f32 v30, -v30, v32, v33
	s_wait_alu 0xfffd
	v_div_fmas_f32 v30, v30, v31, v32
	v_cmp_eq_u32_e32 vcc_lo, 0, v25
	s_delay_alu instid0(VALU_DEP_2) | instskip(SKIP_2) | instid1(VALU_DEP_1)
	v_div_fixup_f32 v28, v30, v28, v29
	s_wait_alu 0xfffe
	s_or_b32 s9, vcc_lo, s9
	v_fmac_f32_e32 v23, v29, v28
	v_fmac_f32_e32 v21, v28, v28
	s_delay_alu instid0(VALU_DEP_2)
	v_add_f32_e32 v24, v24, v23
	s_wait_alu 0xfffe
	s_and_not1_b32 exec_lo, exec_lo, s9
	s_cbranch_execnz .LBB21_187
; %bb.188:                              ;   in Loop: Header=BB21_173 Depth=1
	s_or_b32 exec_lo, exec_lo, s9
	global_load_b32 v14, v[4:5], off
	v_and_b32_e32 v15, 0x7fffffff, v24
	s_branch .LBB21_172
.LBB21_189:
	s_or_b32 exec_lo, exec_lo, s6
.LBB21_190:
	s_wait_alu 0xfffe
	s_or_b32 exec_lo, exec_lo, s5
.LBB21_191:
	s_wait_alu 0xfffe
	s_or_b32 exec_lo, exec_lo, s4
	v_add_f32_e32 v36, v27, v18
.LBB21_192:
	s_wait_alu 0xfffe
	s_or_b32 exec_lo, exec_lo, s3
	v_add_co_u32 v0, vcc_lo, s12, v0
	s_wait_alu 0xfffd
	v_add_co_ci_u32_e64 v1, null, s13, v1, vcc_lo
	s_wait_loadcnt 0x1
	v_cmp_gt_f32_e32 vcc_lo, 0, v26
	global_store_b32 v[0:1], v36, off
	s_and_b32 exec_lo, exec_lo, vcc_lo
	s_cbranch_execz .LBB21_194
; %bb.193:
	v_xor_b32_e32 v2, 0x80000000, v36
	global_store_b32 v[0:1], v2, off
.LBB21_194:
	s_endpgm
	.section	.rodata,"a",@progbits
	.p2align	6, 0x0
	.amdhsa_kernel _ZN9rocsolver6v33100L30stedc_mergeValues_Solve_kernelIfEEviiPT_lS3_lS3_S3_PiS2_S2_S2_
		.amdhsa_group_segment_fixed_size 0
		.amdhsa_private_segment_fixed_size 0
		.amdhsa_kernarg_size 336
		.amdhsa_user_sgpr_count 2
		.amdhsa_user_sgpr_dispatch_ptr 0
		.amdhsa_user_sgpr_queue_ptr 0
		.amdhsa_user_sgpr_kernarg_segment_ptr 1
		.amdhsa_user_sgpr_dispatch_id 0
		.amdhsa_user_sgpr_private_segment_size 0
		.amdhsa_wavefront_size32 1
		.amdhsa_uses_dynamic_stack 0
		.amdhsa_enable_private_segment 0
		.amdhsa_system_sgpr_workgroup_id_x 1
		.amdhsa_system_sgpr_workgroup_id_y 1
		.amdhsa_system_sgpr_workgroup_id_z 0
		.amdhsa_system_sgpr_workgroup_info 0
		.amdhsa_system_vgpr_workitem_id 0
		.amdhsa_next_free_vgpr 48
		.amdhsa_next_free_sgpr 26
		.amdhsa_reserve_vcc 1
		.amdhsa_float_round_mode_32 0
		.amdhsa_float_round_mode_16_64 0
		.amdhsa_float_denorm_mode_32 3
		.amdhsa_float_denorm_mode_16_64 3
		.amdhsa_fp16_overflow 0
		.amdhsa_workgroup_processor_mode 1
		.amdhsa_memory_ordered 1
		.amdhsa_forward_progress 1
		.amdhsa_inst_pref_size 116
		.amdhsa_round_robin_scheduling 0
		.amdhsa_exception_fp_ieee_invalid_op 0
		.amdhsa_exception_fp_denorm_src 0
		.amdhsa_exception_fp_ieee_div_zero 0
		.amdhsa_exception_fp_ieee_overflow 0
		.amdhsa_exception_fp_ieee_underflow 0
		.amdhsa_exception_fp_ieee_inexact 0
		.amdhsa_exception_int_div_zero 0
	.end_amdhsa_kernel
	.section	.text._ZN9rocsolver6v33100L30stedc_mergeValues_Solve_kernelIfEEviiPT_lS3_lS3_S3_PiS2_S2_S2_,"axG",@progbits,_ZN9rocsolver6v33100L30stedc_mergeValues_Solve_kernelIfEEviiPT_lS3_lS3_S3_PiS2_S2_S2_,comdat
.Lfunc_end21:
	.size	_ZN9rocsolver6v33100L30stedc_mergeValues_Solve_kernelIfEEviiPT_lS3_lS3_S3_PiS2_S2_S2_, .Lfunc_end21-_ZN9rocsolver6v33100L30stedc_mergeValues_Solve_kernelIfEEviiPT_lS3_lS3_S3_PiS2_S2_S2_
                                        ; -- End function
	.set _ZN9rocsolver6v33100L30stedc_mergeValues_Solve_kernelIfEEviiPT_lS3_lS3_S3_PiS2_S2_S2_.num_vgpr, 48
	.set _ZN9rocsolver6v33100L30stedc_mergeValues_Solve_kernelIfEEviiPT_lS3_lS3_S3_PiS2_S2_S2_.num_agpr, 0
	.set _ZN9rocsolver6v33100L30stedc_mergeValues_Solve_kernelIfEEviiPT_lS3_lS3_S3_PiS2_S2_S2_.numbered_sgpr, 26
	.set _ZN9rocsolver6v33100L30stedc_mergeValues_Solve_kernelIfEEviiPT_lS3_lS3_S3_PiS2_S2_S2_.num_named_barrier, 0
	.set _ZN9rocsolver6v33100L30stedc_mergeValues_Solve_kernelIfEEviiPT_lS3_lS3_S3_PiS2_S2_S2_.private_seg_size, 0
	.set _ZN9rocsolver6v33100L30stedc_mergeValues_Solve_kernelIfEEviiPT_lS3_lS3_S3_PiS2_S2_S2_.uses_vcc, 1
	.set _ZN9rocsolver6v33100L30stedc_mergeValues_Solve_kernelIfEEviiPT_lS3_lS3_S3_PiS2_S2_S2_.uses_flat_scratch, 0
	.set _ZN9rocsolver6v33100L30stedc_mergeValues_Solve_kernelIfEEviiPT_lS3_lS3_S3_PiS2_S2_S2_.has_dyn_sized_stack, 0
	.set _ZN9rocsolver6v33100L30stedc_mergeValues_Solve_kernelIfEEviiPT_lS3_lS3_S3_PiS2_S2_S2_.has_recursion, 0
	.set _ZN9rocsolver6v33100L30stedc_mergeValues_Solve_kernelIfEEviiPT_lS3_lS3_S3_PiS2_S2_S2_.has_indirect_call, 0
	.section	.AMDGPU.csdata,"",@progbits
; Kernel info:
; codeLenInByte = 14788
; TotalNumSgprs: 28
; NumVgprs: 48
; ScratchSize: 0
; MemoryBound: 0
; FloatMode: 240
; IeeeMode: 1
; LDSByteSize: 0 bytes/workgroup (compile time only)
; SGPRBlocks: 0
; VGPRBlocks: 5
; NumSGPRsForWavesPerEU: 28
; NumVGPRsForWavesPerEU: 48
; Occupancy: 16
; WaveLimiterHint : 1
; COMPUTE_PGM_RSRC2:SCRATCH_EN: 0
; COMPUTE_PGM_RSRC2:USER_SGPR: 2
; COMPUTE_PGM_RSRC2:TRAP_HANDLER: 0
; COMPUTE_PGM_RSRC2:TGID_X_EN: 1
; COMPUTE_PGM_RSRC2:TGID_Y_EN: 1
; COMPUTE_PGM_RSRC2:TGID_Z_EN: 0
; COMPUTE_PGM_RSRC2:TIDIG_COMP_CNT: 0
	.section	.text._ZN9rocsolver6v33100L32stedc_mergeValues_Rescale_kernelIfEEviiPT_lS3_lS3_S3_PiS2_S2_S2_,"axG",@progbits,_ZN9rocsolver6v33100L32stedc_mergeValues_Rescale_kernelIfEEviiPT_lS3_lS3_S3_PiS2_S2_S2_,comdat
	.globl	_ZN9rocsolver6v33100L32stedc_mergeValues_Rescale_kernelIfEEviiPT_lS3_lS3_S3_PiS2_S2_S2_ ; -- Begin function _ZN9rocsolver6v33100L32stedc_mergeValues_Rescale_kernelIfEEviiPT_lS3_lS3_S3_PiS2_S2_S2_
	.p2align	8
	.type	_ZN9rocsolver6v33100L32stedc_mergeValues_Rescale_kernelIfEEviiPT_lS3_lS3_S3_PiS2_S2_S2_,@function
_ZN9rocsolver6v33100L32stedc_mergeValues_Rescale_kernelIfEEviiPT_lS3_lS3_S3_PiS2_S2_S2_: ; @_ZN9rocsolver6v33100L32stedc_mergeValues_Rescale_kernelIfEEviiPT_lS3_lS3_S3_PiS2_S2_S2_
; %bb.0:
	s_clause 0x1
	s_load_b32 s2, s[0:1], 0x4
	s_load_b64 s[4:5], s[0:1], 0x38
	s_mov_b32 s14, ttmp9
	s_ashr_i32 s15, ttmp9, 31
	s_delay_alu instid0(SALU_CYCLE_1)
	s_lshl_b64 s[12:13], s[14:15], 2
	s_wait_kmcnt 0x0
	s_mul_i32 s16, s2, ttmp7
	s_mul_i32 s8, s2, 6
	s_mul_i32 s6, s16, 13
	s_ashr_i32 s9, s8, 31
	s_ashr_i32 s7, s6, 31
	;; [unrolled: 1-line block ×3, first 2 shown]
	s_lshl_b64 s[6:7], s[6:7], 2
	s_lshl_b64 s[8:9], s[8:9], 2
	s_add_nc_u64 s[4:5], s[4:5], s[6:7]
	s_lshl_b64 s[6:7], s[2:3], 2
	s_add_nc_u64 s[4:5], s[4:5], s[8:9]
	s_delay_alu instid0(SALU_CYCLE_1)
	s_add_nc_u64 s[6:7], s[4:5], s[6:7]
	s_add_nc_u64 s[4:5], s[4:5], s[12:13]
	;; [unrolled: 1-line block ×3, first 2 shown]
	s_clause 0x1
	s_load_b32 s3, s[4:5], 0x0
	s_load_b32 s15, s[6:7], 0x0
	s_wait_kmcnt 0x0
	s_sub_co_i32 s4, ttmp9, s3
	s_delay_alu instid0(SALU_CYCLE_1)
	s_cmp_ge_i32 s4, s15
	s_cbranch_scc1 .LBB22_17
; %bb.1:
	s_load_b128 s[4:7], s[0:1], 0x28
	s_mov_b32 s9, exec_lo
                                        ; implicit-def: $sgpr8
	v_cmpx_le_i32_e64 s15, v0
	s_xor_b32 s9, exec_lo, s9
; %bb.2:
	s_load_b32 s8, s[0:1], 0x5c
; %bb.3:
	s_or_saveexec_b32 s17, s9
	s_wait_kmcnt 0x0
	v_dual_mov_b32 v3, 1.0 :: v_dual_mov_b32 v2, s8
	s_xor_b32 exec_lo, exec_lo, s17
	s_cbranch_execz .LBB22_9
; %bb.4:
	s_clause 0x1
	s_load_b128 s[8:11], s[0:1], 0x8
	s_load_b32 s18, s[0:1], 0x5c
	v_dual_mov_b32 v4, v0 :: v_dual_add_nc_u32 v1, s3, v0
	s_mul_i32 s22, s16, s2
	s_mov_b32 s20, ttmp7
	s_ashr_i32 s21, ttmp7, 31
	s_delay_alu instid0(VALU_DEP_1)
	v_mad_co_u64_u32 v[1:2], null, s2, v1, s[14:15]
	s_lshl_b32 s22, s22, 1
	s_mul_i32 s0, s2, s2
	s_ashr_i32 s23, s22, 31
	s_mov_b32 s1, 0
	s_lshl_b64 s[22:23], s[22:23], 2
	v_mov_b32_e32 v3, 1.0
	v_subrev_nc_u32_e32 v1, s3, v1
	s_lshl_b64 s[24:25], s[0:1], 2
	s_add_nc_u64 s[6:7], s[6:7], s[22:23]
	s_sub_co_i32 s19, s3, s14
	s_add_nc_u64 s[6:7], s[6:7], s[24:25]
	s_wait_kmcnt 0x0
	s_mul_u64 s[10:11], s[10:11], s[20:21]
	s_and_b32 s0, s18, 0xffff
	s_lshl_b64 s[10:11], s[10:11], 2
	s_mul_i32 s14, s2, s0
	s_add_nc_u64 s[8:9], s[8:9], s[10:11]
	s_wait_alu 0xfffe
	s_add_nc_u64 s[10:11], s[8:9], s[12:13]
	s_branch .LBB22_6
.LBB22_5:                               ;   in Loop: Header=BB22_6 Depth=1
	s_wait_alu 0xfffe
	s_or_b32 exec_lo, exec_lo, s20
	s_wait_loadcnt 0x0
	v_dual_mul_f32 v3, v3, v2 :: v_dual_add_nc_u32 v4, s0, v4
	v_add_nc_u32_e32 v1, s14, v1
	s_delay_alu instid0(VALU_DEP_2)
	v_cmp_le_i32_e32 vcc_lo, s15, v4
	s_or_b32 s1, vcc_lo, s1
	s_wait_alu 0xfffe
	s_and_not1_b32 exec_lo, exec_lo, s1
	s_cbranch_execz .LBB22_8
.LBB22_6:                               ; =>This Inner Loop Header: Depth=1
	v_ashrrev_i32_e32 v2, 31, v1
	s_mov_b32 s20, exec_lo
	s_delay_alu instid0(VALU_DEP_1) | instskip(NEXT) | instid1(VALU_DEP_1)
	v_lshlrev_b64_e32 v[5:6], 2, v[1:2]
	v_add_co_u32 v5, vcc_lo, s6, v5
	s_wait_alu 0xfffd
	s_delay_alu instid0(VALU_DEP_2) | instskip(SKIP_2) | instid1(VALU_DEP_1)
	v_add_co_ci_u32_e64 v6, null, s7, v6, vcc_lo
	global_load_b32 v2, v[5:6], off
	v_add_nc_u32_e32 v5, s19, v4
	v_cmpx_ne_u32_e32 0, v5
	s_cbranch_execz .LBB22_5
; %bb.7:                                ;   in Loop: Header=BB22_6 Depth=1
	v_add_nc_u32_e32 v5, s3, v4
	s_load_b32 s21, s[10:11], 0x0
	s_delay_alu instid0(VALU_DEP_1) | instskip(NEXT) | instid1(VALU_DEP_1)
	v_ashrrev_i32_e32 v6, 31, v5
	v_lshlrev_b64_e32 v[5:6], 2, v[5:6]
	s_delay_alu instid0(VALU_DEP_1) | instskip(SKIP_1) | instid1(VALU_DEP_2)
	v_add_co_u32 v5, vcc_lo, s8, v5
	s_wait_alu 0xfffd
	v_add_co_ci_u32_e64 v6, null, s9, v6, vcc_lo
	global_load_b32 v5, v[5:6], off
	s_wait_loadcnt 0x0
	s_wait_kmcnt 0x0
	v_sub_f32_e32 v5, s21, v5
	s_delay_alu instid0(VALU_DEP_1) | instskip(NEXT) | instid1(VALU_DEP_1)
	v_div_scale_f32 v6, null, v5, v5, v2
	v_rcp_f32_e32 v7, v6
	s_delay_alu instid0(TRANS32_DEP_1) | instskip(NEXT) | instid1(VALU_DEP_1)
	v_fma_f32 v8, -v6, v7, 1.0
	v_fmac_f32_e32 v7, v8, v7
	v_div_scale_f32 v8, vcc_lo, v2, v5, v2
	s_delay_alu instid0(VALU_DEP_1) | instskip(NEXT) | instid1(VALU_DEP_1)
	v_mul_f32_e32 v9, v8, v7
	v_fma_f32 v10, -v6, v9, v8
	s_delay_alu instid0(VALU_DEP_1) | instskip(NEXT) | instid1(VALU_DEP_1)
	v_fmac_f32_e32 v9, v10, v7
	v_fma_f32 v6, -v6, v9, v8
	s_wait_alu 0xfffd
	s_delay_alu instid0(VALU_DEP_1) | instskip(NEXT) | instid1(VALU_DEP_1)
	v_div_fmas_f32 v6, v6, v7, v9
	v_div_fixup_f32 v2, v6, v5, v2
	s_branch .LBB22_5
.LBB22_8:
	s_or_b32 exec_lo, exec_lo, s1
	v_mov_b32_e32 v2, s18
.LBB22_9:
	s_or_b32 exec_lo, exec_lo, s17
	v_lshlrev_b32_e32 v1, 2, v0
	s_mov_b32 s0, exec_lo
	ds_store_b32 v1, v3
	s_wait_dscnt 0x0
	s_barrier_signal -1
	s_barrier_wait -1
	global_inv scope:SCOPE_SE
	v_cmpx_lt_u16_e32 1, v2
	s_cbranch_execz .LBB22_15
; %bb.10:
	v_lshrrev_b16 v2, 1, v2
	s_mov_b32 s1, 0
	s_delay_alu instid0(VALU_DEP_1)
	v_and_b32_e32 v2, 0xffff, v2
	s_branch .LBB22_12
.LBB22_11:                              ;   in Loop: Header=BB22_12 Depth=1
	s_wait_alu 0xfffe
	s_or_b32 exec_lo, exec_lo, s3
	v_lshrrev_b32_e32 v4, 1, v2
	v_cmp_gt_u32_e32 vcc_lo, 2, v2
	s_wait_loadcnt_dscnt 0x0
	s_barrier_signal -1
	s_barrier_wait -1
	v_mov_b32_e32 v2, v4
	s_or_b32 s1, vcc_lo, s1
	global_inv scope:SCOPE_SE
	s_wait_alu 0xfffe
	s_and_not1_b32 exec_lo, exec_lo, s1
	s_cbranch_execz .LBB22_14
.LBB22_12:                              ; =>This Inner Loop Header: Depth=1
	s_mov_b32 s3, exec_lo
	s_delay_alu instid0(VALU_DEP_1)
	v_cmpx_lt_u32_e64 v0, v2
	s_cbranch_execz .LBB22_11
; %bb.13:                               ;   in Loop: Header=BB22_12 Depth=1
	v_lshl_add_u32 v4, v2, 2, v1
	ds_load_b32 v4, v4
	s_wait_dscnt 0x0
	v_mul_f32_e32 v3, v3, v4
	ds_store_b32 v1, v3
	s_branch .LBB22_11
.LBB22_14:
	s_or_b32 exec_lo, exec_lo, s1
.LBB22_15:
	s_wait_alu 0xfffe
	s_or_b32 exec_lo, exec_lo, s0
	s_delay_alu instid0(SALU_CYCLE_1)
	s_mov_b32 s0, exec_lo
	v_cmpx_eq_u32_e32 0, v0
	s_cbranch_execz .LBB22_17
; %bb.16:
	v_mul_f32_e64 v0, 0x4f800000, |v3|
	v_cmp_gt_f32_e64 vcc_lo, 0xf800000, |v3|
	s_mul_i32 s0, s16, 10
	s_lshl_b32 s2, s2, 3
	s_wait_alu 0xfffe
	s_ashr_i32 s1, s0, 31
	s_ashr_i32 s3, s2, 31
	s_wait_alu 0xfffd
	v_cndmask_b32_e64 v0, |v3|, v0, vcc_lo
	s_wait_alu 0xfffe
	s_lshl_b64 s[0:1], s[0:1], 2
	s_lshl_b64 s[2:3], s[2:3], 2
	s_wait_alu 0xfffe
	s_add_nc_u64 s[0:1], s[4:5], s[0:1]
	v_sqrt_f32_e32 v1, v0
	s_wait_alu 0xfffe
	s_add_nc_u64 s[0:1], s[0:1], s[2:3]
	s_wait_alu 0xfffe
	s_add_nc_u64 s[2:3], s[0:1], s[12:13]
	s_load_b32 s1, s[2:3], 0x0
	s_delay_alu instid0(TRANS32_DEP_1) | instskip(SKIP_1) | instid1(VALU_DEP_2)
	v_add_nc_u32_e32 v2, -1, v1
	v_add_nc_u32_e32 v3, 1, v1
	v_fma_f32 v4, -v2, v1, v0
	s_delay_alu instid0(VALU_DEP_2) | instskip(NEXT) | instid1(VALU_DEP_2)
	v_fma_f32 v5, -v3, v1, v0
	v_cmp_ge_f32_e64 s0, 0, v4
	s_wait_kmcnt 0x0
	s_cmp_lt_f32 s1, 0
	v_cndmask_b32_e64 v1, v1, v2, s0
	v_cmp_lt_f32_e64 s0, 0, v5
	s_wait_alu 0xf1ff
	s_delay_alu instid0(VALU_DEP_1) | instskip(SKIP_1) | instid1(VALU_DEP_1)
	v_cndmask_b32_e64 v1, v1, v3, s0
	s_cselect_b32 s0, -1, 0
	v_mul_f32_e32 v2, 0x37800000, v1
	s_delay_alu instid0(VALU_DEP_1) | instskip(SKIP_2) | instid1(VALU_DEP_2)
	v_cndmask_b32_e32 v1, v1, v2, vcc_lo
	v_cmp_class_f32_e64 vcc_lo, v0, 0x260
	s_wait_alu 0xfffd
	v_dual_cndmask_b32 v0, v1, v0 :: v_dual_mov_b32 v1, 0
	s_wait_alu 0xfffe
	s_delay_alu instid0(VALU_DEP_1)
	v_cndmask_b32_e64 v0, v0, -v0, s0
	global_store_b32 v1, v0, s[2:3]
.LBB22_17:
	s_endpgm
	.section	.rodata,"a",@progbits
	.p2align	6, 0x0
	.amdhsa_kernel _ZN9rocsolver6v33100L32stedc_mergeValues_Rescale_kernelIfEEviiPT_lS3_lS3_S3_PiS2_S2_S2_
		.amdhsa_group_segment_fixed_size 2048
		.amdhsa_private_segment_fixed_size 0
		.amdhsa_kernarg_size 336
		.amdhsa_user_sgpr_count 2
		.amdhsa_user_sgpr_dispatch_ptr 0
		.amdhsa_user_sgpr_queue_ptr 0
		.amdhsa_user_sgpr_kernarg_segment_ptr 1
		.amdhsa_user_sgpr_dispatch_id 0
		.amdhsa_user_sgpr_private_segment_size 0
		.amdhsa_wavefront_size32 1
		.amdhsa_uses_dynamic_stack 0
		.amdhsa_enable_private_segment 0
		.amdhsa_system_sgpr_workgroup_id_x 1
		.amdhsa_system_sgpr_workgroup_id_y 1
		.amdhsa_system_sgpr_workgroup_id_z 0
		.amdhsa_system_sgpr_workgroup_info 0
		.amdhsa_system_vgpr_workitem_id 0
		.amdhsa_next_free_vgpr 11
		.amdhsa_next_free_sgpr 26
		.amdhsa_reserve_vcc 1
		.amdhsa_float_round_mode_32 0
		.amdhsa_float_round_mode_16_64 0
		.amdhsa_float_denorm_mode_32 3
		.amdhsa_float_denorm_mode_16_64 3
		.amdhsa_fp16_overflow 0
		.amdhsa_workgroup_processor_mode 1
		.amdhsa_memory_ordered 1
		.amdhsa_forward_progress 1
		.amdhsa_inst_pref_size 9
		.amdhsa_round_robin_scheduling 0
		.amdhsa_exception_fp_ieee_invalid_op 0
		.amdhsa_exception_fp_denorm_src 0
		.amdhsa_exception_fp_ieee_div_zero 0
		.amdhsa_exception_fp_ieee_overflow 0
		.amdhsa_exception_fp_ieee_underflow 0
		.amdhsa_exception_fp_ieee_inexact 0
		.amdhsa_exception_int_div_zero 0
	.end_amdhsa_kernel
	.section	.text._ZN9rocsolver6v33100L32stedc_mergeValues_Rescale_kernelIfEEviiPT_lS3_lS3_S3_PiS2_S2_S2_,"axG",@progbits,_ZN9rocsolver6v33100L32stedc_mergeValues_Rescale_kernelIfEEviiPT_lS3_lS3_S3_PiS2_S2_S2_,comdat
.Lfunc_end22:
	.size	_ZN9rocsolver6v33100L32stedc_mergeValues_Rescale_kernelIfEEviiPT_lS3_lS3_S3_PiS2_S2_S2_, .Lfunc_end22-_ZN9rocsolver6v33100L32stedc_mergeValues_Rescale_kernelIfEEviiPT_lS3_lS3_S3_PiS2_S2_S2_
                                        ; -- End function
	.set _ZN9rocsolver6v33100L32stedc_mergeValues_Rescale_kernelIfEEviiPT_lS3_lS3_S3_PiS2_S2_S2_.num_vgpr, 11
	.set _ZN9rocsolver6v33100L32stedc_mergeValues_Rescale_kernelIfEEviiPT_lS3_lS3_S3_PiS2_S2_S2_.num_agpr, 0
	.set _ZN9rocsolver6v33100L32stedc_mergeValues_Rescale_kernelIfEEviiPT_lS3_lS3_S3_PiS2_S2_S2_.numbered_sgpr, 26
	.set _ZN9rocsolver6v33100L32stedc_mergeValues_Rescale_kernelIfEEviiPT_lS3_lS3_S3_PiS2_S2_S2_.num_named_barrier, 0
	.set _ZN9rocsolver6v33100L32stedc_mergeValues_Rescale_kernelIfEEviiPT_lS3_lS3_S3_PiS2_S2_S2_.private_seg_size, 0
	.set _ZN9rocsolver6v33100L32stedc_mergeValues_Rescale_kernelIfEEviiPT_lS3_lS3_S3_PiS2_S2_S2_.uses_vcc, 1
	.set _ZN9rocsolver6v33100L32stedc_mergeValues_Rescale_kernelIfEEviiPT_lS3_lS3_S3_PiS2_S2_S2_.uses_flat_scratch, 0
	.set _ZN9rocsolver6v33100L32stedc_mergeValues_Rescale_kernelIfEEviiPT_lS3_lS3_S3_PiS2_S2_S2_.has_dyn_sized_stack, 0
	.set _ZN9rocsolver6v33100L32stedc_mergeValues_Rescale_kernelIfEEviiPT_lS3_lS3_S3_PiS2_S2_S2_.has_recursion, 0
	.set _ZN9rocsolver6v33100L32stedc_mergeValues_Rescale_kernelIfEEviiPT_lS3_lS3_S3_PiS2_S2_S2_.has_indirect_call, 0
	.section	.AMDGPU.csdata,"",@progbits
; Kernel info:
; codeLenInByte = 1108
; TotalNumSgprs: 28
; NumVgprs: 11
; ScratchSize: 0
; MemoryBound: 0
; FloatMode: 240
; IeeeMode: 1
; LDSByteSize: 2048 bytes/workgroup (compile time only)
; SGPRBlocks: 0
; VGPRBlocks: 1
; NumSGPRsForWavesPerEU: 28
; NumVGPRsForWavesPerEU: 11
; Occupancy: 16
; WaveLimiterHint : 1
; COMPUTE_PGM_RSRC2:SCRATCH_EN: 0
; COMPUTE_PGM_RSRC2:USER_SGPR: 2
; COMPUTE_PGM_RSRC2:TRAP_HANDLER: 0
; COMPUTE_PGM_RSRC2:TGID_X_EN: 1
; COMPUTE_PGM_RSRC2:TGID_Y_EN: 1
; COMPUTE_PGM_RSRC2:TGID_Z_EN: 0
; COMPUTE_PGM_RSRC2:TIDIG_COMP_CNT: 0
	.section	.text._ZN9rocsolver6v33100L25stedc_mergeVectors_kernelILb1EfEEviiPT0_iilS3_S3_Pi,"axG",@progbits,_ZN9rocsolver6v33100L25stedc_mergeVectors_kernelILb1EfEEviiPT0_iilS3_S3_Pi,comdat
	.globl	_ZN9rocsolver6v33100L25stedc_mergeVectors_kernelILb1EfEEviiPT0_iilS3_S3_Pi ; -- Begin function _ZN9rocsolver6v33100L25stedc_mergeVectors_kernelILb1EfEEviiPT0_iilS3_S3_Pi
	.p2align	8
	.type	_ZN9rocsolver6v33100L25stedc_mergeVectors_kernelILb1EfEEviiPT0_iilS3_S3_Pi,@function
_ZN9rocsolver6v33100L25stedc_mergeVectors_kernelILb1EfEEviiPT0_iilS3_S3_Pi: ; @_ZN9rocsolver6v33100L25stedc_mergeVectors_kernelILb1EfEEviiPT0_iilS3_S3_Pi
; %bb.0:
	s_clause 0x3
	s_load_b32 s2, s[0:1], 0x4
	s_load_b64 s[10:11], s[0:1], 0x30
	s_load_b128 s[4:7], s[0:1], 0x20
	s_load_b32 s16, s[0:1], 0x44
	s_mov_b32 s8, ttmp9
	s_ashr_i32 s9, ttmp9, 31
	s_delay_alu instid0(SALU_CYCLE_1)
	s_lshl_b64 s[8:9], s[8:9], 2
	s_wait_kmcnt 0x0
	s_mul_i32 s0, s2, ttmp7
	s_mul_i32 s14, s2, 5
	s_mul_i32 s12, s0, 13
	s_ashr_i32 s15, s14, 31
	s_ashr_i32 s13, s12, 31
	;; [unrolled: 1-line block ×3, first 2 shown]
	s_lshl_b64 s[12:13], s[12:13], 2
	s_lshl_b64 s[14:15], s[14:15], 2
	s_add_nc_u64 s[10:11], s[10:11], s[12:13]
	s_lshl_b64 s[12:13], s[2:3], 2
	s_add_nc_u64 s[10:11], s[10:11], s[14:15]
	s_delay_alu instid0(SALU_CYCLE_1) | instskip(NEXT) | instid1(SALU_CYCLE_1)
	s_add_nc_u64 s[14:15], s[10:11], s[12:13]
	s_add_nc_u64 s[12:13], s[14:15], s[12:13]
	;; [unrolled: 1-line block ×4, first 2 shown]
	s_clause 0x1
	s_load_b32 s1, s[14:15], 0x0
	s_load_b32 s14, s[12:13], 0x0
	s_add_nc_u64 s[8:9], s[10:11], s[8:9]
	s_and_b32 s15, s16, 0xffff
	s_load_b32 s3, s[8:9], 0x0
	s_mul_i32 s8, s0, s2
	s_mul_i32 s10, s2, s2
	s_lshl_b32 s8, s8, 1
	s_mov_b32 s11, 0
	s_ashr_i32 s9, s8, 31
	s_barrier_signal -1
	s_barrier_wait -1
	global_inv scope:SCOPE_SE
	s_wait_kmcnt 0x0
	s_sub_co_i32 s12, ttmp9, s1
	s_delay_alu instid0(SALU_CYCLE_1) | instskip(SKIP_1) | instid1(SALU_CYCLE_1)
	s_cmp_ge_i32 s12, s14
	s_cselect_b32 s16, -1, 0
	s_and_b32 vcc_lo, exec_lo, s16
	s_cbranch_vccnz .LBB23_10
; %bb.1:
	v_mov_b32_e32 v1, 0
	s_mov_b32 s17, exec_lo
	v_cmpx_gt_i32_e64 s14, v0
	s_cbranch_execz .LBB23_5
; %bb.2:
	s_delay_alu instid0(VALU_DEP_2)
	v_mad_co_u64_u32 v[1:2], null, s2, ttmp9, v[0:1]
	v_add_nc_u32_e32 v4, s1, v0
	s_lshl_b64 s[22:23], s[8:9], 2
	s_mul_i32 s18, s0, 10
	s_lshl_b32 s20, s2, 3
	s_lshl_b64 s[24:25], s[10:11], 2
	v_ashrrev_i32_e32 v5, 31, v4
	s_delay_alu instid0(VALU_DEP_3)
	v_ashrrev_i32_e32 v2, 31, v1
	s_ashr_i32 s19, s18, 31
	s_ashr_i32 s21, s20, 31
	s_add_nc_u64 s[24:25], s[6:7], s[24:25]
	s_lshl_b64 s[18:19], s[18:19], 2
	v_lshlrev_b64_e32 v[1:2], 2, v[1:2]
	s_lshl_b64 s[20:21], s[20:21], 2
	v_lshlrev_b64_e32 v[6:7], 2, v[4:5]
	s_add_nc_u64 s[18:19], s[18:19], s[20:21]
	s_mov_b32 s13, 0
	s_add_nc_u64 s[4:5], s[4:5], s[18:19]
	v_add_co_u32 v1, vcc_lo, s22, v1
	s_delay_alu instid0(VALU_DEP_1)
	v_add_co_ci_u32_e64 v8, null, s23, v2, vcc_lo
	s_lshl_b32 s12, s15, 2
	v_add_co_u32 v2, vcc_lo, s24, v1
	s_wait_alu 0xfffd
	v_add_co_ci_u32_e64 v3, null, s25, v8, vcc_lo
	v_add_co_u32 v4, vcc_lo, s6, v1
	s_wait_alu 0xfffd
	v_add_co_ci_u32_e64 v5, null, s7, v8, vcc_lo
	;; [unrolled: 3-line block ×3, first 2 shown]
	v_dual_mov_b32 v1, 0 :: v_dual_mov_b32 v8, v0
	s_mov_b64 s[4:5], 0
	s_mov_b32 s18, s13
.LBB23_3:                               ; =>This Inner Loop Header: Depth=1
	s_wait_alu 0xfffe
	v_add_co_u32 v9, vcc_lo, v6, s4
	s_wait_alu 0xfffd
	v_add_co_ci_u32_e64 v10, null, s5, v7, vcc_lo
	v_add_co_u32 v11, vcc_lo, v2, s4
	s_wait_alu 0xfffd
	v_add_co_ci_u32_e64 v12, null, s5, v3, vcc_lo
	global_load_b32 v9, v[9:10], off
	global_load_b32 v10, v[11:12], off
	v_add_nc_u32_e32 v8, s15, v8
	s_delay_alu instid0(VALU_DEP_1) | instskip(SKIP_4) | instid1(VALU_DEP_2)
	v_cmp_le_i32_e64 s0, s14, v8
	s_or_b32 s18, s0, s18
	s_wait_loadcnt 0x0
	v_div_scale_f32 v11, null, v10, v10, v9
	v_div_scale_f32 v14, vcc_lo, v9, v10, v9
	v_rcp_f32_e32 v12, v11
	s_delay_alu instid0(TRANS32_DEP_1) | instskip(NEXT) | instid1(VALU_DEP_1)
	v_fma_f32 v13, -v11, v12, 1.0
	v_fmac_f32_e32 v12, v13, v12
	s_delay_alu instid0(VALU_DEP_1) | instskip(NEXT) | instid1(VALU_DEP_1)
	v_mul_f32_e32 v13, v14, v12
	v_fma_f32 v15, -v11, v13, v14
	s_delay_alu instid0(VALU_DEP_1) | instskip(NEXT) | instid1(VALU_DEP_1)
	v_fmac_f32_e32 v13, v15, v12
	v_fma_f32 v11, -v11, v13, v14
	s_wait_alu 0xfffd
	s_delay_alu instid0(VALU_DEP_1) | instskip(NEXT) | instid1(VALU_DEP_1)
	v_div_fmas_f32 v11, v11, v12, v13
	v_div_fixup_f32 v11, v11, v10, v9
	v_add_co_u32 v9, vcc_lo, v4, s4
	s_wait_alu 0xfffd
	v_add_co_ci_u32_e64 v10, null, s5, v5, vcc_lo
	s_delay_alu instid0(VALU_DEP_3)
	v_fmac_f32_e32 v1, v11, v11
	s_add_nc_u64 s[4:5], s[4:5], s[12:13]
	global_store_b32 v[9:10], v11, off
	s_and_not1_b32 exec_lo, exec_lo, s18
	s_cbranch_execnz .LBB23_3
; %bb.4:
	s_or_b32 exec_lo, exec_lo, s18
.LBB23_5:
	s_delay_alu instid0(SALU_CYCLE_1)
	s_or_b32 exec_lo, exec_lo, s17
	v_lshlrev_b32_e32 v2, 2, v0
	s_cmp_lt_u32 s15, 2
	ds_store_b32 v2, v1
	s_cbranch_scc1 .LBB23_11
; %bb.6:
	s_mov_b32 s0, s15
	s_branch .LBB23_8
.LBB23_7:                               ;   in Loop: Header=BB23_8 Depth=1
	s_or_b32 exec_lo, exec_lo, s5
	s_cmp_lt_u32 s0, 4
	s_mov_b32 s0, s4
	s_cbranch_scc1 .LBB23_11
.LBB23_8:                               ; =>This Inner Loop Header: Depth=1
	s_wait_alu 0xfffe
	s_lshr_b32 s4, s0, 1
	s_mov_b32 s5, exec_lo
	s_wait_storecnt 0x0
	s_wait_loadcnt_dscnt 0x0
	s_barrier_signal -1
	s_barrier_wait -1
	global_inv scope:SCOPE_SE
	s_wait_alu 0xfffe
	v_cmpx_gt_u32_e64 s4, v0
	s_cbranch_execz .LBB23_7
; %bb.9:                                ;   in Loop: Header=BB23_8 Depth=1
	v_lshl_add_u32 v3, s4, 2, v2
	ds_load_b32 v3, v3
	s_wait_dscnt 0x0
	v_add_f32_e32 v1, v1, v3
	ds_store_b32 v2, v1
	s_branch .LBB23_7
.LBB23_10:
                                        ; implicit-def: $vgpr1
	s_add_co_i32 s12, s3, s1
	s_mov_b32 s0, exec_lo
	v_cmpx_gt_i32_e64 s12, v0
	s_cbranch_execnz .LBB23_12
	s_branch .LBB23_18
.LBB23_11:
	v_mov_b32_e32 v1, 0
	s_wait_storecnt 0x0
	s_wait_loadcnt_dscnt 0x0
	s_barrier_signal -1
	s_barrier_wait -1
	global_inv scope:SCOPE_SE
	ds_load_b32 v1, v1
	s_wait_dscnt 0x0
	v_readfirstlane_b32 s0, v1
	v_cmp_gt_f32_e32 vcc_lo, 0xf800000, v1
	s_wait_alu 0xfffe
	s_mul_f32 s4, s0, 0x4f800000
	s_cmp_lt_f32 s0, 0xf800000
	s_wait_alu 0xfffe
	s_delay_alu instid0(SALU_CYCLE_1) | instskip(SKIP_4) | instid1(TRANS32_DEP_1)
	s_cselect_b32 s0, s4, s0
	s_wait_alu 0xfffe
	v_s_sqrt_f32 s4, s0
	s_mov_b32 s12, s0
	s_mov_b32 s17, s0
	s_add_co_i32 s5, s4, -1
	s_wait_alu 0xfffe
	s_xor_b32 s13, s5, 0x80000000
	s_delay_alu instid0(SALU_CYCLE_1) | instskip(NEXT) | instid1(SALU_CYCLE_3)
	s_fmac_f32 s12, s13, s4
	s_cmp_le_f32 s12, 0
	s_cselect_b32 s5, s5, s4
	s_add_co_i32 s12, s4, 1
	s_delay_alu instid0(SALU_CYCLE_1) | instskip(NEXT) | instid1(SALU_CYCLE_1)
	s_xor_b32 s13, s12, 0x80000000
	s_fmac_f32 s17, s13, s4
	s_delay_alu instid0(SALU_CYCLE_3)
	s_cmp_gt_f32 s17, 0
	s_wait_alu 0xfffe
	s_cselect_b32 s4, s12, s5
	s_wait_alu 0xfffe
	s_mul_f32 s5, s4, 0x37800000
	s_wait_alu 0xfffe
	s_delay_alu instid0(SALU_CYCLE_2) | instskip(SKIP_1) | instid1(VALU_DEP_1)
	v_mov_b32_e32 v2, s5
	s_wait_alu 0xfffd
	v_cndmask_b32_e32 v1, s4, v2, vcc_lo
	v_cmp_class_f32_e64 s4, s0, 0x260
	s_wait_alu 0xf1ff
	s_delay_alu instid0(VALU_DEP_1)
	v_cndmask_b32_e64 v1, v1, s0, s4
	s_add_co_i32 s12, s3, s1
	s_mov_b32 s0, exec_lo
	v_cmpx_gt_i32_e64 s12, v0
	s_cbranch_execz .LBB23_18
.LBB23_12:
	s_lshl_b64 s[4:5], s[8:9], 2
	s_lshl_b64 s[8:9], s[10:11], 2
	s_wait_alu 0xfffe
	s_add_nc_u64 s[4:5], s[6:7], s[4:5]
	s_mul_i32 s6, s2, ttmp9
	s_wait_alu 0xfffe
	s_add_nc_u64 s[2:3], s[4:5], s[8:9]
	s_mov_b32 s7, 0
	s_sub_co_i32 s8, 0, s1
	s_sub_co_i32 s9, s6, s1
	s_xor_b32 s10, s16, -1
	s_branch .LBB23_15
.LBB23_13:                              ;   in Loop: Header=BB23_15 Depth=1
	s_or_b32 exec_lo, exec_lo, s11
.LBB23_14:                              ;   in Loop: Header=BB23_15 Depth=1
	s_wait_alu 0xfffe
	s_or_b32 exec_lo, exec_lo, s0
	v_add_nc_u32_e32 v3, s6, v0
	v_add_nc_u32_e32 v0, s15, v0
	s_delay_alu instid0(VALU_DEP_2) | instskip(NEXT) | instid1(VALU_DEP_2)
	v_ashrrev_i32_e32 v4, 31, v3
	v_cmp_le_i32_e32 vcc_lo, s12, v0
	s_delay_alu instid0(VALU_DEP_2) | instskip(SKIP_1) | instid1(VALU_DEP_1)
	v_lshlrev_b64_e32 v[3:4], 2, v[3:4]
	s_or_b32 s7, vcc_lo, s7
	v_add_co_u32 v3, s0, s2, v3
	s_wait_alu 0xf1ff
	s_delay_alu instid0(VALU_DEP_2)
	v_add_co_ci_u32_e64 v4, null, s3, v4, s0
	global_store_b32 v[3:4], v2, off
	s_wait_alu 0xfffe
	s_and_not1_b32 exec_lo, exec_lo, s7
	s_cbranch_execz .LBB23_18
.LBB23_15:                              ; =>This Inner Loop Header: Depth=1
	v_cmp_le_i32_e32 vcc_lo, s1, v0
	v_mov_b32_e32 v2, 0
	s_and_b32 s11, s10, vcc_lo
	s_delay_alu instid0(SALU_CYCLE_1)
	s_and_saveexec_b32 s0, s11
	s_cbranch_execz .LBB23_14
; %bb.16:                               ;   in Loop: Header=BB23_15 Depth=1
	v_add_nc_u32_e32 v2, s8, v0
	s_delay_alu instid0(VALU_DEP_1)
	v_cmp_gt_i32_e32 vcc_lo, s14, v2
	v_mov_b32_e32 v2, 0
	s_and_saveexec_b32 s11, vcc_lo
	s_cbranch_execz .LBB23_13
; %bb.17:                               ;   in Loop: Header=BB23_15 Depth=1
	v_add_nc_u32_e32 v2, s9, v0
	s_delay_alu instid0(VALU_DEP_1) | instskip(NEXT) | instid1(VALU_DEP_1)
	v_ashrrev_i32_e32 v3, 31, v2
	v_lshlrev_b64_e32 v[2:3], 2, v[2:3]
	s_delay_alu instid0(VALU_DEP_1) | instskip(SKIP_1) | instid1(VALU_DEP_2)
	v_add_co_u32 v2, vcc_lo, s4, v2
	s_wait_alu 0xfffd
	v_add_co_ci_u32_e64 v3, null, s5, v3, vcc_lo
	global_load_b32 v2, v[2:3], off
	s_wait_loadcnt 0x0
	v_div_scale_f32 v3, null, v1, v1, v2
	s_delay_alu instid0(VALU_DEP_1) | instskip(NEXT) | instid1(TRANS32_DEP_1)
	v_rcp_f32_e32 v4, v3
	v_fma_f32 v5, -v3, v4, 1.0
	s_delay_alu instid0(VALU_DEP_1) | instskip(SKIP_1) | instid1(VALU_DEP_1)
	v_fmac_f32_e32 v4, v5, v4
	v_div_scale_f32 v5, vcc_lo, v2, v1, v2
	v_mul_f32_e32 v6, v5, v4
	s_delay_alu instid0(VALU_DEP_1) | instskip(NEXT) | instid1(VALU_DEP_1)
	v_fma_f32 v7, -v3, v6, v5
	v_fmac_f32_e32 v6, v7, v4
	s_delay_alu instid0(VALU_DEP_1) | instskip(SKIP_1) | instid1(VALU_DEP_1)
	v_fma_f32 v3, -v3, v6, v5
	s_wait_alu 0xfffd
	v_div_fmas_f32 v3, v3, v4, v6
	s_delay_alu instid0(VALU_DEP_1)
	v_div_fixup_f32 v2, v3, v1, v2
	s_branch .LBB23_13
.LBB23_18:
	s_endpgm
	.section	.rodata,"a",@progbits
	.p2align	6, 0x0
	.amdhsa_kernel _ZN9rocsolver6v33100L25stedc_mergeVectors_kernelILb1EfEEviiPT0_iilS3_S3_Pi
		.amdhsa_group_segment_fixed_size 2048
		.amdhsa_private_segment_fixed_size 0
		.amdhsa_kernarg_size 312
		.amdhsa_user_sgpr_count 2
		.amdhsa_user_sgpr_dispatch_ptr 0
		.amdhsa_user_sgpr_queue_ptr 0
		.amdhsa_user_sgpr_kernarg_segment_ptr 1
		.amdhsa_user_sgpr_dispatch_id 0
		.amdhsa_user_sgpr_private_segment_size 0
		.amdhsa_wavefront_size32 1
		.amdhsa_uses_dynamic_stack 0
		.amdhsa_enable_private_segment 0
		.amdhsa_system_sgpr_workgroup_id_x 1
		.amdhsa_system_sgpr_workgroup_id_y 1
		.amdhsa_system_sgpr_workgroup_id_z 0
		.amdhsa_system_sgpr_workgroup_info 0
		.amdhsa_system_vgpr_workitem_id 0
		.amdhsa_next_free_vgpr 16
		.amdhsa_next_free_sgpr 26
		.amdhsa_reserve_vcc 1
		.amdhsa_float_round_mode_32 0
		.amdhsa_float_round_mode_16_64 0
		.amdhsa_float_denorm_mode_32 3
		.amdhsa_float_denorm_mode_16_64 3
		.amdhsa_fp16_overflow 0
		.amdhsa_workgroup_processor_mode 1
		.amdhsa_memory_ordered 1
		.amdhsa_forward_progress 1
		.amdhsa_inst_pref_size 12
		.amdhsa_round_robin_scheduling 0
		.amdhsa_exception_fp_ieee_invalid_op 0
		.amdhsa_exception_fp_denorm_src 0
		.amdhsa_exception_fp_ieee_div_zero 0
		.amdhsa_exception_fp_ieee_overflow 0
		.amdhsa_exception_fp_ieee_underflow 0
		.amdhsa_exception_fp_ieee_inexact 0
		.amdhsa_exception_int_div_zero 0
	.end_amdhsa_kernel
	.section	.text._ZN9rocsolver6v33100L25stedc_mergeVectors_kernelILb1EfEEviiPT0_iilS3_S3_Pi,"axG",@progbits,_ZN9rocsolver6v33100L25stedc_mergeVectors_kernelILb1EfEEviiPT0_iilS3_S3_Pi,comdat
.Lfunc_end23:
	.size	_ZN9rocsolver6v33100L25stedc_mergeVectors_kernelILb1EfEEviiPT0_iilS3_S3_Pi, .Lfunc_end23-_ZN9rocsolver6v33100L25stedc_mergeVectors_kernelILb1EfEEviiPT0_iilS3_S3_Pi
                                        ; -- End function
	.set _ZN9rocsolver6v33100L25stedc_mergeVectors_kernelILb1EfEEviiPT0_iilS3_S3_Pi.num_vgpr, 16
	.set _ZN9rocsolver6v33100L25stedc_mergeVectors_kernelILb1EfEEviiPT0_iilS3_S3_Pi.num_agpr, 0
	.set _ZN9rocsolver6v33100L25stedc_mergeVectors_kernelILb1EfEEviiPT0_iilS3_S3_Pi.numbered_sgpr, 26
	.set _ZN9rocsolver6v33100L25stedc_mergeVectors_kernelILb1EfEEviiPT0_iilS3_S3_Pi.num_named_barrier, 0
	.set _ZN9rocsolver6v33100L25stedc_mergeVectors_kernelILb1EfEEviiPT0_iilS3_S3_Pi.private_seg_size, 0
	.set _ZN9rocsolver6v33100L25stedc_mergeVectors_kernelILb1EfEEviiPT0_iilS3_S3_Pi.uses_vcc, 1
	.set _ZN9rocsolver6v33100L25stedc_mergeVectors_kernelILb1EfEEviiPT0_iilS3_S3_Pi.uses_flat_scratch, 0
	.set _ZN9rocsolver6v33100L25stedc_mergeVectors_kernelILb1EfEEviiPT0_iilS3_S3_Pi.has_dyn_sized_stack, 0
	.set _ZN9rocsolver6v33100L25stedc_mergeVectors_kernelILb1EfEEviiPT0_iilS3_S3_Pi.has_recursion, 0
	.set _ZN9rocsolver6v33100L25stedc_mergeVectors_kernelILb1EfEEviiPT0_iilS3_S3_Pi.has_indirect_call, 0
	.section	.AMDGPU.csdata,"",@progbits
; Kernel info:
; codeLenInByte = 1444
; TotalNumSgprs: 28
; NumVgprs: 16
; ScratchSize: 0
; MemoryBound: 0
; FloatMode: 240
; IeeeMode: 1
; LDSByteSize: 2048 bytes/workgroup (compile time only)
; SGPRBlocks: 0
; VGPRBlocks: 1
; NumSGPRsForWavesPerEU: 28
; NumVGPRsForWavesPerEU: 16
; Occupancy: 16
; WaveLimiterHint : 1
; COMPUTE_PGM_RSRC2:SCRATCH_EN: 0
; COMPUTE_PGM_RSRC2:USER_SGPR: 2
; COMPUTE_PGM_RSRC2:TRAP_HANDLER: 0
; COMPUTE_PGM_RSRC2:TGID_X_EN: 1
; COMPUTE_PGM_RSRC2:TGID_Y_EN: 1
; COMPUTE_PGM_RSRC2:TGID_Z_EN: 0
; COMPUTE_PGM_RSRC2:TIDIG_COMP_CNT: 0
	.section	.text._ZN9rocsolver6v33100L24stedc_mergeUpdate_kernelIfEEviiPT_lS3_iilS3_S3_Pi,"axG",@progbits,_ZN9rocsolver6v33100L24stedc_mergeUpdate_kernelIfEEviiPT_lS3_iilS3_S3_Pi,comdat
	.globl	_ZN9rocsolver6v33100L24stedc_mergeUpdate_kernelIfEEviiPT_lS3_iilS3_S3_Pi ; -- Begin function _ZN9rocsolver6v33100L24stedc_mergeUpdate_kernelIfEEviiPT_lS3_iilS3_S3_Pi
	.p2align	8
	.type	_ZN9rocsolver6v33100L24stedc_mergeUpdate_kernelIfEEviiPT_lS3_iilS3_S3_Pi,@function
_ZN9rocsolver6v33100L24stedc_mergeUpdate_kernelIfEEviiPT_lS3_iilS3_S3_Pi: ; @_ZN9rocsolver6v33100L24stedc_mergeUpdate_kernelIfEEviiPT_lS3_iilS3_S3_Pi
; %bb.0:
	s_clause 0x1
	s_load_b32 s18, s[0:1], 0x4
	s_load_b256 s[4:11], s[0:1], 0x28
	s_mov_b32 s2, ttmp9
	s_ashr_i32 s3, ttmp9, 31
	s_wait_kmcnt 0x0
	s_mul_i32 s24, s18, ttmp7
	s_mul_i32 s12, s18, 7
	s_mul_i32 s14, s24, 13
	s_ashr_i32 s19, s18, 31
	s_ashr_i32 s15, s14, 31
	;; [unrolled: 1-line block ×3, first 2 shown]
	s_lshl_b64 s[14:15], s[14:15], 2
	s_lshl_b64 s[20:21], s[18:19], 3
	;; [unrolled: 1-line block ×3, first 2 shown]
	s_add_nc_u64 s[10:11], s[10:11], s[14:15]
	s_sub_nc_u64 s[14:15], 0, s[20:21]
	s_add_nc_u64 s[12:13], s[10:11], s[12:13]
	s_lshl_b64 s[22:23], s[18:19], 2
	s_add_nc_u64 s[10:11], s[12:13], s[14:15]
	s_lshl_b64 s[20:21], s[2:3], 2
	s_add_nc_u64 s[14:15], s[10:11], s[22:23]
	s_add_nc_u64 s[12:13], s[12:13], s[20:21]
	;; [unrolled: 1-line block ×3, first 2 shown]
	s_clause 0x1
	s_load_b32 s3, s[14:15], 0x0
	s_load_b32 s12, s[12:13], 0x0
	s_wait_kmcnt 0x0
	s_sub_co_i32 s13, ttmp9, s3
	s_delay_alu instid0(SALU_CYCLE_1)
	s_cmp_ge_i32 s13, s12
	s_cbranch_scc1 .LBB24_6
; %bb.1:
	s_add_nc_u64 s[26:27], s[10:11], s[20:21]
	s_clause 0x1
	s_load_b128 s[12:15], s[0:1], 0x8
	s_load_b64 s[10:11], s[0:1], 0x18
	s_load_b32 s19, s[26:27], 0x0
	s_mov_b32 s16, ttmp7
	s_ashr_i32 s17, ttmp7, 31
	s_mov_b32 s25, exec_lo
	v_cmpx_eq_u32_e32 0, v0
	s_cbranch_execz .LBB24_3
; %bb.2:
	s_mul_i32 s26, s24, 10
	s_delay_alu instid0(SALU_CYCLE_1) | instskip(NEXT) | instid1(SALU_CYCLE_1)
	s_ashr_i32 s27, s26, 31
	s_lshl_b64 s[26:27], s[26:27], 2
	s_delay_alu instid0(SALU_CYCLE_1) | instskip(NEXT) | instid1(SALU_CYCLE_1)
	s_add_nc_u64 s[6:7], s[6:7], s[26:27]
	s_add_nc_u64 s[6:7], s[6:7], s[22:23]
	s_delay_alu instid0(SALU_CYCLE_1)
	s_add_nc_u64 s[6:7], s[6:7], s[20:21]
	s_load_b32 s22, s[6:7], 0x0
	s_wait_kmcnt 0x0
	s_mul_u64 s[6:7], s[14:15], s[16:17]
	v_mov_b32_e32 v1, 0
	s_lshl_b64 s[6:7], s[6:7], 2
	s_delay_alu instid0(SALU_CYCLE_1) | instskip(NEXT) | instid1(SALU_CYCLE_1)
	s_add_nc_u64 s[6:7], s[12:13], s[6:7]
	s_add_nc_u64 s[6:7], s[6:7], s[20:21]
	v_mov_b32_e32 v2, s22
	global_store_b32 v1, v2, s[6:7]
.LBB24_3:
	s_or_b32 exec_lo, exec_lo, s25
	v_add_nc_u32_e32 v0, s3, v0
	s_wait_kmcnt 0x0
	s_add_co_i32 s6, s19, s3
	s_mov_b32 s3, exec_lo
	s_delay_alu instid0(VALU_DEP_1)
	v_cmpx_gt_i32_e64 s6, v0
	s_cbranch_execz .LBB24_6
; %bb.4:
	s_clause 0x1
	s_load_b64 s[12:13], s[0:1], 0x20
	s_load_b32 s0, s[0:1], 0x54
	s_mul_i32 s24, s24, s18
	s_mul_u64 s[4:5], s[4:5], s[16:17]
	s_lshl_b32 s14, s24, 1
	s_lshl_b64 s[4:5], s[4:5], 2
	s_ashr_i32 s15, s14, 31
	s_add_nc_u64 s[10:11], s[10:11], s[4:5]
	s_lshl_b64 s[14:15], s[14:15], 2
	s_mul_i32 s1, s18, s2
	s_add_nc_u64 s[4:5], s[8:9], s[14:15]
	s_wait_kmcnt 0x0
	s_ashr_i32 s9, s12, 31
	s_mov_b32 s8, s12
	s_mul_i32 s7, s13, s2
	s_lshl_b64 s[2:3], s[8:9], 2
	s_and_b32 s8, s0, 0xffff
	s_wait_alu 0xfffe
	s_add_nc_u64 s[2:3], s[10:11], s[2:3]
	s_mov_b32 s9, 0
.LBB24_5:                               ; =>This Inner Loop Header: Depth=1
	v_add_nc_u32_e32 v1, s1, v0
	s_delay_alu instid0(VALU_DEP_1) | instskip(NEXT) | instid1(VALU_DEP_1)
	v_ashrrev_i32_e32 v2, 31, v1
	v_lshlrev_b64_e32 v[1:2], 2, v[1:2]
	s_delay_alu instid0(VALU_DEP_1) | instskip(SKIP_1) | instid1(VALU_DEP_2)
	v_add_co_u32 v1, vcc_lo, s4, v1
	s_wait_alu 0xfffd
	v_add_co_ci_u32_e64 v2, null, s5, v2, vcc_lo
	global_load_b32 v3, v[1:2], off
	v_add_nc_u32_e32 v1, s7, v0
	v_add_nc_u32_e32 v0, s8, v0
	s_delay_alu instid0(VALU_DEP_2) | instskip(NEXT) | instid1(VALU_DEP_2)
	v_ashrrev_i32_e32 v2, 31, v1
	v_cmp_le_i32_e32 vcc_lo, s6, v0
	s_delay_alu instid0(VALU_DEP_2) | instskip(SKIP_2) | instid1(VALU_DEP_1)
	v_lshlrev_b64_e32 v[1:2], 2, v[1:2]
	s_or_b32 s9, vcc_lo, s9
	s_wait_alu 0xfffe
	v_add_co_u32 v1, s0, s2, v1
	s_wait_alu 0xf1ff
	s_delay_alu instid0(VALU_DEP_2)
	v_add_co_ci_u32_e64 v2, null, s3, v2, s0
	s_wait_loadcnt 0x0
	global_store_b32 v[1:2], v3, off
	s_and_not1_b32 exec_lo, exec_lo, s9
	s_cbranch_execnz .LBB24_5
.LBB24_6:
	s_endpgm
	.section	.rodata,"a",@progbits
	.p2align	6, 0x0
	.amdhsa_kernel _ZN9rocsolver6v33100L24stedc_mergeUpdate_kernelIfEEviiPT_lS3_iilS3_S3_Pi
		.amdhsa_group_segment_fixed_size 0
		.amdhsa_private_segment_fixed_size 0
		.amdhsa_kernarg_size 328
		.amdhsa_user_sgpr_count 2
		.amdhsa_user_sgpr_dispatch_ptr 0
		.amdhsa_user_sgpr_queue_ptr 0
		.amdhsa_user_sgpr_kernarg_segment_ptr 1
		.amdhsa_user_sgpr_dispatch_id 0
		.amdhsa_user_sgpr_private_segment_size 0
		.amdhsa_wavefront_size32 1
		.amdhsa_uses_dynamic_stack 0
		.amdhsa_enable_private_segment 0
		.amdhsa_system_sgpr_workgroup_id_x 1
		.amdhsa_system_sgpr_workgroup_id_y 1
		.amdhsa_system_sgpr_workgroup_id_z 0
		.amdhsa_system_sgpr_workgroup_info 0
		.amdhsa_system_vgpr_workitem_id 0
		.amdhsa_next_free_vgpr 4
		.amdhsa_next_free_sgpr 28
		.amdhsa_reserve_vcc 1
		.amdhsa_float_round_mode_32 0
		.amdhsa_float_round_mode_16_64 0
		.amdhsa_float_denorm_mode_32 3
		.amdhsa_float_denorm_mode_16_64 3
		.amdhsa_fp16_overflow 0
		.amdhsa_workgroup_processor_mode 1
		.amdhsa_memory_ordered 1
		.amdhsa_forward_progress 1
		.amdhsa_inst_pref_size 5
		.amdhsa_round_robin_scheduling 0
		.amdhsa_exception_fp_ieee_invalid_op 0
		.amdhsa_exception_fp_denorm_src 0
		.amdhsa_exception_fp_ieee_div_zero 0
		.amdhsa_exception_fp_ieee_overflow 0
		.amdhsa_exception_fp_ieee_underflow 0
		.amdhsa_exception_fp_ieee_inexact 0
		.amdhsa_exception_int_div_zero 0
	.end_amdhsa_kernel
	.section	.text._ZN9rocsolver6v33100L24stedc_mergeUpdate_kernelIfEEviiPT_lS3_iilS3_S3_Pi,"axG",@progbits,_ZN9rocsolver6v33100L24stedc_mergeUpdate_kernelIfEEviiPT_lS3_iilS3_S3_Pi,comdat
.Lfunc_end24:
	.size	_ZN9rocsolver6v33100L24stedc_mergeUpdate_kernelIfEEviiPT_lS3_iilS3_S3_Pi, .Lfunc_end24-_ZN9rocsolver6v33100L24stedc_mergeUpdate_kernelIfEEviiPT_lS3_iilS3_S3_Pi
                                        ; -- End function
	.set _ZN9rocsolver6v33100L24stedc_mergeUpdate_kernelIfEEviiPT_lS3_iilS3_S3_Pi.num_vgpr, 4
	.set _ZN9rocsolver6v33100L24stedc_mergeUpdate_kernelIfEEviiPT_lS3_iilS3_S3_Pi.num_agpr, 0
	.set _ZN9rocsolver6v33100L24stedc_mergeUpdate_kernelIfEEviiPT_lS3_iilS3_S3_Pi.numbered_sgpr, 28
	.set _ZN9rocsolver6v33100L24stedc_mergeUpdate_kernelIfEEviiPT_lS3_iilS3_S3_Pi.num_named_barrier, 0
	.set _ZN9rocsolver6v33100L24stedc_mergeUpdate_kernelIfEEviiPT_lS3_iilS3_S3_Pi.private_seg_size, 0
	.set _ZN9rocsolver6v33100L24stedc_mergeUpdate_kernelIfEEviiPT_lS3_iilS3_S3_Pi.uses_vcc, 1
	.set _ZN9rocsolver6v33100L24stedc_mergeUpdate_kernelIfEEviiPT_lS3_iilS3_S3_Pi.uses_flat_scratch, 0
	.set _ZN9rocsolver6v33100L24stedc_mergeUpdate_kernelIfEEviiPT_lS3_iilS3_S3_Pi.has_dyn_sized_stack, 0
	.set _ZN9rocsolver6v33100L24stedc_mergeUpdate_kernelIfEEviiPT_lS3_iilS3_S3_Pi.has_recursion, 0
	.set _ZN9rocsolver6v33100L24stedc_mergeUpdate_kernelIfEEviiPT_lS3_iilS3_S3_Pi.has_indirect_call, 0
	.section	.AMDGPU.csdata,"",@progbits
; Kernel info:
; codeLenInByte = 556
; TotalNumSgprs: 30
; NumVgprs: 4
; ScratchSize: 0
; MemoryBound: 0
; FloatMode: 240
; IeeeMode: 1
; LDSByteSize: 0 bytes/workgroup (compile time only)
; SGPRBlocks: 0
; VGPRBlocks: 0
; NumSGPRsForWavesPerEU: 30
; NumVGPRsForWavesPerEU: 4
; Occupancy: 16
; WaveLimiterHint : 0
; COMPUTE_PGM_RSRC2:SCRATCH_EN: 0
; COMPUTE_PGM_RSRC2:USER_SGPR: 2
; COMPUTE_PGM_RSRC2:TRAP_HANDLER: 0
; COMPUTE_PGM_RSRC2:TGID_X_EN: 1
; COMPUTE_PGM_RSRC2:TGID_Y_EN: 1
; COMPUTE_PGM_RSRC2:TGID_Z_EN: 0
; COMPUTE_PGM_RSRC2:TIDIG_COMP_CNT: 0
	.section	.text._ZN9rocsolver6v33100L8copy_matIfPfNS0_7no_maskEEEvNS0_17copymat_directionEiiT0_iilPT_T1_13rocblas_fill_17rocblas_diagonal_,"axG",@progbits,_ZN9rocsolver6v33100L8copy_matIfPfNS0_7no_maskEEEvNS0_17copymat_directionEiiT0_iilPT_T1_13rocblas_fill_17rocblas_diagonal_,comdat
	.globl	_ZN9rocsolver6v33100L8copy_matIfPfNS0_7no_maskEEEvNS0_17copymat_directionEiiT0_iilPT_T1_13rocblas_fill_17rocblas_diagonal_ ; -- Begin function _ZN9rocsolver6v33100L8copy_matIfPfNS0_7no_maskEEEvNS0_17copymat_directionEiiT0_iilPT_T1_13rocblas_fill_17rocblas_diagonal_
	.p2align	8
	.type	_ZN9rocsolver6v33100L8copy_matIfPfNS0_7no_maskEEEvNS0_17copymat_directionEiiT0_iilPT_T1_13rocblas_fill_17rocblas_diagonal_,@function
_ZN9rocsolver6v33100L8copy_matIfPfNS0_7no_maskEEEvNS0_17copymat_directionEiiT0_iilPT_T1_13rocblas_fill_17rocblas_diagonal_: ; @_ZN9rocsolver6v33100L8copy_matIfPfNS0_7no_maskEEEvNS0_17copymat_directionEiiT0_iilPT_T1_13rocblas_fill_17rocblas_diagonal_
; %bb.0:
	s_clause 0x1
	s_load_b32 s2, s[0:1], 0x4c
	s_load_b96 s[8:10], s[0:1], 0x0
	v_and_b32_e32 v1, 0x3ff, v0
	v_bfe_u32 v2, v0, 10, 10
	s_and_b32 s3, ttmp7, 0xffff
	s_wait_kmcnt 0x0
	s_lshr_b32 s4, s2, 16
	s_and_b32 s2, s2, 0xffff
	s_delay_alu instid0(SALU_CYCLE_1) | instskip(SKIP_1) | instid1(VALU_DEP_2)
	v_mad_co_u64_u32 v[0:1], null, ttmp9, s2, v[1:2]
	v_mad_co_u64_u32 v[1:2], null, s3, s4, v[2:3]
	v_cmp_gt_u32_e32 vcc_lo, s9, v0
	s_delay_alu instid0(VALU_DEP_2)
	v_cmp_gt_u32_e64 s2, s10, v1
	s_and_b32 s2, s2, vcc_lo
	s_wait_alu 0xfffe
	s_and_saveexec_b32 s3, s2
	s_cbranch_execz .LBB25_14
; %bb.1:
	s_load_b64 s[4:5], s[0:1], 0x34
	s_wait_kmcnt 0x0
	s_cmp_lt_i32 s4, 0x7a
	s_cbranch_scc1 .LBB25_4
; %bb.2:
	s_cmp_gt_i32 s4, 0x7a
	s_cbranch_scc0 .LBB25_5
; %bb.3:
	s_cmp_lg_u32 s4, 0x7b
	s_mov_b32 s3, -1
	s_cselect_b32 s6, -1, 0
	s_cbranch_execz .LBB25_6
	s_branch .LBB25_7
.LBB25_4:
	s_mov_b32 s6, 0
	s_mov_b32 s3, 0
	s_cbranch_execnz .LBB25_8
	s_branch .LBB25_10
.LBB25_5:
	s_mov_b32 s3, 0
	s_mov_b32 s6, 0
.LBB25_6:
	v_cmp_gt_u32_e32 vcc_lo, v0, v1
	v_cmp_le_u32_e64 s2, v0, v1
	s_wait_alu 0xfffe
	s_and_not1_b32 s3, s3, exec_lo
	s_and_not1_b32 s6, s6, exec_lo
	s_and_b32 s7, vcc_lo, exec_lo
	s_and_b32 s2, s2, exec_lo
	s_wait_alu 0xfffe
	s_or_b32 s3, s3, s7
	s_or_b32 s6, s6, s2
.LBB25_7:
	s_branch .LBB25_10
.LBB25_8:
	s_cmp_eq_u32 s4, 0x79
	s_mov_b32 s6, -1
	s_cbranch_scc0 .LBB25_10
; %bb.9:
	v_cmp_gt_u32_e32 vcc_lo, v1, v0
	v_cmp_le_u32_e64 s2, v1, v0
	s_wait_alu 0xfffe
	s_and_not1_b32 s3, s3, exec_lo
	s_and_b32 s4, vcc_lo, exec_lo
	s_or_not1_b32 s6, s2, exec_lo
	s_wait_alu 0xfffe
	s_or_b32 s3, s3, s4
.LBB25_10:
	s_and_saveexec_b32 s2, s6
; %bb.11:
	v_cmp_eq_u32_e32 vcc_lo, v0, v1
	s_cmp_eq_u32 s5, 0x83
	s_cselect_b32 s4, -1, 0
	s_wait_alu 0xfffe
	s_and_not1_b32 s3, s3, exec_lo
	s_and_b32 s4, s4, vcc_lo
	s_wait_alu 0xfffe
	s_and_b32 s4, s4, exec_lo
	s_wait_alu 0xfffe
	s_or_b32 s3, s3, s4
; %bb.12:
	s_or_b32 exec_lo, exec_lo, s2
	s_wait_alu 0xfffe
	s_and_b32 exec_lo, exec_lo, s3
	s_cbranch_execz .LBB25_14
; %bb.13:
	s_load_b256 s[0:7], s[0:1], 0x10
	s_ashr_i32 s13, s9, 31
	s_mov_b32 s12, s9
	s_mov_b32 s15, 0
	s_lshr_b32 s14, ttmp7, 16
	s_ashr_i32 s11, s10, 31
	s_mul_u64 s[12:13], s[12:13], s[14:15]
	s_wait_alu 0xfffe
	s_mul_u64 s[10:11], s[12:13], s[10:11]
	s_wait_alu 0xfffe
	s_lshl_b64 s[10:11], s[10:11], 2
	s_wait_kmcnt 0x0
	s_ashr_i32 s13, s2, 31
	s_mul_u64 s[4:5], s[4:5], s[14:15]
	s_mov_b32 s12, s2
	s_wait_alu 0xfffe
	s_lshl_b64 s[4:5], s[4:5], 2
	s_lshl_b64 s[12:13], s[12:13], 2
	s_cmp_eq_u32 s8, 0
	s_wait_alu 0xfffe
	s_add_nc_u64 s[0:1], s[0:1], s[4:5]
	s_cselect_b32 s2, s3, s9
	s_add_nc_u64 s[6:7], s[6:7], s[10:11]
	s_wait_alu 0xfffe
	v_mad_co_u64_u32 v[2:3], null, v1, s2, v[0:1]
	v_mov_b32_e32 v3, 0
	s_add_nc_u64 s[0:1], s[0:1], s[12:13]
	s_wait_alu 0xfffe
	s_cselect_b32 s4, s0, s6
	s_cselect_b32 s2, s1, s7
	;; [unrolled: 1-line block ×3, first 2 shown]
	s_delay_alu instid0(VALU_DEP_2) | instskip(SKIP_2) | instid1(VALU_DEP_1)
	v_lshlrev_b64_e32 v[4:5], 2, v[2:3]
	s_cselect_b32 s1, s7, s1
	s_wait_alu 0xfffe
	v_add_co_u32 v4, vcc_lo, s4, v4
	s_delay_alu instid0(VALU_DEP_1)
	v_add_co_ci_u32_e64 v5, null, s2, v5, vcc_lo
	s_cselect_b32 s2, s9, s3
	s_wait_alu 0xfffe
	v_mad_co_u64_u32 v[0:1], null, v1, s2, v[0:1]
	global_load_b32 v2, v[4:5], off
	v_mov_b32_e32 v1, v3
	s_delay_alu instid0(VALU_DEP_1) | instskip(NEXT) | instid1(VALU_DEP_1)
	v_lshlrev_b64_e32 v[0:1], 2, v[0:1]
	v_add_co_u32 v0, vcc_lo, s0, v0
	s_wait_alu 0xfffd
	s_delay_alu instid0(VALU_DEP_2)
	v_add_co_ci_u32_e64 v1, null, s1, v1, vcc_lo
	s_wait_loadcnt 0x0
	global_store_b32 v[0:1], v2, off
.LBB25_14:
	s_endpgm
	.section	.rodata,"a",@progbits
	.p2align	6, 0x0
	.amdhsa_kernel _ZN9rocsolver6v33100L8copy_matIfPfNS0_7no_maskEEEvNS0_17copymat_directionEiiT0_iilPT_T1_13rocblas_fill_17rocblas_diagonal_
		.amdhsa_group_segment_fixed_size 0
		.amdhsa_private_segment_fixed_size 0
		.amdhsa_kernarg_size 320
		.amdhsa_user_sgpr_count 2
		.amdhsa_user_sgpr_dispatch_ptr 0
		.amdhsa_user_sgpr_queue_ptr 0
		.amdhsa_user_sgpr_kernarg_segment_ptr 1
		.amdhsa_user_sgpr_dispatch_id 0
		.amdhsa_user_sgpr_private_segment_size 0
		.amdhsa_wavefront_size32 1
		.amdhsa_uses_dynamic_stack 0
		.amdhsa_enable_private_segment 0
		.amdhsa_system_sgpr_workgroup_id_x 1
		.amdhsa_system_sgpr_workgroup_id_y 1
		.amdhsa_system_sgpr_workgroup_id_z 1
		.amdhsa_system_sgpr_workgroup_info 0
		.amdhsa_system_vgpr_workitem_id 1
		.amdhsa_next_free_vgpr 6
		.amdhsa_next_free_sgpr 16
		.amdhsa_reserve_vcc 1
		.amdhsa_float_round_mode_32 0
		.amdhsa_float_round_mode_16_64 0
		.amdhsa_float_denorm_mode_32 3
		.amdhsa_float_denorm_mode_16_64 3
		.amdhsa_fp16_overflow 0
		.amdhsa_workgroup_processor_mode 1
		.amdhsa_memory_ordered 1
		.amdhsa_forward_progress 1
		.amdhsa_inst_pref_size 5
		.amdhsa_round_robin_scheduling 0
		.amdhsa_exception_fp_ieee_invalid_op 0
		.amdhsa_exception_fp_denorm_src 0
		.amdhsa_exception_fp_ieee_div_zero 0
		.amdhsa_exception_fp_ieee_overflow 0
		.amdhsa_exception_fp_ieee_underflow 0
		.amdhsa_exception_fp_ieee_inexact 0
		.amdhsa_exception_int_div_zero 0
	.end_amdhsa_kernel
	.section	.text._ZN9rocsolver6v33100L8copy_matIfPfNS0_7no_maskEEEvNS0_17copymat_directionEiiT0_iilPT_T1_13rocblas_fill_17rocblas_diagonal_,"axG",@progbits,_ZN9rocsolver6v33100L8copy_matIfPfNS0_7no_maskEEEvNS0_17copymat_directionEiiT0_iilPT_T1_13rocblas_fill_17rocblas_diagonal_,comdat
.Lfunc_end25:
	.size	_ZN9rocsolver6v33100L8copy_matIfPfNS0_7no_maskEEEvNS0_17copymat_directionEiiT0_iilPT_T1_13rocblas_fill_17rocblas_diagonal_, .Lfunc_end25-_ZN9rocsolver6v33100L8copy_matIfPfNS0_7no_maskEEEvNS0_17copymat_directionEiiT0_iilPT_T1_13rocblas_fill_17rocblas_diagonal_
                                        ; -- End function
	.set _ZN9rocsolver6v33100L8copy_matIfPfNS0_7no_maskEEEvNS0_17copymat_directionEiiT0_iilPT_T1_13rocblas_fill_17rocblas_diagonal_.num_vgpr, 6
	.set _ZN9rocsolver6v33100L8copy_matIfPfNS0_7no_maskEEEvNS0_17copymat_directionEiiT0_iilPT_T1_13rocblas_fill_17rocblas_diagonal_.num_agpr, 0
	.set _ZN9rocsolver6v33100L8copy_matIfPfNS0_7no_maskEEEvNS0_17copymat_directionEiiT0_iilPT_T1_13rocblas_fill_17rocblas_diagonal_.numbered_sgpr, 16
	.set _ZN9rocsolver6v33100L8copy_matIfPfNS0_7no_maskEEEvNS0_17copymat_directionEiiT0_iilPT_T1_13rocblas_fill_17rocblas_diagonal_.num_named_barrier, 0
	.set _ZN9rocsolver6v33100L8copy_matIfPfNS0_7no_maskEEEvNS0_17copymat_directionEiiT0_iilPT_T1_13rocblas_fill_17rocblas_diagonal_.private_seg_size, 0
	.set _ZN9rocsolver6v33100L8copy_matIfPfNS0_7no_maskEEEvNS0_17copymat_directionEiiT0_iilPT_T1_13rocblas_fill_17rocblas_diagonal_.uses_vcc, 1
	.set _ZN9rocsolver6v33100L8copy_matIfPfNS0_7no_maskEEEvNS0_17copymat_directionEiiT0_iilPT_T1_13rocblas_fill_17rocblas_diagonal_.uses_flat_scratch, 0
	.set _ZN9rocsolver6v33100L8copy_matIfPfNS0_7no_maskEEEvNS0_17copymat_directionEiiT0_iilPT_T1_13rocblas_fill_17rocblas_diagonal_.has_dyn_sized_stack, 0
	.set _ZN9rocsolver6v33100L8copy_matIfPfNS0_7no_maskEEEvNS0_17copymat_directionEiiT0_iilPT_T1_13rocblas_fill_17rocblas_diagonal_.has_recursion, 0
	.set _ZN9rocsolver6v33100L8copy_matIfPfNS0_7no_maskEEEvNS0_17copymat_directionEiiT0_iilPT_T1_13rocblas_fill_17rocblas_diagonal_.has_indirect_call, 0
	.section	.AMDGPU.csdata,"",@progbits
; Kernel info:
; codeLenInByte = 612
; TotalNumSgprs: 18
; NumVgprs: 6
; ScratchSize: 0
; MemoryBound: 0
; FloatMode: 240
; IeeeMode: 1
; LDSByteSize: 0 bytes/workgroup (compile time only)
; SGPRBlocks: 0
; VGPRBlocks: 0
; NumSGPRsForWavesPerEU: 18
; NumVGPRsForWavesPerEU: 6
; Occupancy: 16
; WaveLimiterHint : 0
; COMPUTE_PGM_RSRC2:SCRATCH_EN: 0
; COMPUTE_PGM_RSRC2:USER_SGPR: 2
; COMPUTE_PGM_RSRC2:TRAP_HANDLER: 0
; COMPUTE_PGM_RSRC2:TGID_X_EN: 1
; COMPUTE_PGM_RSRC2:TGID_Y_EN: 1
; COMPUTE_PGM_RSRC2:TGID_Z_EN: 1
; COMPUTE_PGM_RSRC2:TIDIG_COMP_CNT: 1
	.section	.text._ZN9rocsolver6v33100L11stedc_copyDIfEEviPT_lS3_l,"axG",@progbits,_ZN9rocsolver6v33100L11stedc_copyDIfEEviPT_lS3_l,comdat
	.globl	_ZN9rocsolver6v33100L11stedc_copyDIfEEviPT_lS3_l ; -- Begin function _ZN9rocsolver6v33100L11stedc_copyDIfEEviPT_lS3_l
	.p2align	8
	.type	_ZN9rocsolver6v33100L11stedc_copyDIfEEviPT_lS3_l,@function
_ZN9rocsolver6v33100L11stedc_copyDIfEEviPT_lS3_l: ; @_ZN9rocsolver6v33100L11stedc_copyDIfEEviPT_lS3_l
; %bb.0:
	s_clause 0x1
	s_load_b32 s2, s[0:1], 0x34
	s_load_b32 s22, s[0:1], 0x0
	s_wait_kmcnt 0x0
	s_and_b32 s20, s2, 0xffff
	s_add_co_i32 s4, s22, -1
	s_lshl_b32 s21, s20, 4
	s_abs_i32 s5, s4
	s_cvt_f32_u32 s2, s21
	s_sub_co_i32 s3, 0, s21
	s_ashr_i32 s4, s4, 31
	s_delay_alu instid0(SALU_CYCLE_1) | instskip(NEXT) | instid1(TRANS32_DEP_1)
	v_rcp_iflag_f32_e32 v1, s2
	v_readfirstlane_b32 s2, v1
	s_mul_f32 s2, s2, 0x4f7ffffe
	s_wait_alu 0xfffe
	s_delay_alu instid0(SALU_CYCLE_2) | instskip(SKIP_1) | instid1(SALU_CYCLE_2)
	s_cvt_u32_f32 s2, s2
	s_wait_alu 0xfffe
	s_mul_i32 s3, s3, s2
	s_wait_alu 0xfffe
	s_mul_hi_u32 s3, s2, s3
	s_wait_alu 0xfffe
	s_add_co_i32 s2, s2, s3
	s_wait_alu 0xfffe
	s_mul_hi_u32 s2, s5, s2
	s_wait_alu 0xfffe
	s_mul_i32 s3, s2, s21
	s_wait_alu 0xfffe
	s_sub_co_i32 s3, s5, s3
	s_add_co_i32 s5, s2, 1
	s_wait_alu 0xfffe
	s_sub_co_i32 s6, s3, s21
	s_cmp_ge_u32 s3, s21
	s_cselect_b32 s2, s5, s2
	s_cselect_b32 s3, s6, s3
	s_wait_alu 0xfffe
	s_add_co_i32 s5, s2, 1
	s_cmp_ge_u32 s3, s21
	s_cselect_b32 s2, s5, s2
	s_wait_alu 0xfffe
	s_xor_b32 s2, s2, s4
	s_wait_alu 0xfffe
	s_sub_co_i32 s8, s2, s4
	s_delay_alu instid0(SALU_CYCLE_1)
	s_cmp_lt_i32 s8, 0
	s_cbranch_scc1 .LBB26_67
; %bb.1:
	s_load_b256 s[0:7], s[0:1], 0x8
	v_mov_b32_e32 v32, 0
	s_mov_b32 s10, ttmp7
	s_ashr_i32 s11, ttmp7, 31
	s_add_co_i32 s23, s8, 1
	s_lshl_b32 s24, s20, 1
	v_dual_mov_b32 v33, v32 :: v_dual_mov_b32 v34, v32
	v_dual_mov_b32 v35, v32 :: v_dual_mov_b32 v36, v32
	;; [unrolled: 1-line block ×7, first 2 shown]
	s_wait_kmcnt 0x0
	s_mul_u64 s[2:3], s[2:3], s[10:11]
	s_mul_u64 s[6:7], s[6:7], s[10:11]
	v_mov_b32_e32 v47, v32
	s_wait_alu 0xfffe
	s_lshl_b64 s[2:3], s[2:3], 2
	s_lshl_b64 s[6:7], s[6:7], 2
	s_mul_i32 s25, s20, 3
	s_lshl_b32 s26, s20, 2
	s_mul_i32 s27, s20, 5
	s_mul_i32 s28, s20, 6
	;; [unrolled: 1-line block ×3, first 2 shown]
	s_lshl_b32 s30, s20, 3
	s_mul_i32 s31, s20, 9
	s_mul_i32 s33, s20, 10
	;; [unrolled: 1-line block ×4, first 2 shown]
	s_wait_alu 0xfffe
	s_add_nc_u64 s[16:17], s[0:1], s[2:3]
	s_add_nc_u64 s[18:19], s[4:5], s[6:7]
	s_mul_i32 s36, s20, 13
	s_mul_i32 s37, s20, 14
	;; [unrolled: 1-line block ×3, first 2 shown]
	s_branch .LBB26_3
.LBB26_2:                               ;   in Loop: Header=BB26_3 Depth=1
	s_wait_alu 0xfffe
	s_or_b32 exec_lo, exec_lo, s0
	v_add_nc_u32_e32 v0, s21, v0
	s_add_co_i32 s23, s23, -1
	s_wait_alu 0xfffe
	s_cmp_eq_u32 s23, 0
	s_cbranch_scc1 .LBB26_67
.LBB26_3:                               ; =>This Inner Loop Header: Depth=1
	v_cmp_gt_i32_e32 vcc_lo, s22, v0
	v_ashrrev_i32_e32 v1, 31, v0
	s_and_saveexec_b32 s1, vcc_lo
	s_cbranch_execz .LBB26_5
; %bb.4:                                ;   in Loop: Header=BB26_3 Depth=1
	s_delay_alu instid0(VALU_DEP_1) | instskip(NEXT) | instid1(VALU_DEP_1)
	v_lshlrev_b64_e32 v[2:3], 2, v[0:1]
	v_add_co_u32 v2, s0, s16, v2
	s_wait_alu 0xf1ff
	s_delay_alu instid0(VALU_DEP_2)
	v_add_co_ci_u32_e64 v3, null, s17, v3, s0
	s_wait_loadcnt 0x0
	global_load_b32 v32, v[2:3], off
.LBB26_5:                               ;   in Loop: Header=BB26_3 Depth=1
	s_wait_alu 0xfffe
	s_or_b32 exec_lo, exec_lo, s1
	v_add_nc_u32_e32 v2, s20, v0
	s_delay_alu instid0(VALU_DEP_1)
	v_cmp_gt_i32_e64 s0, s22, v2
	v_ashrrev_i32_e32 v3, 31, v2
	s_and_saveexec_b32 s2, s0
	s_cbranch_execz .LBB26_7
; %bb.6:                                ;   in Loop: Header=BB26_3 Depth=1
	s_delay_alu instid0(VALU_DEP_1) | instskip(NEXT) | instid1(VALU_DEP_1)
	v_lshlrev_b64_e32 v[4:5], 2, v[2:3]
	v_add_co_u32 v4, s1, s16, v4
	s_wait_alu 0xf1ff
	s_delay_alu instid0(VALU_DEP_2)
	v_add_co_ci_u32_e64 v5, null, s17, v5, s1
	s_wait_loadcnt 0x0
	global_load_b32 v33, v[4:5], off
.LBB26_7:                               ;   in Loop: Header=BB26_3 Depth=1
	s_wait_alu 0xfffe
	s_or_b32 exec_lo, exec_lo, s2
	v_add_nc_u32_e32 v6, s20, v2
	v_add_nc_u32_e32 v4, s24, v0
	s_delay_alu instid0(VALU_DEP_2) | instskip(NEXT) | instid1(VALU_DEP_2)
	v_cmp_gt_i32_e64 s1, s22, v6
	v_ashrrev_i32_e32 v5, 31, v4
	s_and_saveexec_b32 s3, s1
	s_cbranch_execz .LBB26_9
; %bb.8:                                ;   in Loop: Header=BB26_3 Depth=1
	s_delay_alu instid0(VALU_DEP_1) | instskip(NEXT) | instid1(VALU_DEP_1)
	v_lshlrev_b64_e32 v[7:8], 2, v[4:5]
	v_add_co_u32 v7, s2, s16, v7
	s_wait_alu 0xf1ff
	s_delay_alu instid0(VALU_DEP_2)
	v_add_co_ci_u32_e64 v8, null, s17, v8, s2
	s_wait_loadcnt 0x0
	global_load_b32 v34, v[7:8], off
.LBB26_9:                               ;   in Loop: Header=BB26_3 Depth=1
	s_wait_alu 0xfffe
	s_or_b32 exec_lo, exec_lo, s3
	v_add_nc_u32_e32 v8, s20, v6
	v_add_nc_u32_e32 v6, s25, v0
	s_delay_alu instid0(VALU_DEP_2) | instskip(NEXT) | instid1(VALU_DEP_2)
	v_cmp_gt_i32_e64 s2, s22, v8
	v_ashrrev_i32_e32 v7, 31, v6
	s_and_saveexec_b32 s4, s2
	s_cbranch_execz .LBB26_11
; %bb.10:                               ;   in Loop: Header=BB26_3 Depth=1
	s_delay_alu instid0(VALU_DEP_1) | instskip(NEXT) | instid1(VALU_DEP_1)
	v_lshlrev_b64_e32 v[9:10], 2, v[6:7]
	v_add_co_u32 v9, s3, s16, v9
	s_wait_alu 0xf1ff
	s_delay_alu instid0(VALU_DEP_2)
	v_add_co_ci_u32_e64 v10, null, s17, v10, s3
	s_wait_loadcnt 0x0
	global_load_b32 v35, v[9:10], off
.LBB26_11:                              ;   in Loop: Header=BB26_3 Depth=1
	s_wait_alu 0xfffe
	s_or_b32 exec_lo, exec_lo, s4
	v_add_nc_u32_e32 v10, s20, v8
	v_add_nc_u32_e32 v8, s26, v0
	s_delay_alu instid0(VALU_DEP_2) | instskip(NEXT) | instid1(VALU_DEP_2)
	v_cmp_gt_i32_e64 s3, s22, v10
	v_ashrrev_i32_e32 v9, 31, v8
	s_and_saveexec_b32 s5, s3
	s_cbranch_execz .LBB26_13
; %bb.12:                               ;   in Loop: Header=BB26_3 Depth=1
	s_delay_alu instid0(VALU_DEP_1) | instskip(NEXT) | instid1(VALU_DEP_1)
	v_lshlrev_b64_e32 v[11:12], 2, v[8:9]
	v_add_co_u32 v11, s4, s16, v11
	s_wait_alu 0xf1ff
	s_delay_alu instid0(VALU_DEP_2)
	v_add_co_ci_u32_e64 v12, null, s17, v12, s4
	s_wait_loadcnt 0x0
	global_load_b32 v36, v[11:12], off
.LBB26_13:                              ;   in Loop: Header=BB26_3 Depth=1
	;; [unrolled: 19-line block ×12, first 2 shown]
	s_wait_alu 0xfffe
	s_or_b32 exec_lo, exec_lo, s15
	v_add_nc_u32_e32 v31, s20, v30
	v_add_nc_u32_e32 v30, s38, v0
	s_delay_alu instid0(VALU_DEP_2) | instskip(NEXT) | instid1(VALU_DEP_2)
	v_cmp_gt_i32_e64 s14, s22, v31
	v_ashrrev_i32_e32 v31, 31, v30
	s_and_saveexec_b32 s39, s14
	s_cbranch_execnz .LBB26_50
; %bb.34:                               ;   in Loop: Header=BB26_3 Depth=1
	s_wait_alu 0xfffe
	s_or_b32 exec_lo, exec_lo, s39
	s_and_saveexec_b32 s15, vcc_lo
	s_cbranch_execnz .LBB26_51
.LBB26_35:                              ;   in Loop: Header=BB26_3 Depth=1
	s_wait_alu 0xfffe
	s_or_b32 exec_lo, exec_lo, s15
	s_and_saveexec_b32 s15, s0
	s_cbranch_execnz .LBB26_52
.LBB26_36:                              ;   in Loop: Header=BB26_3 Depth=1
	s_wait_alu 0xfffe
	s_or_b32 exec_lo, exec_lo, s15
	s_and_saveexec_b32 s0, s1
	s_cbranch_execnz .LBB26_53
.LBB26_37:                              ;   in Loop: Header=BB26_3 Depth=1
	s_wait_alu 0xfffe
	s_or_b32 exec_lo, exec_lo, s0
	s_and_saveexec_b32 s0, s2
	s_cbranch_execnz .LBB26_54
.LBB26_38:                              ;   in Loop: Header=BB26_3 Depth=1
	s_wait_alu 0xfffe
	s_or_b32 exec_lo, exec_lo, s0
	s_and_saveexec_b32 s0, s3
	s_cbranch_execnz .LBB26_55
.LBB26_39:                              ;   in Loop: Header=BB26_3 Depth=1
	s_wait_alu 0xfffe
	s_or_b32 exec_lo, exec_lo, s0
	s_and_saveexec_b32 s0, s4
	s_cbranch_execnz .LBB26_56
.LBB26_40:                              ;   in Loop: Header=BB26_3 Depth=1
	s_wait_alu 0xfffe
	s_or_b32 exec_lo, exec_lo, s0
	s_and_saveexec_b32 s0, s5
	s_cbranch_execnz .LBB26_57
.LBB26_41:                              ;   in Loop: Header=BB26_3 Depth=1
	s_wait_alu 0xfffe
	s_or_b32 exec_lo, exec_lo, s0
	s_and_saveexec_b32 s0, s6
	s_cbranch_execnz .LBB26_58
.LBB26_42:                              ;   in Loop: Header=BB26_3 Depth=1
	s_wait_alu 0xfffe
	s_or_b32 exec_lo, exec_lo, s0
	s_and_saveexec_b32 s0, s7
	s_cbranch_execnz .LBB26_59
.LBB26_43:                              ;   in Loop: Header=BB26_3 Depth=1
	s_wait_alu 0xfffe
	s_or_b32 exec_lo, exec_lo, s0
	s_and_saveexec_b32 s0, s8
	s_cbranch_execnz .LBB26_60
.LBB26_44:                              ;   in Loop: Header=BB26_3 Depth=1
	s_wait_alu 0xfffe
	s_or_b32 exec_lo, exec_lo, s0
	s_and_saveexec_b32 s0, s9
	s_cbranch_execnz .LBB26_61
.LBB26_45:                              ;   in Loop: Header=BB26_3 Depth=1
	s_wait_alu 0xfffe
	s_or_b32 exec_lo, exec_lo, s0
	s_and_saveexec_b32 s0, s10
	s_cbranch_execnz .LBB26_62
.LBB26_46:                              ;   in Loop: Header=BB26_3 Depth=1
	s_wait_alu 0xfffe
	s_or_b32 exec_lo, exec_lo, s0
	s_and_saveexec_b32 s0, s11
	s_cbranch_execnz .LBB26_63
.LBB26_47:                              ;   in Loop: Header=BB26_3 Depth=1
	s_wait_alu 0xfffe
	s_or_b32 exec_lo, exec_lo, s0
	s_and_saveexec_b32 s0, s12
	s_cbranch_execnz .LBB26_64
.LBB26_48:                              ;   in Loop: Header=BB26_3 Depth=1
	s_wait_alu 0xfffe
	s_or_b32 exec_lo, exec_lo, s0
	s_and_saveexec_b32 s0, s13
	s_cbranch_execnz .LBB26_65
.LBB26_49:                              ;   in Loop: Header=BB26_3 Depth=1
	s_wait_alu 0xfffe
	s_or_b32 exec_lo, exec_lo, s0
	s_and_saveexec_b32 s0, s14
	s_cbranch_execz .LBB26_2
	s_branch .LBB26_66
.LBB26_50:                              ;   in Loop: Header=BB26_3 Depth=1
	s_wait_loadcnt 0x0
	s_delay_alu instid0(VALU_DEP_1) | instskip(NEXT) | instid1(VALU_DEP_1)
	v_lshlrev_b64_e32 v[47:48], 2, v[30:31]
	v_add_co_u32 v47, s15, s16, v47
	s_wait_alu 0xf1ff
	s_delay_alu instid0(VALU_DEP_2)
	v_add_co_ci_u32_e64 v48, null, s17, v48, s15
	global_load_b32 v47, v[47:48], off
	s_wait_alu 0xfffe
	s_or_b32 exec_lo, exec_lo, s39
	s_and_saveexec_b32 s15, vcc_lo
	s_cbranch_execz .LBB26_35
.LBB26_51:                              ;   in Loop: Header=BB26_3 Depth=1
	v_lshlrev_b64_e32 v[48:49], 2, v[0:1]
	s_delay_alu instid0(VALU_DEP_1) | instskip(SKIP_1) | instid1(VALU_DEP_2)
	v_add_co_u32 v48, vcc_lo, s18, v48
	s_wait_alu 0xfffd
	v_add_co_ci_u32_e64 v49, null, s19, v49, vcc_lo
	s_wait_loadcnt 0x0
	global_store_b32 v[48:49], v32, off
	s_wait_alu 0xfffe
	s_or_b32 exec_lo, exec_lo, s15
	s_and_saveexec_b32 s15, s0
	s_cbranch_execz .LBB26_36
.LBB26_52:                              ;   in Loop: Header=BB26_3 Depth=1
	v_lshlrev_b64_e32 v[1:2], 2, v[2:3]
	s_delay_alu instid0(VALU_DEP_1) | instskip(SKIP_1) | instid1(VALU_DEP_2)
	v_add_co_u32 v1, vcc_lo, s18, v1
	s_wait_alu 0xfffd
	v_add_co_ci_u32_e64 v2, null, s19, v2, vcc_lo
	s_wait_loadcnt 0x0
	global_store_b32 v[1:2], v33, off
	s_wait_alu 0xfffe
	s_or_b32 exec_lo, exec_lo, s15
	s_and_saveexec_b32 s0, s1
	s_cbranch_execz .LBB26_37
.LBB26_53:                              ;   in Loop: Header=BB26_3 Depth=1
	v_lshlrev_b64_e32 v[1:2], 2, v[4:5]
	s_delay_alu instid0(VALU_DEP_1) | instskip(SKIP_1) | instid1(VALU_DEP_2)
	v_add_co_u32 v1, vcc_lo, s18, v1
	s_wait_alu 0xfffd
	v_add_co_ci_u32_e64 v2, null, s19, v2, vcc_lo
	s_wait_loadcnt 0x0
	global_store_b32 v[1:2], v34, off
	s_wait_alu 0xfffe
	s_or_b32 exec_lo, exec_lo, s0
	s_and_saveexec_b32 s0, s2
	s_cbranch_execz .LBB26_38
.LBB26_54:                              ;   in Loop: Header=BB26_3 Depth=1
	v_lshlrev_b64_e32 v[1:2], 2, v[6:7]
	s_delay_alu instid0(VALU_DEP_1) | instskip(SKIP_1) | instid1(VALU_DEP_2)
	v_add_co_u32 v1, vcc_lo, s18, v1
	s_wait_alu 0xfffd
	v_add_co_ci_u32_e64 v2, null, s19, v2, vcc_lo
	s_wait_loadcnt 0x0
	global_store_b32 v[1:2], v35, off
	s_wait_alu 0xfffe
	s_or_b32 exec_lo, exec_lo, s0
	s_and_saveexec_b32 s0, s3
	s_cbranch_execz .LBB26_39
.LBB26_55:                              ;   in Loop: Header=BB26_3 Depth=1
	v_lshlrev_b64_e32 v[1:2], 2, v[8:9]
	s_delay_alu instid0(VALU_DEP_1) | instskip(SKIP_1) | instid1(VALU_DEP_2)
	v_add_co_u32 v1, vcc_lo, s18, v1
	s_wait_alu 0xfffd
	v_add_co_ci_u32_e64 v2, null, s19, v2, vcc_lo
	s_wait_loadcnt 0x0
	global_store_b32 v[1:2], v36, off
	s_wait_alu 0xfffe
	s_or_b32 exec_lo, exec_lo, s0
	s_and_saveexec_b32 s0, s4
	s_cbranch_execz .LBB26_40
.LBB26_56:                              ;   in Loop: Header=BB26_3 Depth=1
	v_lshlrev_b64_e32 v[1:2], 2, v[10:11]
	s_delay_alu instid0(VALU_DEP_1) | instskip(SKIP_1) | instid1(VALU_DEP_2)
	v_add_co_u32 v1, vcc_lo, s18, v1
	s_wait_alu 0xfffd
	v_add_co_ci_u32_e64 v2, null, s19, v2, vcc_lo
	s_wait_loadcnt 0x0
	global_store_b32 v[1:2], v37, off
	s_wait_alu 0xfffe
	s_or_b32 exec_lo, exec_lo, s0
	s_and_saveexec_b32 s0, s5
	s_cbranch_execz .LBB26_41
.LBB26_57:                              ;   in Loop: Header=BB26_3 Depth=1
	v_lshlrev_b64_e32 v[1:2], 2, v[12:13]
	s_delay_alu instid0(VALU_DEP_1) | instskip(SKIP_1) | instid1(VALU_DEP_2)
	v_add_co_u32 v1, vcc_lo, s18, v1
	s_wait_alu 0xfffd
	v_add_co_ci_u32_e64 v2, null, s19, v2, vcc_lo
	s_wait_loadcnt 0x0
	global_store_b32 v[1:2], v38, off
	s_wait_alu 0xfffe
	s_or_b32 exec_lo, exec_lo, s0
	s_and_saveexec_b32 s0, s6
	s_cbranch_execz .LBB26_42
.LBB26_58:                              ;   in Loop: Header=BB26_3 Depth=1
	v_lshlrev_b64_e32 v[1:2], 2, v[14:15]
	s_delay_alu instid0(VALU_DEP_1) | instskip(SKIP_1) | instid1(VALU_DEP_2)
	v_add_co_u32 v1, vcc_lo, s18, v1
	s_wait_alu 0xfffd
	v_add_co_ci_u32_e64 v2, null, s19, v2, vcc_lo
	s_wait_loadcnt 0x0
	global_store_b32 v[1:2], v39, off
	s_wait_alu 0xfffe
	s_or_b32 exec_lo, exec_lo, s0
	s_and_saveexec_b32 s0, s7
	s_cbranch_execz .LBB26_43
.LBB26_59:                              ;   in Loop: Header=BB26_3 Depth=1
	v_lshlrev_b64_e32 v[1:2], 2, v[16:17]
	s_delay_alu instid0(VALU_DEP_1) | instskip(SKIP_1) | instid1(VALU_DEP_2)
	v_add_co_u32 v1, vcc_lo, s18, v1
	s_wait_alu 0xfffd
	v_add_co_ci_u32_e64 v2, null, s19, v2, vcc_lo
	s_wait_loadcnt 0x0
	global_store_b32 v[1:2], v40, off
	s_wait_alu 0xfffe
	s_or_b32 exec_lo, exec_lo, s0
	s_and_saveexec_b32 s0, s8
	s_cbranch_execz .LBB26_44
.LBB26_60:                              ;   in Loop: Header=BB26_3 Depth=1
	v_lshlrev_b64_e32 v[1:2], 2, v[18:19]
	s_delay_alu instid0(VALU_DEP_1) | instskip(SKIP_1) | instid1(VALU_DEP_2)
	v_add_co_u32 v1, vcc_lo, s18, v1
	s_wait_alu 0xfffd
	v_add_co_ci_u32_e64 v2, null, s19, v2, vcc_lo
	s_wait_loadcnt 0x0
	global_store_b32 v[1:2], v41, off
	s_wait_alu 0xfffe
	s_or_b32 exec_lo, exec_lo, s0
	s_and_saveexec_b32 s0, s9
	s_cbranch_execz .LBB26_45
.LBB26_61:                              ;   in Loop: Header=BB26_3 Depth=1
	v_lshlrev_b64_e32 v[1:2], 2, v[20:21]
	s_delay_alu instid0(VALU_DEP_1) | instskip(SKIP_1) | instid1(VALU_DEP_2)
	v_add_co_u32 v1, vcc_lo, s18, v1
	s_wait_alu 0xfffd
	v_add_co_ci_u32_e64 v2, null, s19, v2, vcc_lo
	s_wait_loadcnt 0x0
	global_store_b32 v[1:2], v42, off
	s_wait_alu 0xfffe
	s_or_b32 exec_lo, exec_lo, s0
	s_and_saveexec_b32 s0, s10
	s_cbranch_execz .LBB26_46
.LBB26_62:                              ;   in Loop: Header=BB26_3 Depth=1
	v_lshlrev_b64_e32 v[1:2], 2, v[22:23]
	s_delay_alu instid0(VALU_DEP_1) | instskip(SKIP_1) | instid1(VALU_DEP_2)
	v_add_co_u32 v1, vcc_lo, s18, v1
	s_wait_alu 0xfffd
	v_add_co_ci_u32_e64 v2, null, s19, v2, vcc_lo
	s_wait_loadcnt 0x0
	global_store_b32 v[1:2], v43, off
	s_wait_alu 0xfffe
	s_or_b32 exec_lo, exec_lo, s0
	s_and_saveexec_b32 s0, s11
	s_cbranch_execz .LBB26_47
.LBB26_63:                              ;   in Loop: Header=BB26_3 Depth=1
	v_lshlrev_b64_e32 v[1:2], 2, v[24:25]
	s_delay_alu instid0(VALU_DEP_1) | instskip(SKIP_1) | instid1(VALU_DEP_2)
	v_add_co_u32 v1, vcc_lo, s18, v1
	s_wait_alu 0xfffd
	v_add_co_ci_u32_e64 v2, null, s19, v2, vcc_lo
	s_wait_loadcnt 0x0
	global_store_b32 v[1:2], v44, off
	s_wait_alu 0xfffe
	s_or_b32 exec_lo, exec_lo, s0
	s_and_saveexec_b32 s0, s12
	s_cbranch_execz .LBB26_48
.LBB26_64:                              ;   in Loop: Header=BB26_3 Depth=1
	v_lshlrev_b64_e32 v[1:2], 2, v[26:27]
	s_delay_alu instid0(VALU_DEP_1) | instskip(SKIP_1) | instid1(VALU_DEP_2)
	v_add_co_u32 v1, vcc_lo, s18, v1
	s_wait_alu 0xfffd
	v_add_co_ci_u32_e64 v2, null, s19, v2, vcc_lo
	s_wait_loadcnt 0x0
	global_store_b32 v[1:2], v45, off
	s_wait_alu 0xfffe
	s_or_b32 exec_lo, exec_lo, s0
	s_and_saveexec_b32 s0, s13
	s_cbranch_execz .LBB26_49
.LBB26_65:                              ;   in Loop: Header=BB26_3 Depth=1
	v_lshlrev_b64_e32 v[1:2], 2, v[28:29]
	s_delay_alu instid0(VALU_DEP_1) | instskip(SKIP_1) | instid1(VALU_DEP_2)
	v_add_co_u32 v1, vcc_lo, s18, v1
	s_wait_alu 0xfffd
	v_add_co_ci_u32_e64 v2, null, s19, v2, vcc_lo
	s_wait_loadcnt 0x0
	global_store_b32 v[1:2], v46, off
	s_wait_alu 0xfffe
	s_or_b32 exec_lo, exec_lo, s0
	s_and_saveexec_b32 s0, s14
	s_cbranch_execz .LBB26_2
.LBB26_66:                              ;   in Loop: Header=BB26_3 Depth=1
	v_lshlrev_b64_e32 v[1:2], 2, v[30:31]
	s_delay_alu instid0(VALU_DEP_1) | instskip(SKIP_1) | instid1(VALU_DEP_2)
	v_add_co_u32 v1, vcc_lo, s18, v1
	s_wait_alu 0xfffd
	v_add_co_ci_u32_e64 v2, null, s19, v2, vcc_lo
	s_wait_loadcnt 0x0
	global_store_b32 v[1:2], v47, off
	s_branch .LBB26_2
.LBB26_67:
	s_endpgm
	.section	.rodata,"a",@progbits
	.p2align	6, 0x0
	.amdhsa_kernel _ZN9rocsolver6v33100L11stedc_copyDIfEEviPT_lS3_l
		.amdhsa_group_segment_fixed_size 0
		.amdhsa_private_segment_fixed_size 0
		.amdhsa_kernarg_size 296
		.amdhsa_user_sgpr_count 2
		.amdhsa_user_sgpr_dispatch_ptr 0
		.amdhsa_user_sgpr_queue_ptr 0
		.amdhsa_user_sgpr_kernarg_segment_ptr 1
		.amdhsa_user_sgpr_dispatch_id 0
		.amdhsa_user_sgpr_private_segment_size 0
		.amdhsa_wavefront_size32 1
		.amdhsa_uses_dynamic_stack 0
		.amdhsa_enable_private_segment 0
		.amdhsa_system_sgpr_workgroup_id_x 1
		.amdhsa_system_sgpr_workgroup_id_y 1
		.amdhsa_system_sgpr_workgroup_id_z 0
		.amdhsa_system_sgpr_workgroup_info 0
		.amdhsa_system_vgpr_workitem_id 0
		.amdhsa_next_free_vgpr 50
		.amdhsa_next_free_sgpr 40
		.amdhsa_reserve_vcc 1
		.amdhsa_float_round_mode_32 0
		.amdhsa_float_round_mode_16_64 0
		.amdhsa_float_denorm_mode_32 3
		.amdhsa_float_denorm_mode_16_64 3
		.amdhsa_fp16_overflow 0
		.amdhsa_workgroup_processor_mode 1
		.amdhsa_memory_ordered 1
		.amdhsa_forward_progress 1
		.amdhsa_inst_pref_size 24
		.amdhsa_round_robin_scheduling 0
		.amdhsa_exception_fp_ieee_invalid_op 0
		.amdhsa_exception_fp_denorm_src 0
		.amdhsa_exception_fp_ieee_div_zero 0
		.amdhsa_exception_fp_ieee_overflow 0
		.amdhsa_exception_fp_ieee_underflow 0
		.amdhsa_exception_fp_ieee_inexact 0
		.amdhsa_exception_int_div_zero 0
	.end_amdhsa_kernel
	.section	.text._ZN9rocsolver6v33100L11stedc_copyDIfEEviPT_lS3_l,"axG",@progbits,_ZN9rocsolver6v33100L11stedc_copyDIfEEviPT_lS3_l,comdat
.Lfunc_end26:
	.size	_ZN9rocsolver6v33100L11stedc_copyDIfEEviPT_lS3_l, .Lfunc_end26-_ZN9rocsolver6v33100L11stedc_copyDIfEEviPT_lS3_l
                                        ; -- End function
	.set _ZN9rocsolver6v33100L11stedc_copyDIfEEviPT_lS3_l.num_vgpr, 50
	.set _ZN9rocsolver6v33100L11stedc_copyDIfEEviPT_lS3_l.num_agpr, 0
	.set _ZN9rocsolver6v33100L11stedc_copyDIfEEviPT_lS3_l.numbered_sgpr, 40
	.set _ZN9rocsolver6v33100L11stedc_copyDIfEEviPT_lS3_l.num_named_barrier, 0
	.set _ZN9rocsolver6v33100L11stedc_copyDIfEEviPT_lS3_l.private_seg_size, 0
	.set _ZN9rocsolver6v33100L11stedc_copyDIfEEviPT_lS3_l.uses_vcc, 1
	.set _ZN9rocsolver6v33100L11stedc_copyDIfEEviPT_lS3_l.uses_flat_scratch, 0
	.set _ZN9rocsolver6v33100L11stedc_copyDIfEEviPT_lS3_l.has_dyn_sized_stack, 0
	.set _ZN9rocsolver6v33100L11stedc_copyDIfEEviPT_lS3_l.has_recursion, 0
	.set _ZN9rocsolver6v33100L11stedc_copyDIfEEviPT_lS3_l.has_indirect_call, 0
	.section	.AMDGPU.csdata,"",@progbits
; Kernel info:
; codeLenInByte = 3020
; TotalNumSgprs: 42
; NumVgprs: 50
; ScratchSize: 0
; MemoryBound: 0
; FloatMode: 240
; IeeeMode: 1
; LDSByteSize: 0 bytes/workgroup (compile time only)
; SGPRBlocks: 0
; VGPRBlocks: 6
; NumSGPRsForWavesPerEU: 42
; NumVGPRsForWavesPerEU: 50
; Occupancy: 16
; WaveLimiterHint : 0
; COMPUTE_PGM_RSRC2:SCRATCH_EN: 0
; COMPUTE_PGM_RSRC2:USER_SGPR: 2
; COMPUTE_PGM_RSRC2:TRAP_HANDLER: 0
; COMPUTE_PGM_RSRC2:TGID_X_EN: 1
; COMPUTE_PGM_RSRC2:TGID_Y_EN: 1
; COMPUTE_PGM_RSRC2:TGID_Z_EN: 0
; COMPUTE_PGM_RSRC2:TIDIG_COMP_CNT: 0
	.section	.text._ZN9rocsolver6v33100L10stedc_sortIffPfS2_EEviPT0_lS4_lT1_iilT2_iil,"axG",@progbits,_ZN9rocsolver6v33100L10stedc_sortIffPfS2_EEviPT0_lS4_lT1_iilT2_iil,comdat
	.globl	_ZN9rocsolver6v33100L10stedc_sortIffPfS2_EEviPT0_lS4_lT1_iilT2_iil ; -- Begin function _ZN9rocsolver6v33100L10stedc_sortIffPfS2_EEviPT0_lS4_lT1_iilT2_iil
	.p2align	8
	.type	_ZN9rocsolver6v33100L10stedc_sortIffPfS2_EEviPT0_lS4_lT1_iilT2_iil,@function
_ZN9rocsolver6v33100L10stedc_sortIffPfS2_EEviPT0_lS4_lT1_iilT2_iil: ; @_ZN9rocsolver6v33100L10stedc_sortIffPfS2_EEviPT0_lS4_lT1_iilT2_iil
; %bb.0:
	s_clause 0x3
	s_load_b32 s2, s[0:1], 0x64
	s_load_b64 s[28:29], s[0:1], 0x28
	s_load_b256 s[16:23], s[0:1], 0x8
	s_load_b32 s37, s[0:1], 0x0
	s_mov_b32 s24, ttmp7
	s_ashr_i32 s25, ttmp7, 31
	s_mov_b32 s26, ttmp9
	s_ashr_i32 s27, ttmp9, 31
	s_delay_alu instid0(SALU_CYCLE_1)
	s_lshl_b64 s[30:31], s[26:27], 2
	s_wait_kmcnt 0x0
	s_and_b32 s33, s2, 0xffff
	s_mul_u64 s[4:5], s[18:19], s[24:25]
	s_lshl_b32 s36, s33, 4
	s_add_co_i32 s6, s37, -1
	s_cvt_f32_u32 s2, s36
	s_sub_co_i32 s8, 0, s36
	s_lshl_b64 s[4:5], s[4:5], 2
	s_ashr_i32 s7, s6, 31
	v_rcp_iflag_f32_e32 v1, s2
	s_abs_i32 s6, s6
	s_add_nc_u64 s[34:35], s[16:17], s[4:5]
	s_mov_b32 s2, -1
	s_add_nc_u64 s[4:5], s[34:35], s[30:31]
	s_mul_i32 s27, s33, 3
	s_load_b32 s49, s[4:5], 0x0
	s_mul_i32 s38, s33, 5
	s_mul_i32 s39, s33, 6
	;; [unrolled: 1-line block ×3, first 2 shown]
	v_readfirstlane_b32 s3, v1
	s_mul_i32 s41, s33, 9
	s_mul_i32 s42, s33, 10
	;; [unrolled: 1-line block ×4, first 2 shown]
	s_mul_f32 s3, s3, 0x4f7ffffe
	s_mul_i32 s45, s33, 13
	s_mul_i32 s46, s33, 14
	;; [unrolled: 1-line block ×3, first 2 shown]
	s_wait_alu 0xfffe
	s_cvt_u32_f32 s3, s3
	s_wait_alu 0xfffe
	s_delay_alu instid0(SALU_CYCLE_2) | instskip(NEXT) | instid1(SALU_CYCLE_1)
	s_mul_i32 s8, s8, s3
	s_mul_hi_u32 s8, s3, s8
	s_delay_alu instid0(SALU_CYCLE_1)
	s_add_co_i32 s3, s3, s8
	s_wait_alu 0xfffe
	s_mul_hi_u32 s3, s6, s3
	s_wait_alu 0xfffe
	s_mul_i32 s8, s3, s36
	s_add_co_i32 s5, s3, 1
	s_sub_co_i32 s4, s6, s8
	s_delay_alu instid0(SALU_CYCLE_1)
	s_sub_co_i32 s6, s4, s36
	s_cmp_ge_u32 s4, s36
	s_cselect_b32 s3, s5, s3
	s_cselect_b32 s4, s6, s4
	s_wait_alu 0xfffe
	s_add_co_i32 s5, s3, 1
	s_cmp_ge_u32 s4, s36
	s_cselect_b32 s3, s5, s3
	s_wait_alu 0xfffe
	s_xor_b32 s3, s3, s7
	s_wait_alu 0xfffe
	s_sub_co_i32 s19, s3, s7
	s_delay_alu instid0(SALU_CYCLE_1)
	s_cmp_gt_i32 s19, -1
	s_cselect_b32 s48, -1, 0
	s_cmp_lt_i32 s19, 0
	s_cbranch_scc1 .LBB27_67
; %bb.1:
	v_dual_mov_b32 v1, 0 :: v_dual_mov_b32 v18, v0
	s_add_co_i32 s50, s19, 1
	s_lshl_b32 s51, s33, 1
	s_lshl_b32 s52, s33, 2
	s_delay_alu instid0(VALU_DEP_1)
	v_dual_mov_b32 v16, v1 :: v_dual_mov_b32 v49, v1
	v_dual_mov_b32 v2, v1 :: v_dual_mov_b32 v3, v1
	;; [unrolled: 1-line block ×9, first 2 shown]
	s_delay_alu instid0(VALU_DEP_2) | instskip(NEXT) | instid1(VALU_DEP_3)
	v_mov_b32_e32 v16, v15
	v_mov_b32_e32 v15, v14
	;; [unrolled: 1-line block ×15, first 2 shown]
	s_lshl_b32 s53, s33, 3
	s_branch .LBB27_3
.LBB27_2:                               ;   in Loop: Header=BB27_3 Depth=1
	s_wait_alu 0xfffe
	s_or_b32 exec_lo, exec_lo, s4
	v_add_nc_u32_e32 v18, s36, v18
	s_add_co_i32 s50, s50, -1
	s_wait_alu 0xfffe
	s_cmp_eq_u32 s50, 0
	s_cbranch_scc1 .LBB27_68
.LBB27_3:                               ; =>This Inner Loop Header: Depth=1
	v_cmp_gt_i32_e64 s16, s37, v18
	s_and_saveexec_b32 s2, s16
	s_cbranch_execz .LBB27_5
; %bb.4:                                ;   in Loop: Header=BB27_3 Depth=1
	v_ashrrev_i32_e32 v19, 31, v18
	s_delay_alu instid0(VALU_DEP_1) | instskip(NEXT) | instid1(VALU_DEP_1)
	v_lshlrev_b64_e32 v[19:20], 2, v[18:19]
	v_add_co_u32 v19, vcc_lo, s34, v19
	s_wait_alu 0xfffd
	s_delay_alu instid0(VALU_DEP_2)
	v_add_co_ci_u32_e64 v20, null, s35, v20, vcc_lo
	s_wait_loadcnt 0x0
	global_load_b32 v2, v[19:20], off
.LBB27_5:                               ;   in Loop: Header=BB27_3 Depth=1
	s_wait_alu 0xfffe
	s_or_b32 exec_lo, exec_lo, s2
	v_add_nc_u32_e32 v47, s33, v18
	s_delay_alu instid0(VALU_DEP_1)
	v_cmp_gt_i32_e64 s15, s37, v47
	s_and_saveexec_b32 s2, s15
	s_cbranch_execz .LBB27_7
; %bb.6:                                ;   in Loop: Header=BB27_3 Depth=1
	v_ashrrev_i32_e32 v48, 31, v47
	s_delay_alu instid0(VALU_DEP_1) | instskip(NEXT) | instid1(VALU_DEP_1)
	v_lshlrev_b64_e32 v[19:20], 2, v[47:48]
	v_add_co_u32 v19, vcc_lo, s34, v19
	s_wait_alu 0xfffd
	s_delay_alu instid0(VALU_DEP_2)
	v_add_co_ci_u32_e64 v20, null, s35, v20, vcc_lo
	s_wait_loadcnt 0x0
	global_load_b32 v3, v[19:20], off
.LBB27_7:                               ;   in Loop: Header=BB27_3 Depth=1
	s_wait_alu 0xfffe
	s_or_b32 exec_lo, exec_lo, s2
	v_add_nc_u32_e32 v45, s51, v18
	s_delay_alu instid0(VALU_DEP_1)
	;; [unrolled: 18-line block ×3, first 2 shown]
	v_cmp_gt_i32_e64 s13, s37, v43
	s_and_saveexec_b32 s2, s13
	s_cbranch_execz .LBB27_11
; %bb.10:                               ;   in Loop: Header=BB27_3 Depth=1
	v_ashrrev_i32_e32 v44, 31, v43
	s_delay_alu instid0(VALU_DEP_1) | instskip(NEXT) | instid1(VALU_DEP_1)
	v_lshlrev_b64_e32 v[19:20], 2, v[43:44]
	v_add_co_u32 v19, vcc_lo, s34, v19
	s_wait_alu 0xfffd
	s_delay_alu instid0(VALU_DEP_2)
	v_add_co_ci_u32_e64 v20, null, s35, v20, vcc_lo
	s_wait_loadcnt 0x0
	global_load_b32 v5, v[19:20], off
.LBB27_11:                              ;   in Loop: Header=BB27_3 Depth=1
	s_wait_alu 0xfffe
	s_or_b32 exec_lo, exec_lo, s2
	v_add_nc_u32_e32 v41, s52, v18
	s_delay_alu instid0(VALU_DEP_1)
	v_cmp_gt_i32_e64 s12, s37, v41
	s_and_saveexec_b32 s2, s12
	s_cbranch_execz .LBB27_13
; %bb.12:                               ;   in Loop: Header=BB27_3 Depth=1
	v_ashrrev_i32_e32 v42, 31, v41
	s_delay_alu instid0(VALU_DEP_1) | instskip(NEXT) | instid1(VALU_DEP_1)
	v_lshlrev_b64_e32 v[19:20], 2, v[41:42]
	v_add_co_u32 v19, vcc_lo, s34, v19
	s_wait_alu 0xfffd
	s_delay_alu instid0(VALU_DEP_2)
	v_add_co_ci_u32_e64 v20, null, s35, v20, vcc_lo
	s_wait_loadcnt 0x0
	global_load_b32 v6, v[19:20], off
.LBB27_13:                              ;   in Loop: Header=BB27_3 Depth=1
	s_wait_alu 0xfffe
	s_or_b32 exec_lo, exec_lo, s2
	v_add_nc_u32_e32 v39, s38, v18
	s_delay_alu instid0(VALU_DEP_1)
	;; [unrolled: 18-line block ×12, first 2 shown]
	v_cmp_gt_i32_e32 vcc_lo, s37, v19
	s_and_saveexec_b32 s18, vcc_lo
	s_cbranch_execnz .LBB27_50
; %bb.34:                               ;   in Loop: Header=BB27_3 Depth=1
	s_wait_alu 0xfffe
	s_or_b32 exec_lo, exec_lo, s18
	s_and_saveexec_b32 s54, s16
	s_cbranch_execnz .LBB27_51
.LBB27_35:                              ;   in Loop: Header=BB27_3 Depth=1
	s_or_b32 exec_lo, exec_lo, s54
	s_and_saveexec_b32 s18, s15
	s_cbranch_execnz .LBB27_52
.LBB27_36:                              ;   in Loop: Header=BB27_3 Depth=1
	s_wait_alu 0xfffe
	s_or_b32 exec_lo, exec_lo, s18
	s_and_saveexec_b32 s17, s14
	s_cbranch_execnz .LBB27_53
.LBB27_37:                              ;   in Loop: Header=BB27_3 Depth=1
	s_wait_alu 0xfffe
	s_or_b32 exec_lo, exec_lo, s17
	s_and_saveexec_b32 s16, s13
	s_cbranch_execnz .LBB27_54
.LBB27_38:                              ;   in Loop: Header=BB27_3 Depth=1
	s_wait_alu 0xfffe
	s_or_b32 exec_lo, exec_lo, s16
	s_and_saveexec_b32 s15, s12
	s_cbranch_execnz .LBB27_55
.LBB27_39:                              ;   in Loop: Header=BB27_3 Depth=1
	s_wait_alu 0xfffe
	s_or_b32 exec_lo, exec_lo, s15
	s_and_saveexec_b32 s14, s11
	s_cbranch_execnz .LBB27_56
.LBB27_40:                              ;   in Loop: Header=BB27_3 Depth=1
	s_wait_alu 0xfffe
	s_or_b32 exec_lo, exec_lo, s14
	s_and_saveexec_b32 s13, s10
	s_cbranch_execnz .LBB27_57
.LBB27_41:                              ;   in Loop: Header=BB27_3 Depth=1
	s_wait_alu 0xfffe
	s_or_b32 exec_lo, exec_lo, s13
	s_and_saveexec_b32 s12, s9
	s_cbranch_execnz .LBB27_58
.LBB27_42:                              ;   in Loop: Header=BB27_3 Depth=1
	s_wait_alu 0xfffe
	s_or_b32 exec_lo, exec_lo, s12
	s_and_saveexec_b32 s11, s8
	s_cbranch_execnz .LBB27_59
.LBB27_43:                              ;   in Loop: Header=BB27_3 Depth=1
	s_wait_alu 0xfffe
	s_or_b32 exec_lo, exec_lo, s11
	s_and_saveexec_b32 s10, s7
	s_cbranch_execnz .LBB27_60
.LBB27_44:                              ;   in Loop: Header=BB27_3 Depth=1
	s_wait_alu 0xfffe
	s_or_b32 exec_lo, exec_lo, s10
	s_and_saveexec_b32 s9, s6
	s_cbranch_execnz .LBB27_61
.LBB27_45:                              ;   in Loop: Header=BB27_3 Depth=1
	s_wait_alu 0xfffe
	s_or_b32 exec_lo, exec_lo, s9
	s_and_saveexec_b32 s8, s5
	s_cbranch_execnz .LBB27_62
.LBB27_46:                              ;   in Loop: Header=BB27_3 Depth=1
	s_wait_alu 0xfffe
	s_or_b32 exec_lo, exec_lo, s8
	s_and_saveexec_b32 s7, s4
	s_cbranch_execnz .LBB27_63
.LBB27_47:                              ;   in Loop: Header=BB27_3 Depth=1
	s_wait_alu 0xfffe
	s_or_b32 exec_lo, exec_lo, s7
	s_and_saveexec_b32 s6, s3
	s_cbranch_execnz .LBB27_64
.LBB27_48:                              ;   in Loop: Header=BB27_3 Depth=1
	s_wait_alu 0xfffe
	s_or_b32 exec_lo, exec_lo, s6
	s_and_saveexec_b32 s5, s2
	s_cbranch_execnz .LBB27_65
.LBB27_49:                              ;   in Loop: Header=BB27_3 Depth=1
	s_wait_alu 0xfffe
	s_or_b32 exec_lo, exec_lo, s5
	s_and_saveexec_b32 s4, vcc_lo
	s_cbranch_execz .LBB27_2
	s_branch .LBB27_66
.LBB27_50:                              ;   in Loop: Header=BB27_3 Depth=1
	v_ashrrev_i32_e32 v20, 31, v19
	s_delay_alu instid0(VALU_DEP_1) | instskip(NEXT) | instid1(VALU_DEP_1)
	v_lshlrev_b64_e32 v[51:52], 2, v[19:20]
	v_add_co_u32 v51, s17, s34, v51
	s_wait_alu 0xf1ff
	s_delay_alu instid0(VALU_DEP_2)
	v_add_co_ci_u32_e64 v52, null, s35, v52, s17
	s_wait_loadcnt 0x0
	global_load_b32 v17, v[51:52], off
	s_wait_alu 0xfffe
	s_or_b32 exec_lo, exec_lo, s18
	s_and_saveexec_b32 s54, s16
	s_cbranch_execz .LBB27_35
.LBB27_51:                              ;   in Loop: Header=BB27_3 Depth=1
	s_wait_loadcnt 0x0
	v_cmp_u_f32_e64 s18, v2, v2
	s_wait_kmcnt 0x0
	v_cmp_eq_f32_e64 s16, s49, v2
	v_cmp_gt_i32_e64 s17, s26, v18
	s_wait_alu 0xf1ff
	v_add_co_ci_u32_e64 v1, null, 0, v1, s18
	v_cmp_gt_f32_e64 s18, s49, v2
	s_and_b32 s16, s16, s17
	s_wait_alu 0xfffe
	v_add_co_ci_u32_e64 v50, null, 0, v50, s16
	v_add_co_ci_u32_e64 v49, null, 0, v49, s18
	s_or_b32 exec_lo, exec_lo, s54
	s_and_saveexec_b32 s18, s15
	s_cbranch_execz .LBB27_36
.LBB27_52:                              ;   in Loop: Header=BB27_3 Depth=1
	s_wait_loadcnt 0x0
	v_cmp_u_f32_e64 s17, v3, v3
	s_wait_kmcnt 0x0
	v_cmp_eq_f32_e64 s15, s49, v3
	v_cmp_gt_i32_e64 s16, s26, v47
	s_wait_alu 0xf1ff
	v_add_co_ci_u32_e64 v1, null, 0, v1, s17
	v_cmp_gt_f32_e64 s17, s49, v3
	s_and_b32 s15, s15, s16
	s_wait_alu 0xfffe
	v_add_co_ci_u32_e64 v50, null, 0, v50, s15
	v_add_co_ci_u32_e64 v49, null, 0, v49, s17
	s_or_b32 exec_lo, exec_lo, s18
	s_and_saveexec_b32 s17, s14
	s_cbranch_execz .LBB27_37
.LBB27_53:                              ;   in Loop: Header=BB27_3 Depth=1
	s_wait_loadcnt 0x0
	v_cmp_u_f32_e64 s16, v4, v4
	s_wait_kmcnt 0x0
	v_cmp_eq_f32_e64 s14, s49, v4
	v_cmp_gt_i32_e64 s15, s26, v45
	s_wait_alu 0xf1ff
	v_add_co_ci_u32_e64 v1, null, 0, v1, s16
	v_cmp_gt_f32_e64 s16, s49, v4
	s_and_b32 s14, s14, s15
	s_wait_alu 0xfffe
	v_add_co_ci_u32_e64 v50, null, 0, v50, s14
	v_add_co_ci_u32_e64 v49, null, 0, v49, s16
	s_or_b32 exec_lo, exec_lo, s17
	s_and_saveexec_b32 s16, s13
	s_cbranch_execz .LBB27_38
.LBB27_54:                              ;   in Loop: Header=BB27_3 Depth=1
	s_wait_loadcnt 0x0
	v_cmp_u_f32_e64 s15, v5, v5
	s_wait_kmcnt 0x0
	v_cmp_eq_f32_e64 s13, s49, v5
	v_cmp_gt_i32_e64 s14, s26, v43
	s_wait_alu 0xf1ff
	v_add_co_ci_u32_e64 v1, null, 0, v1, s15
	v_cmp_gt_f32_e64 s15, s49, v5
	s_and_b32 s13, s13, s14
	s_wait_alu 0xfffe
	v_add_co_ci_u32_e64 v50, null, 0, v50, s13
	v_add_co_ci_u32_e64 v49, null, 0, v49, s15
	s_or_b32 exec_lo, exec_lo, s16
	s_and_saveexec_b32 s15, s12
	s_cbranch_execz .LBB27_39
.LBB27_55:                              ;   in Loop: Header=BB27_3 Depth=1
	s_wait_loadcnt 0x0
	v_cmp_u_f32_e64 s14, v6, v6
	s_wait_kmcnt 0x0
	v_cmp_eq_f32_e64 s12, s49, v6
	v_cmp_gt_i32_e64 s13, s26, v41
	s_wait_alu 0xf1ff
	v_add_co_ci_u32_e64 v1, null, 0, v1, s14
	v_cmp_gt_f32_e64 s14, s49, v6
	s_and_b32 s12, s12, s13
	s_wait_alu 0xfffe
	v_add_co_ci_u32_e64 v50, null, 0, v50, s12
	v_add_co_ci_u32_e64 v49, null, 0, v49, s14
	s_or_b32 exec_lo, exec_lo, s15
	s_and_saveexec_b32 s14, s11
	s_cbranch_execz .LBB27_40
.LBB27_56:                              ;   in Loop: Header=BB27_3 Depth=1
	s_wait_loadcnt 0x0
	v_cmp_u_f32_e64 s13, v7, v7
	s_wait_kmcnt 0x0
	v_cmp_eq_f32_e64 s11, s49, v7
	v_cmp_gt_i32_e64 s12, s26, v39
	s_wait_alu 0xf1ff
	v_add_co_ci_u32_e64 v1, null, 0, v1, s13
	v_cmp_gt_f32_e64 s13, s49, v7
	s_and_b32 s11, s11, s12
	s_wait_alu 0xfffe
	v_add_co_ci_u32_e64 v50, null, 0, v50, s11
	v_add_co_ci_u32_e64 v49, null, 0, v49, s13
	s_or_b32 exec_lo, exec_lo, s14
	s_and_saveexec_b32 s13, s10
	s_cbranch_execz .LBB27_41
.LBB27_57:                              ;   in Loop: Header=BB27_3 Depth=1
	s_wait_loadcnt 0x0
	v_cmp_u_f32_e64 s12, v8, v8
	s_wait_kmcnt 0x0
	v_cmp_eq_f32_e64 s10, s49, v8
	v_cmp_gt_i32_e64 s11, s26, v37
	s_wait_alu 0xf1ff
	v_add_co_ci_u32_e64 v1, null, 0, v1, s12
	v_cmp_gt_f32_e64 s12, s49, v8
	s_and_b32 s10, s10, s11
	s_wait_alu 0xfffe
	v_add_co_ci_u32_e64 v50, null, 0, v50, s10
	v_add_co_ci_u32_e64 v49, null, 0, v49, s12
	s_or_b32 exec_lo, exec_lo, s13
	s_and_saveexec_b32 s12, s9
	s_cbranch_execz .LBB27_42
.LBB27_58:                              ;   in Loop: Header=BB27_3 Depth=1
	s_wait_loadcnt 0x0
	v_cmp_u_f32_e64 s11, v9, v9
	s_wait_kmcnt 0x0
	v_cmp_eq_f32_e64 s9, s49, v9
	v_cmp_gt_i32_e64 s10, s26, v35
	s_wait_alu 0xf1ff
	v_add_co_ci_u32_e64 v1, null, 0, v1, s11
	v_cmp_gt_f32_e64 s11, s49, v9
	s_and_b32 s9, s9, s10
	s_wait_alu 0xfffe
	v_add_co_ci_u32_e64 v50, null, 0, v50, s9
	v_add_co_ci_u32_e64 v49, null, 0, v49, s11
	s_or_b32 exec_lo, exec_lo, s12
	s_and_saveexec_b32 s11, s8
	s_cbranch_execz .LBB27_43
.LBB27_59:                              ;   in Loop: Header=BB27_3 Depth=1
	s_wait_loadcnt 0x0
	v_cmp_u_f32_e64 s10, v10, v10
	s_wait_kmcnt 0x0
	v_cmp_eq_f32_e64 s8, s49, v10
	v_cmp_gt_i32_e64 s9, s26, v33
	s_wait_alu 0xf1ff
	v_add_co_ci_u32_e64 v1, null, 0, v1, s10
	v_cmp_gt_f32_e64 s10, s49, v10
	s_and_b32 s8, s8, s9
	s_wait_alu 0xfffe
	v_add_co_ci_u32_e64 v50, null, 0, v50, s8
	v_add_co_ci_u32_e64 v49, null, 0, v49, s10
	s_or_b32 exec_lo, exec_lo, s11
	s_and_saveexec_b32 s10, s7
	s_cbranch_execz .LBB27_44
.LBB27_60:                              ;   in Loop: Header=BB27_3 Depth=1
	s_wait_loadcnt 0x0
	v_cmp_u_f32_e64 s9, v11, v11
	s_wait_kmcnt 0x0
	v_cmp_eq_f32_e64 s7, s49, v11
	v_cmp_gt_i32_e64 s8, s26, v31
	s_wait_alu 0xf1ff
	v_add_co_ci_u32_e64 v1, null, 0, v1, s9
	v_cmp_gt_f32_e64 s9, s49, v11
	s_and_b32 s7, s7, s8
	s_wait_alu 0xfffe
	v_add_co_ci_u32_e64 v50, null, 0, v50, s7
	v_add_co_ci_u32_e64 v49, null, 0, v49, s9
	s_or_b32 exec_lo, exec_lo, s10
	s_and_saveexec_b32 s9, s6
	s_cbranch_execz .LBB27_45
.LBB27_61:                              ;   in Loop: Header=BB27_3 Depth=1
	s_wait_loadcnt 0x0
	v_cmp_u_f32_e64 s8, v12, v12
	s_wait_kmcnt 0x0
	v_cmp_eq_f32_e64 s6, s49, v12
	v_cmp_gt_i32_e64 s7, s26, v29
	s_wait_alu 0xf1ff
	v_add_co_ci_u32_e64 v1, null, 0, v1, s8
	v_cmp_gt_f32_e64 s8, s49, v12
	s_and_b32 s6, s6, s7
	s_wait_alu 0xfffe
	v_add_co_ci_u32_e64 v50, null, 0, v50, s6
	v_add_co_ci_u32_e64 v49, null, 0, v49, s8
	s_or_b32 exec_lo, exec_lo, s9
	s_and_saveexec_b32 s8, s5
	s_cbranch_execz .LBB27_46
.LBB27_62:                              ;   in Loop: Header=BB27_3 Depth=1
	s_wait_loadcnt 0x0
	v_cmp_u_f32_e64 s7, v13, v13
	s_wait_kmcnt 0x0
	v_cmp_eq_f32_e64 s5, s49, v13
	v_cmp_gt_i32_e64 s6, s26, v27
	s_wait_alu 0xf1ff
	v_add_co_ci_u32_e64 v1, null, 0, v1, s7
	v_cmp_gt_f32_e64 s7, s49, v13
	s_and_b32 s5, s5, s6
	s_wait_alu 0xfffe
	v_add_co_ci_u32_e64 v50, null, 0, v50, s5
	v_add_co_ci_u32_e64 v49, null, 0, v49, s7
	s_or_b32 exec_lo, exec_lo, s8
	s_and_saveexec_b32 s7, s4
	s_cbranch_execz .LBB27_47
.LBB27_63:                              ;   in Loop: Header=BB27_3 Depth=1
	s_wait_loadcnt 0x0
	v_cmp_u_f32_e64 s6, v14, v14
	s_wait_kmcnt 0x0
	v_cmp_eq_f32_e64 s4, s49, v14
	v_cmp_gt_i32_e64 s5, s26, v25
	s_wait_alu 0xf1ff
	v_add_co_ci_u32_e64 v1, null, 0, v1, s6
	v_cmp_gt_f32_e64 s6, s49, v14
	s_and_b32 s4, s4, s5
	s_wait_alu 0xfffe
	v_add_co_ci_u32_e64 v50, null, 0, v50, s4
	v_add_co_ci_u32_e64 v49, null, 0, v49, s6
	s_or_b32 exec_lo, exec_lo, s7
	s_and_saveexec_b32 s6, s3
	s_cbranch_execz .LBB27_48
.LBB27_64:                              ;   in Loop: Header=BB27_3 Depth=1
	s_wait_loadcnt 0x0
	v_cmp_u_f32_e64 s5, v15, v15
	s_wait_kmcnt 0x0
	v_cmp_eq_f32_e64 s3, s49, v15
	v_cmp_gt_i32_e64 s4, s26, v23
	s_wait_alu 0xf1ff
	v_add_co_ci_u32_e64 v1, null, 0, v1, s5
	v_cmp_gt_f32_e64 s5, s49, v15
	s_and_b32 s3, s3, s4
	s_wait_alu 0xfffe
	v_add_co_ci_u32_e64 v50, null, 0, v50, s3
	v_add_co_ci_u32_e64 v49, null, 0, v49, s5
	s_or_b32 exec_lo, exec_lo, s6
	s_and_saveexec_b32 s5, s2
	s_cbranch_execz .LBB27_49
.LBB27_65:                              ;   in Loop: Header=BB27_3 Depth=1
	s_wait_loadcnt 0x0
	v_cmp_u_f32_e64 s4, v16, v16
	s_wait_kmcnt 0x0
	v_cmp_eq_f32_e64 s2, s49, v16
	v_cmp_gt_i32_e64 s3, s26, v21
	s_wait_alu 0xf1ff
	v_add_co_ci_u32_e64 v1, null, 0, v1, s4
	v_cmp_gt_f32_e64 s4, s49, v16
	s_and_b32 s2, s2, s3
	s_wait_alu 0xfffe
	v_add_co_ci_u32_e64 v50, null, 0, v50, s2
	v_add_co_ci_u32_e64 v49, null, 0, v49, s4
	s_or_b32 exec_lo, exec_lo, s5
	s_and_saveexec_b32 s4, vcc_lo
	s_cbranch_execz .LBB27_2
.LBB27_66:                              ;   in Loop: Header=BB27_3 Depth=1
	s_wait_loadcnt 0x0
	v_cmp_u_f32_e64 s3, v17, v17
	s_wait_kmcnt 0x0
	v_cmp_eq_f32_e32 vcc_lo, s49, v17
	v_cmp_gt_i32_e64 s2, s26, v19
	s_wait_alu 0xf1ff
	v_add_co_ci_u32_e64 v1, null, 0, v1, s3
	v_cmp_gt_f32_e64 s3, s49, v17
	s_and_b32 vcc_lo, vcc_lo, s2
	s_wait_alu 0xfffe
	v_add_co_ci_u32_e64 v50, null, 0, v50, vcc_lo
	v_add_co_ci_u32_e64 v49, null, 0, v49, s3
	s_branch .LBB27_2
.LBB27_67:
	v_mov_b32_e32 v18, 0
	s_delay_alu instid0(VALU_DEP_1)
	v_dual_mov_b32 v19, v18 :: v_dual_mov_b32 v20, v18
	v_dual_mov_b32 v21, v18 :: v_dual_mov_b32 v22, v18
	;; [unrolled: 1-line block ×7, first 2 shown]
	v_mov_b32_e32 v33, v18
	v_dual_mov_b32 v2, v18 :: v_dual_mov_b32 v3, v19
	v_dual_mov_b32 v4, v20 :: v_dual_mov_b32 v5, v21
	;; [unrolled: 1-line block ×8, first 2 shown]
	v_lshlrev_b32_e32 v1, 2, v0
	s_cmp_lt_u32 s33, 2
	ds_store_b32 v1, v18
	s_cbranch_scc0 .LBB27_69
	s_branch .LBB27_73
.LBB27_68:
	v_add_nc_u32_e32 v18, v49, v50
	v_cmp_eq_u32_e64 s2, 0, v1
	v_lshlrev_b32_e32 v1, 2, v0
	s_cmp_lt_u32 s33, 2
	ds_store_b32 v1, v18
	s_cbranch_scc1 .LBB27_73
.LBB27_69:
	s_mov_b32 s3, s33
	s_branch .LBB27_71
.LBB27_70:                              ;   in Loop: Header=BB27_71 Depth=1
	s_or_b32 exec_lo, exec_lo, s5
	s_cmp_lt_u32 s3, 4
	s_mov_b32 s3, s4
	s_cbranch_scc1 .LBB27_73
.LBB27_71:                              ; =>This Inner Loop Header: Depth=1
	s_wait_alu 0xfffe
	s_lshr_b32 s4, s3, 1
	s_mov_b32 s5, exec_lo
	s_wait_loadcnt_dscnt 0x0
	s_barrier_signal -1
	s_barrier_wait -1
	global_inv scope:SCOPE_SE
	s_wait_alu 0xfffe
	v_cmpx_gt_u32_e64 s4, v0
	s_cbranch_execz .LBB27_70
; %bb.72:                               ;   in Loop: Header=BB27_71 Depth=1
	v_lshl_add_u32 v19, s4, 2, v1
	ds_load_b32 v19, v19
	s_wait_dscnt 0x0
	v_add_nc_u32_e32 v18, v19, v18
	ds_store_b32 v1, v18
	s_branch .LBB27_70
.LBB27_73:
	v_mov_b32_e32 v1, 0
	s_wait_loadcnt_dscnt 0x0
	s_barrier_signal -1
	s_barrier_wait -1
	global_inv scope:SCOPE_SE
	ds_load_b32 v18, v1
	s_mul_u64 s[4:5], s[22:23], s[24:25]
	s_wait_alu 0xfffe
	s_lshl_b64 s[6:7], s[4:5], 2
	s_xor_b32 s4, s2, -1
	s_wait_alu 0xfffe
	s_add_nc_u64 s[2:3], s[20:21], s[6:7]
	s_mov_b32 s5, exec_lo
	s_wait_dscnt 0x0
	v_readfirstlane_b32 s8, v18
	v_cmpx_eq_u32_e32 0, v0
	s_cbranch_execnz .LBB27_76
; %bb.74:
	s_wait_alu 0xfffe
	s_or_b32 exec_lo, exec_lo, s5
	s_and_saveexec_b32 s5, s4
	s_cbranch_execnz .LBB27_77
.LBB27_75:
	s_wait_alu 0xfffe
	s_or_b32 exec_lo, exec_lo, s5
	s_delay_alu instid0(SALU_CYCLE_1)
	s_and_not1_b32 vcc_lo, exec_lo, s48
	s_wait_alu 0xfffe
	s_cbranch_vccz .LBB27_78
	s_branch .LBB27_144
.LBB27_76:
	s_ashr_i32 s9, s8, 31
	s_wait_kmcnt 0x0
	v_mov_b32_e32 v18, s49
	s_wait_alu 0xfffe
	s_lshl_b64 s[6:7], s[8:9], 2
	s_wait_alu 0xfffe
	s_add_nc_u64 s[6:7], s[2:3], s[6:7]
	global_store_b32 v1, v18, s[6:7]
	s_or_b32 exec_lo, exec_lo, s5
	s_and_saveexec_b32 s5, s4
	s_cbranch_execz .LBB27_75
.LBB27_77:
	v_dual_mov_b32 v1, 0 :: v_dual_mov_b32 v18, 0x7fc00000
	s_add_nc_u64 s[2:3], s[2:3], s[30:31]
	global_store_b32 v1, v18, s[2:3]
	s_wait_alu 0xfffe
	s_or_b32 exec_lo, exec_lo, s5
	s_delay_alu instid0(SALU_CYCLE_1)
	s_and_not1_b32 vcc_lo, exec_lo, s48
	s_wait_alu 0xfffe
	s_cbranch_vccnz .LBB27_144
.LBB27_78:
	s_clause 0x1
	s_load_b64 s[10:11], s[0:1], 0x30
	s_load_b256 s[0:7], s[0:1], 0x38
	s_add_co_i32 s20, s19, 1
	s_lshl_b32 s21, s33, 1
	s_lshl_b32 s22, s33, 2
	;; [unrolled: 1-line block ×3, first 2 shown]
	s_wait_kmcnt 0x0
	s_ashr_i32 s13, s10, 31
	s_mul_u64 s[0:1], s[0:1], s[24:25]
	s_mul_u64 s[6:7], s[6:7], s[24:25]
	s_mov_b32 s12, s10
	s_ashr_i32 s15, s4, 31
	s_mov_b32 s14, s4
	s_mul_i32 s4, s11, s26
	s_mul_i32 s8, s8, s5
	s_lshl_b64 s[0:1], s[0:1], 2
	s_wait_alu 0xfffe
	s_lshl_b64 s[6:7], s[6:7], 2
	s_lshl_b64 s[10:11], s[12:13], 2
	s_lshl_b64 s[12:13], s[14:15], 2
	s_ashr_i32 s5, s4, 31
	s_ashr_i32 s9, s8, 31
	s_add_nc_u64 s[0:1], s[28:29], s[0:1]
	s_wait_alu 0xfffe
	s_add_nc_u64 s[2:3], s[2:3], s[6:7]
	s_lshl_b64 s[4:5], s[4:5], 2
	s_lshl_b64 s[6:7], s[8:9], 2
	s_add_nc_u64 s[0:1], s[0:1], s[10:11]
	s_wait_alu 0xfffe
	s_add_nc_u64 s[2:3], s[2:3], s[12:13]
	s_add_nc_u64 s[16:17], s[0:1], s[4:5]
	s_wait_alu 0xfffe
	s_add_nc_u64 s[18:19], s[2:3], s[6:7]
	s_branch .LBB27_80
.LBB27_79:                              ;   in Loop: Header=BB27_80 Depth=1
	s_wait_alu 0xfffe
	s_or_b32 exec_lo, exec_lo, s0
	v_add_nc_u32_e32 v0, s36, v0
	s_add_co_i32 s20, s20, -1
	s_wait_alu 0xfffe
	s_cmp_eq_u32 s20, 0
	s_cbranch_scc1 .LBB27_144
.LBB27_80:                              ; =>This Inner Loop Header: Depth=1
	v_cmp_gt_i32_e32 vcc_lo, s37, v0
	v_ashrrev_i32_e32 v1, 31, v0
	s_and_saveexec_b32 s1, vcc_lo
	s_cbranch_execz .LBB27_82
; %bb.81:                               ;   in Loop: Header=BB27_80 Depth=1
	s_delay_alu instid0(VALU_DEP_1) | instskip(NEXT) | instid1(VALU_DEP_1)
	v_lshlrev_b64_e32 v[18:19], 2, v[0:1]
	v_add_co_u32 v18, s0, s16, v18
	s_wait_alu 0xf1ff
	s_delay_alu instid0(VALU_DEP_2)
	v_add_co_ci_u32_e64 v19, null, s17, v19, s0
	s_wait_loadcnt 0x0
	global_load_b32 v2, v[18:19], off
.LBB27_82:                              ;   in Loop: Header=BB27_80 Depth=1
	s_wait_alu 0xfffe
	s_or_b32 exec_lo, exec_lo, s1
	v_add_nc_u32_e32 v18, s33, v0
	s_delay_alu instid0(VALU_DEP_1)
	v_cmp_gt_i32_e64 s0, s37, v18
	v_ashrrev_i32_e32 v19, 31, v18
	s_and_saveexec_b32 s2, s0
	s_cbranch_execz .LBB27_84
; %bb.83:                               ;   in Loop: Header=BB27_80 Depth=1
	s_delay_alu instid0(VALU_DEP_1) | instskip(NEXT) | instid1(VALU_DEP_1)
	v_lshlrev_b64_e32 v[20:21], 2, v[18:19]
	v_add_co_u32 v20, s1, s16, v20
	s_wait_alu 0xf1ff
	s_delay_alu instid0(VALU_DEP_2)
	v_add_co_ci_u32_e64 v21, null, s17, v21, s1
	s_wait_loadcnt 0x0
	global_load_b32 v3, v[20:21], off
.LBB27_84:                              ;   in Loop: Header=BB27_80 Depth=1
	s_wait_alu 0xfffe
	s_or_b32 exec_lo, exec_lo, s2
	v_add_nc_u32_e32 v22, s33, v18
	v_add_nc_u32_e32 v20, s21, v0
	s_delay_alu instid0(VALU_DEP_2) | instskip(NEXT) | instid1(VALU_DEP_2)
	v_cmp_gt_i32_e64 s1, s37, v22
	v_ashrrev_i32_e32 v21, 31, v20
	s_and_saveexec_b32 s3, s1
	s_cbranch_execz .LBB27_86
; %bb.85:                               ;   in Loop: Header=BB27_80 Depth=1
	s_delay_alu instid0(VALU_DEP_1) | instskip(NEXT) | instid1(VALU_DEP_1)
	v_lshlrev_b64_e32 v[23:24], 2, v[20:21]
	v_add_co_u32 v23, s2, s16, v23
	s_wait_alu 0xf1ff
	s_delay_alu instid0(VALU_DEP_2)
	v_add_co_ci_u32_e64 v24, null, s17, v24, s2
	s_wait_loadcnt 0x0
	global_load_b32 v4, v[23:24], off
.LBB27_86:                              ;   in Loop: Header=BB27_80 Depth=1
	s_wait_alu 0xfffe
	s_or_b32 exec_lo, exec_lo, s3
	v_add_nc_u32_e32 v24, s33, v22
	v_add_nc_u32_e32 v22, s27, v0
	s_delay_alu instid0(VALU_DEP_2) | instskip(NEXT) | instid1(VALU_DEP_2)
	;; [unrolled: 19-line block ×8, first 2 shown]
	v_cmp_gt_i32_e64 s8, s37, v36
	v_ashrrev_i32_e32 v35, 31, v34
	s_and_saveexec_b32 s10, s8
	s_cbranch_execz .LBB27_100
; %bb.99:                               ;   in Loop: Header=BB27_80 Depth=1
	s_delay_alu instid0(VALU_DEP_1) | instskip(NEXT) | instid1(VALU_DEP_1)
	v_lshlrev_b64_e32 v[37:38], 2, v[34:35]
	v_add_co_u32 v37, s9, s16, v37
	s_wait_alu 0xf1ff
	s_delay_alu instid0(VALU_DEP_2)
	v_add_co_ci_u32_e64 v38, null, s17, v38, s9
	s_wait_loadcnt 0x0
	global_load_b32 v11, v[37:38], off
.LBB27_100:                             ;   in Loop: Header=BB27_80 Depth=1
	s_wait_alu 0xfffe
	s_or_b32 exec_lo, exec_lo, s10
	v_add_nc_u32_e32 v38, s33, v36
	v_add_nc_u32_e32 v36, s42, v0
	s_delay_alu instid0(VALU_DEP_2) | instskip(NEXT) | instid1(VALU_DEP_2)
	v_cmp_gt_i32_e64 s9, s37, v38
	v_ashrrev_i32_e32 v37, 31, v36
	s_and_saveexec_b32 s11, s9
	s_cbranch_execz .LBB27_102
; %bb.101:                              ;   in Loop: Header=BB27_80 Depth=1
	s_delay_alu instid0(VALU_DEP_1) | instskip(NEXT) | instid1(VALU_DEP_1)
	v_lshlrev_b64_e32 v[39:40], 2, v[36:37]
	v_add_co_u32 v39, s10, s16, v39
	s_wait_alu 0xf1ff
	s_delay_alu instid0(VALU_DEP_2)
	v_add_co_ci_u32_e64 v40, null, s17, v40, s10
	s_wait_loadcnt 0x0
	global_load_b32 v12, v[39:40], off
.LBB27_102:                             ;   in Loop: Header=BB27_80 Depth=1
	s_wait_alu 0xfffe
	s_or_b32 exec_lo, exec_lo, s11
	v_add_nc_u32_e32 v40, s33, v38
	v_add_nc_u32_e32 v38, s43, v0
	s_delay_alu instid0(VALU_DEP_2) | instskip(NEXT) | instid1(VALU_DEP_2)
	v_cmp_gt_i32_e64 s10, s37, v40
	v_ashrrev_i32_e32 v39, 31, v38
	s_and_saveexec_b32 s12, s10
	s_cbranch_execz .LBB27_104
; %bb.103:                              ;   in Loop: Header=BB27_80 Depth=1
	s_delay_alu instid0(VALU_DEP_1) | instskip(NEXT) | instid1(VALU_DEP_1)
	v_lshlrev_b64_e32 v[41:42], 2, v[38:39]
	v_add_co_u32 v41, s11, s16, v41
	s_wait_alu 0xf1ff
	s_delay_alu instid0(VALU_DEP_2)
	v_add_co_ci_u32_e64 v42, null, s17, v42, s11
	s_wait_loadcnt 0x0
	global_load_b32 v13, v[41:42], off
.LBB27_104:                             ;   in Loop: Header=BB27_80 Depth=1
	;; [unrolled: 19-line block ×5, first 2 shown]
	s_wait_alu 0xfffe
	s_or_b32 exec_lo, exec_lo, s15
	v_add_nc_u32_e32 v47, s33, v46
	v_add_nc_u32_e32 v46, s47, v0
	s_delay_alu instid0(VALU_DEP_2) | instskip(NEXT) | instid1(VALU_DEP_2)
	v_cmp_gt_i32_e64 s14, s37, v47
	v_ashrrev_i32_e32 v47, 31, v46
	s_and_saveexec_b32 s24, s14
	s_cbranch_execnz .LBB27_127
; %bb.111:                              ;   in Loop: Header=BB27_80 Depth=1
	s_or_b32 exec_lo, exec_lo, s24
	s_and_saveexec_b32 s15, vcc_lo
	s_cbranch_execnz .LBB27_128
.LBB27_112:                             ;   in Loop: Header=BB27_80 Depth=1
	s_wait_alu 0xfffe
	s_or_b32 exec_lo, exec_lo, s15
	s_and_saveexec_b32 s15, s0
	s_cbranch_execnz .LBB27_129
.LBB27_113:                             ;   in Loop: Header=BB27_80 Depth=1
	s_wait_alu 0xfffe
	s_or_b32 exec_lo, exec_lo, s15
	s_and_saveexec_b32 s0, s1
	s_cbranch_execnz .LBB27_130
.LBB27_114:                             ;   in Loop: Header=BB27_80 Depth=1
	s_wait_alu 0xfffe
	s_or_b32 exec_lo, exec_lo, s0
	s_and_saveexec_b32 s0, s2
	s_cbranch_execnz .LBB27_131
.LBB27_115:                             ;   in Loop: Header=BB27_80 Depth=1
	s_wait_alu 0xfffe
	s_or_b32 exec_lo, exec_lo, s0
	s_and_saveexec_b32 s0, s3
	s_cbranch_execnz .LBB27_132
.LBB27_116:                             ;   in Loop: Header=BB27_80 Depth=1
	s_wait_alu 0xfffe
	s_or_b32 exec_lo, exec_lo, s0
	s_and_saveexec_b32 s0, s4
	s_cbranch_execnz .LBB27_133
.LBB27_117:                             ;   in Loop: Header=BB27_80 Depth=1
	s_wait_alu 0xfffe
	s_or_b32 exec_lo, exec_lo, s0
	s_and_saveexec_b32 s0, s5
	s_cbranch_execnz .LBB27_134
.LBB27_118:                             ;   in Loop: Header=BB27_80 Depth=1
	s_wait_alu 0xfffe
	s_or_b32 exec_lo, exec_lo, s0
	s_and_saveexec_b32 s0, s6
	s_cbranch_execnz .LBB27_135
.LBB27_119:                             ;   in Loop: Header=BB27_80 Depth=1
	s_wait_alu 0xfffe
	s_or_b32 exec_lo, exec_lo, s0
	s_and_saveexec_b32 s0, s7
	s_cbranch_execnz .LBB27_136
.LBB27_120:                             ;   in Loop: Header=BB27_80 Depth=1
	s_wait_alu 0xfffe
	s_or_b32 exec_lo, exec_lo, s0
	s_and_saveexec_b32 s0, s8
	s_cbranch_execnz .LBB27_137
.LBB27_121:                             ;   in Loop: Header=BB27_80 Depth=1
	s_wait_alu 0xfffe
	s_or_b32 exec_lo, exec_lo, s0
	s_and_saveexec_b32 s0, s9
	s_cbranch_execnz .LBB27_138
.LBB27_122:                             ;   in Loop: Header=BB27_80 Depth=1
	s_wait_alu 0xfffe
	s_or_b32 exec_lo, exec_lo, s0
	s_and_saveexec_b32 s0, s10
	s_cbranch_execnz .LBB27_139
.LBB27_123:                             ;   in Loop: Header=BB27_80 Depth=1
	s_wait_alu 0xfffe
	s_or_b32 exec_lo, exec_lo, s0
	s_and_saveexec_b32 s0, s11
	s_cbranch_execnz .LBB27_140
.LBB27_124:                             ;   in Loop: Header=BB27_80 Depth=1
	s_wait_alu 0xfffe
	s_or_b32 exec_lo, exec_lo, s0
	s_and_saveexec_b32 s0, s12
	s_cbranch_execnz .LBB27_141
.LBB27_125:                             ;   in Loop: Header=BB27_80 Depth=1
	s_wait_alu 0xfffe
	s_or_b32 exec_lo, exec_lo, s0
	s_and_saveexec_b32 s0, s13
	s_cbranch_execnz .LBB27_142
.LBB27_126:                             ;   in Loop: Header=BB27_80 Depth=1
	s_wait_alu 0xfffe
	s_or_b32 exec_lo, exec_lo, s0
	s_and_saveexec_b32 s0, s14
	s_cbranch_execz .LBB27_79
	s_branch .LBB27_143
.LBB27_127:                             ;   in Loop: Header=BB27_80 Depth=1
	s_delay_alu instid0(VALU_DEP_1) | instskip(NEXT) | instid1(VALU_DEP_1)
	v_lshlrev_b64_e32 v[48:49], 2, v[46:47]
	v_add_co_u32 v48, s15, s16, v48
	s_wait_alu 0xf1ff
	s_delay_alu instid0(VALU_DEP_2)
	v_add_co_ci_u32_e64 v49, null, s17, v49, s15
	s_wait_loadcnt 0x0
	global_load_b32 v17, v[48:49], off
	s_or_b32 exec_lo, exec_lo, s24
	s_and_saveexec_b32 s15, vcc_lo
	s_cbranch_execz .LBB27_112
.LBB27_128:                             ;   in Loop: Header=BB27_80 Depth=1
	v_lshlrev_b64_e32 v[48:49], 2, v[0:1]
	s_delay_alu instid0(VALU_DEP_1) | instskip(SKIP_1) | instid1(VALU_DEP_2)
	v_add_co_u32 v48, vcc_lo, s18, v48
	s_wait_alu 0xfffd
	v_add_co_ci_u32_e64 v49, null, s19, v49, vcc_lo
	s_wait_loadcnt 0x0
	global_store_b32 v[48:49], v2, off
	s_wait_alu 0xfffe
	s_or_b32 exec_lo, exec_lo, s15
	s_and_saveexec_b32 s15, s0
	s_cbranch_execz .LBB27_113
.LBB27_129:                             ;   in Loop: Header=BB27_80 Depth=1
	v_lshlrev_b64_e32 v[18:19], 2, v[18:19]
	s_delay_alu instid0(VALU_DEP_1) | instskip(SKIP_1) | instid1(VALU_DEP_2)
	v_add_co_u32 v18, vcc_lo, s18, v18
	s_wait_alu 0xfffd
	v_add_co_ci_u32_e64 v19, null, s19, v19, vcc_lo
	s_wait_loadcnt 0x0
	global_store_b32 v[18:19], v3, off
	s_wait_alu 0xfffe
	s_or_b32 exec_lo, exec_lo, s15
	s_and_saveexec_b32 s0, s1
	s_cbranch_execz .LBB27_114
.LBB27_130:                             ;   in Loop: Header=BB27_80 Depth=1
	v_lshlrev_b64_e32 v[18:19], 2, v[20:21]
	s_delay_alu instid0(VALU_DEP_1) | instskip(SKIP_1) | instid1(VALU_DEP_2)
	v_add_co_u32 v18, vcc_lo, s18, v18
	s_wait_alu 0xfffd
	v_add_co_ci_u32_e64 v19, null, s19, v19, vcc_lo
	s_wait_loadcnt 0x0
	global_store_b32 v[18:19], v4, off
	s_wait_alu 0xfffe
	s_or_b32 exec_lo, exec_lo, s0
	s_and_saveexec_b32 s0, s2
	s_cbranch_execz .LBB27_115
.LBB27_131:                             ;   in Loop: Header=BB27_80 Depth=1
	v_lshlrev_b64_e32 v[18:19], 2, v[22:23]
	s_delay_alu instid0(VALU_DEP_1) | instskip(SKIP_1) | instid1(VALU_DEP_2)
	v_add_co_u32 v18, vcc_lo, s18, v18
	s_wait_alu 0xfffd
	v_add_co_ci_u32_e64 v19, null, s19, v19, vcc_lo
	s_wait_loadcnt 0x0
	global_store_b32 v[18:19], v5, off
	s_wait_alu 0xfffe
	s_or_b32 exec_lo, exec_lo, s0
	s_and_saveexec_b32 s0, s3
	s_cbranch_execz .LBB27_116
.LBB27_132:                             ;   in Loop: Header=BB27_80 Depth=1
	v_lshlrev_b64_e32 v[18:19], 2, v[24:25]
	s_delay_alu instid0(VALU_DEP_1) | instskip(SKIP_1) | instid1(VALU_DEP_2)
	v_add_co_u32 v18, vcc_lo, s18, v18
	s_wait_alu 0xfffd
	v_add_co_ci_u32_e64 v19, null, s19, v19, vcc_lo
	s_wait_loadcnt 0x0
	global_store_b32 v[18:19], v6, off
	s_wait_alu 0xfffe
	s_or_b32 exec_lo, exec_lo, s0
	s_and_saveexec_b32 s0, s4
	s_cbranch_execz .LBB27_117
.LBB27_133:                             ;   in Loop: Header=BB27_80 Depth=1
	v_lshlrev_b64_e32 v[18:19], 2, v[26:27]
	s_delay_alu instid0(VALU_DEP_1) | instskip(SKIP_1) | instid1(VALU_DEP_2)
	v_add_co_u32 v18, vcc_lo, s18, v18
	s_wait_alu 0xfffd
	v_add_co_ci_u32_e64 v19, null, s19, v19, vcc_lo
	s_wait_loadcnt 0x0
	global_store_b32 v[18:19], v7, off
	s_wait_alu 0xfffe
	s_or_b32 exec_lo, exec_lo, s0
	s_and_saveexec_b32 s0, s5
	s_cbranch_execz .LBB27_118
.LBB27_134:                             ;   in Loop: Header=BB27_80 Depth=1
	v_lshlrev_b64_e32 v[18:19], 2, v[28:29]
	s_delay_alu instid0(VALU_DEP_1) | instskip(SKIP_1) | instid1(VALU_DEP_2)
	v_add_co_u32 v18, vcc_lo, s18, v18
	s_wait_alu 0xfffd
	v_add_co_ci_u32_e64 v19, null, s19, v19, vcc_lo
	s_wait_loadcnt 0x0
	global_store_b32 v[18:19], v8, off
	s_wait_alu 0xfffe
	s_or_b32 exec_lo, exec_lo, s0
	s_and_saveexec_b32 s0, s6
	s_cbranch_execz .LBB27_119
.LBB27_135:                             ;   in Loop: Header=BB27_80 Depth=1
	v_lshlrev_b64_e32 v[18:19], 2, v[30:31]
	s_delay_alu instid0(VALU_DEP_1) | instskip(SKIP_1) | instid1(VALU_DEP_2)
	v_add_co_u32 v18, vcc_lo, s18, v18
	s_wait_alu 0xfffd
	v_add_co_ci_u32_e64 v19, null, s19, v19, vcc_lo
	s_wait_loadcnt 0x0
	global_store_b32 v[18:19], v9, off
	s_wait_alu 0xfffe
	s_or_b32 exec_lo, exec_lo, s0
	s_and_saveexec_b32 s0, s7
	s_cbranch_execz .LBB27_120
.LBB27_136:                             ;   in Loop: Header=BB27_80 Depth=1
	v_lshlrev_b64_e32 v[18:19], 2, v[32:33]
	s_delay_alu instid0(VALU_DEP_1) | instskip(SKIP_1) | instid1(VALU_DEP_2)
	v_add_co_u32 v18, vcc_lo, s18, v18
	s_wait_alu 0xfffd
	v_add_co_ci_u32_e64 v19, null, s19, v19, vcc_lo
	s_wait_loadcnt 0x0
	global_store_b32 v[18:19], v10, off
	s_wait_alu 0xfffe
	s_or_b32 exec_lo, exec_lo, s0
	s_and_saveexec_b32 s0, s8
	s_cbranch_execz .LBB27_121
.LBB27_137:                             ;   in Loop: Header=BB27_80 Depth=1
	v_lshlrev_b64_e32 v[18:19], 2, v[34:35]
	s_delay_alu instid0(VALU_DEP_1) | instskip(SKIP_1) | instid1(VALU_DEP_2)
	v_add_co_u32 v18, vcc_lo, s18, v18
	s_wait_alu 0xfffd
	v_add_co_ci_u32_e64 v19, null, s19, v19, vcc_lo
	s_wait_loadcnt 0x0
	global_store_b32 v[18:19], v11, off
	s_wait_alu 0xfffe
	s_or_b32 exec_lo, exec_lo, s0
	s_and_saveexec_b32 s0, s9
	s_cbranch_execz .LBB27_122
.LBB27_138:                             ;   in Loop: Header=BB27_80 Depth=1
	v_lshlrev_b64_e32 v[18:19], 2, v[36:37]
	s_delay_alu instid0(VALU_DEP_1) | instskip(SKIP_1) | instid1(VALU_DEP_2)
	v_add_co_u32 v18, vcc_lo, s18, v18
	s_wait_alu 0xfffd
	v_add_co_ci_u32_e64 v19, null, s19, v19, vcc_lo
	s_wait_loadcnt 0x0
	global_store_b32 v[18:19], v12, off
	s_wait_alu 0xfffe
	s_or_b32 exec_lo, exec_lo, s0
	s_and_saveexec_b32 s0, s10
	s_cbranch_execz .LBB27_123
.LBB27_139:                             ;   in Loop: Header=BB27_80 Depth=1
	v_lshlrev_b64_e32 v[18:19], 2, v[38:39]
	s_delay_alu instid0(VALU_DEP_1) | instskip(SKIP_1) | instid1(VALU_DEP_2)
	v_add_co_u32 v18, vcc_lo, s18, v18
	s_wait_alu 0xfffd
	v_add_co_ci_u32_e64 v19, null, s19, v19, vcc_lo
	s_wait_loadcnt 0x0
	global_store_b32 v[18:19], v13, off
	s_wait_alu 0xfffe
	s_or_b32 exec_lo, exec_lo, s0
	s_and_saveexec_b32 s0, s11
	s_cbranch_execz .LBB27_124
.LBB27_140:                             ;   in Loop: Header=BB27_80 Depth=1
	v_lshlrev_b64_e32 v[18:19], 2, v[40:41]
	s_delay_alu instid0(VALU_DEP_1) | instskip(SKIP_1) | instid1(VALU_DEP_2)
	v_add_co_u32 v18, vcc_lo, s18, v18
	s_wait_alu 0xfffd
	v_add_co_ci_u32_e64 v19, null, s19, v19, vcc_lo
	s_wait_loadcnt 0x0
	global_store_b32 v[18:19], v14, off
	s_wait_alu 0xfffe
	s_or_b32 exec_lo, exec_lo, s0
	s_and_saveexec_b32 s0, s12
	s_cbranch_execz .LBB27_125
.LBB27_141:                             ;   in Loop: Header=BB27_80 Depth=1
	v_lshlrev_b64_e32 v[18:19], 2, v[42:43]
	s_delay_alu instid0(VALU_DEP_1) | instskip(SKIP_1) | instid1(VALU_DEP_2)
	v_add_co_u32 v18, vcc_lo, s18, v18
	s_wait_alu 0xfffd
	v_add_co_ci_u32_e64 v19, null, s19, v19, vcc_lo
	s_wait_loadcnt 0x0
	global_store_b32 v[18:19], v15, off
	s_wait_alu 0xfffe
	s_or_b32 exec_lo, exec_lo, s0
	s_and_saveexec_b32 s0, s13
	s_cbranch_execz .LBB27_126
.LBB27_142:                             ;   in Loop: Header=BB27_80 Depth=1
	v_lshlrev_b64_e32 v[18:19], 2, v[44:45]
	s_delay_alu instid0(VALU_DEP_1) | instskip(SKIP_1) | instid1(VALU_DEP_2)
	v_add_co_u32 v18, vcc_lo, s18, v18
	s_wait_alu 0xfffd
	v_add_co_ci_u32_e64 v19, null, s19, v19, vcc_lo
	s_wait_loadcnt 0x0
	global_store_b32 v[18:19], v16, off
	s_wait_alu 0xfffe
	s_or_b32 exec_lo, exec_lo, s0
	s_and_saveexec_b32 s0, s14
	s_cbranch_execz .LBB27_79
.LBB27_143:                             ;   in Loop: Header=BB27_80 Depth=1
	v_lshlrev_b64_e32 v[18:19], 2, v[46:47]
	s_delay_alu instid0(VALU_DEP_1) | instskip(SKIP_1) | instid1(VALU_DEP_2)
	v_add_co_u32 v18, vcc_lo, s18, v18
	s_wait_alu 0xfffd
	v_add_co_ci_u32_e64 v19, null, s19, v19, vcc_lo
	s_wait_loadcnt 0x0
	global_store_b32 v[18:19], v17, off
	s_branch .LBB27_79
.LBB27_144:
	s_endpgm
	.section	.rodata,"a",@progbits
	.p2align	6, 0x0
	.amdhsa_kernel _ZN9rocsolver6v33100L10stedc_sortIffPfS2_EEviPT0_lS4_lT1_iilT2_iil
		.amdhsa_group_segment_fixed_size 2048
		.amdhsa_private_segment_fixed_size 0
		.amdhsa_kernarg_size 344
		.amdhsa_user_sgpr_count 2
		.amdhsa_user_sgpr_dispatch_ptr 0
		.amdhsa_user_sgpr_queue_ptr 0
		.amdhsa_user_sgpr_kernarg_segment_ptr 1
		.amdhsa_user_sgpr_dispatch_id 0
		.amdhsa_user_sgpr_private_segment_size 0
		.amdhsa_wavefront_size32 1
		.amdhsa_uses_dynamic_stack 0
		.amdhsa_enable_private_segment 0
		.amdhsa_system_sgpr_workgroup_id_x 1
		.amdhsa_system_sgpr_workgroup_id_y 1
		.amdhsa_system_sgpr_workgroup_id_z 0
		.amdhsa_system_sgpr_workgroup_info 0
		.amdhsa_system_vgpr_workitem_id 0
		.amdhsa_next_free_vgpr 53
		.amdhsa_next_free_sgpr 55
		.amdhsa_reserve_vcc 1
		.amdhsa_float_round_mode_32 0
		.amdhsa_float_round_mode_16_64 0
		.amdhsa_float_denorm_mode_32 3
		.amdhsa_float_denorm_mode_16_64 3
		.amdhsa_fp16_overflow 0
		.amdhsa_workgroup_processor_mode 1
		.amdhsa_memory_ordered 1
		.amdhsa_forward_progress 1
		.amdhsa_inst_pref_size 54
		.amdhsa_round_robin_scheduling 0
		.amdhsa_exception_fp_ieee_invalid_op 0
		.amdhsa_exception_fp_denorm_src 0
		.amdhsa_exception_fp_ieee_div_zero 0
		.amdhsa_exception_fp_ieee_overflow 0
		.amdhsa_exception_fp_ieee_underflow 0
		.amdhsa_exception_fp_ieee_inexact 0
		.amdhsa_exception_int_div_zero 0
	.end_amdhsa_kernel
	.section	.text._ZN9rocsolver6v33100L10stedc_sortIffPfS2_EEviPT0_lS4_lT1_iilT2_iil,"axG",@progbits,_ZN9rocsolver6v33100L10stedc_sortIffPfS2_EEviPT0_lS4_lT1_iilT2_iil,comdat
.Lfunc_end27:
	.size	_ZN9rocsolver6v33100L10stedc_sortIffPfS2_EEviPT0_lS4_lT1_iilT2_iil, .Lfunc_end27-_ZN9rocsolver6v33100L10stedc_sortIffPfS2_EEviPT0_lS4_lT1_iilT2_iil
                                        ; -- End function
	.set _ZN9rocsolver6v33100L10stedc_sortIffPfS2_EEviPT0_lS4_lT1_iilT2_iil.num_vgpr, 53
	.set _ZN9rocsolver6v33100L10stedc_sortIffPfS2_EEviPT0_lS4_lT1_iilT2_iil.num_agpr, 0
	.set _ZN9rocsolver6v33100L10stedc_sortIffPfS2_EEviPT0_lS4_lT1_iilT2_iil.numbered_sgpr, 55
	.set _ZN9rocsolver6v33100L10stedc_sortIffPfS2_EEviPT0_lS4_lT1_iilT2_iil.num_named_barrier, 0
	.set _ZN9rocsolver6v33100L10stedc_sortIffPfS2_EEviPT0_lS4_lT1_iilT2_iil.private_seg_size, 0
	.set _ZN9rocsolver6v33100L10stedc_sortIffPfS2_EEviPT0_lS4_lT1_iilT2_iil.uses_vcc, 1
	.set _ZN9rocsolver6v33100L10stedc_sortIffPfS2_EEviPT0_lS4_lT1_iilT2_iil.uses_flat_scratch, 0
	.set _ZN9rocsolver6v33100L10stedc_sortIffPfS2_EEviPT0_lS4_lT1_iilT2_iil.has_dyn_sized_stack, 0
	.set _ZN9rocsolver6v33100L10stedc_sortIffPfS2_EEviPT0_lS4_lT1_iilT2_iil.has_recursion, 0
	.set _ZN9rocsolver6v33100L10stedc_sortIffPfS2_EEviPT0_lS4_lT1_iilT2_iil.has_indirect_call, 0
	.section	.AMDGPU.csdata,"",@progbits
; Kernel info:
; codeLenInByte = 6804
; TotalNumSgprs: 57
; NumVgprs: 53
; ScratchSize: 0
; MemoryBound: 0
; FloatMode: 240
; IeeeMode: 1
; LDSByteSize: 2048 bytes/workgroup (compile time only)
; SGPRBlocks: 0
; VGPRBlocks: 6
; NumSGPRsForWavesPerEU: 57
; NumVGPRsForWavesPerEU: 53
; Occupancy: 16
; WaveLimiterHint : 0
; COMPUTE_PGM_RSRC2:SCRATCH_EN: 0
; COMPUTE_PGM_RSRC2:USER_SGPR: 2
; COMPUTE_PGM_RSRC2:TRAP_HANDLER: 0
; COMPUTE_PGM_RSRC2:TGID_X_EN: 1
; COMPUTE_PGM_RSRC2:TGID_Y_EN: 1
; COMPUTE_PGM_RSRC2:TGID_Z_EN: 0
; COMPUTE_PGM_RSRC2:TIDIG_COMP_CNT: 0
	.section	.text._ZN9rocsolver6v33100L16reset_batch_infoIdiiPdEEvT2_lT0_T1_,"axG",@progbits,_ZN9rocsolver6v33100L16reset_batch_infoIdiiPdEEvT2_lT0_T1_,comdat
	.globl	_ZN9rocsolver6v33100L16reset_batch_infoIdiiPdEEvT2_lT0_T1_ ; -- Begin function _ZN9rocsolver6v33100L16reset_batch_infoIdiiPdEEvT2_lT0_T1_
	.p2align	8
	.type	_ZN9rocsolver6v33100L16reset_batch_infoIdiiPdEEvT2_lT0_T1_,@function
_ZN9rocsolver6v33100L16reset_batch_infoIdiiPdEEvT2_lT0_T1_: ; @_ZN9rocsolver6v33100L16reset_batch_infoIdiiPdEEvT2_lT0_T1_
; %bb.0:
	s_clause 0x1
	s_load_b32 s4, s[0:1], 0x24
	s_load_b64 s[2:3], s[0:1], 0x10
	s_wait_kmcnt 0x0
	s_and_b32 s4, s4, 0xffff
	s_delay_alu instid0(SALU_CYCLE_1) | instskip(NEXT) | instid1(VALU_DEP_1)
	v_mad_co_u64_u32 v[0:1], null, ttmp9, s4, v[0:1]
	v_cmp_gt_i32_e32 vcc_lo, s2, v0
	s_and_saveexec_b32 s2, vcc_lo
	s_cbranch_execz .LBB28_2
; %bb.1:
	v_cvt_f64_i32_e32 v[2:3], s3
	s_load_b128 s[0:3], s[0:1], 0x0
	v_ashrrev_i32_e32 v1, 31, v0
	s_mov_b32 s4, ttmp7
	s_ashr_i32 s5, ttmp7, 31
	s_delay_alu instid0(VALU_DEP_1)
	v_lshlrev_b64_e32 v[0:1], 3, v[0:1]
	s_wait_kmcnt 0x0
	s_wait_alu 0xfffe
	s_mul_u64 s[2:3], s[2:3], s[4:5]
	s_wait_alu 0xfffe
	s_lshl_b64 s[2:3], s[2:3], 3
	s_wait_alu 0xfffe
	s_add_nc_u64 s[0:1], s[0:1], s[2:3]
	s_wait_alu 0xfffe
	v_add_co_u32 v0, vcc_lo, s0, v0
	s_delay_alu instid0(VALU_DEP_1)
	v_add_co_ci_u32_e64 v1, null, s1, v1, vcc_lo
	global_store_b64 v[0:1], v[2:3], off
.LBB28_2:
	s_endpgm
	.section	.rodata,"a",@progbits
	.p2align	6, 0x0
	.amdhsa_kernel _ZN9rocsolver6v33100L16reset_batch_infoIdiiPdEEvT2_lT0_T1_
		.amdhsa_group_segment_fixed_size 0
		.amdhsa_private_segment_fixed_size 0
		.amdhsa_kernarg_size 280
		.amdhsa_user_sgpr_count 2
		.amdhsa_user_sgpr_dispatch_ptr 0
		.amdhsa_user_sgpr_queue_ptr 0
		.amdhsa_user_sgpr_kernarg_segment_ptr 1
		.amdhsa_user_sgpr_dispatch_id 0
		.amdhsa_user_sgpr_private_segment_size 0
		.amdhsa_wavefront_size32 1
		.amdhsa_uses_dynamic_stack 0
		.amdhsa_enable_private_segment 0
		.amdhsa_system_sgpr_workgroup_id_x 1
		.amdhsa_system_sgpr_workgroup_id_y 1
		.amdhsa_system_sgpr_workgroup_id_z 0
		.amdhsa_system_sgpr_workgroup_info 0
		.amdhsa_system_vgpr_workitem_id 0
		.amdhsa_next_free_vgpr 4
		.amdhsa_next_free_sgpr 6
		.amdhsa_reserve_vcc 1
		.amdhsa_float_round_mode_32 0
		.amdhsa_float_round_mode_16_64 0
		.amdhsa_float_denorm_mode_32 3
		.amdhsa_float_denorm_mode_16_64 3
		.amdhsa_fp16_overflow 0
		.amdhsa_workgroup_processor_mode 1
		.amdhsa_memory_ordered 1
		.amdhsa_forward_progress 1
		.amdhsa_inst_pref_size 2
		.amdhsa_round_robin_scheduling 0
		.amdhsa_exception_fp_ieee_invalid_op 0
		.amdhsa_exception_fp_denorm_src 0
		.amdhsa_exception_fp_ieee_div_zero 0
		.amdhsa_exception_fp_ieee_overflow 0
		.amdhsa_exception_fp_ieee_underflow 0
		.amdhsa_exception_fp_ieee_inexact 0
		.amdhsa_exception_int_div_zero 0
	.end_amdhsa_kernel
	.section	.text._ZN9rocsolver6v33100L16reset_batch_infoIdiiPdEEvT2_lT0_T1_,"axG",@progbits,_ZN9rocsolver6v33100L16reset_batch_infoIdiiPdEEvT2_lT0_T1_,comdat
.Lfunc_end28:
	.size	_ZN9rocsolver6v33100L16reset_batch_infoIdiiPdEEvT2_lT0_T1_, .Lfunc_end28-_ZN9rocsolver6v33100L16reset_batch_infoIdiiPdEEvT2_lT0_T1_
                                        ; -- End function
	.set _ZN9rocsolver6v33100L16reset_batch_infoIdiiPdEEvT2_lT0_T1_.num_vgpr, 4
	.set _ZN9rocsolver6v33100L16reset_batch_infoIdiiPdEEvT2_lT0_T1_.num_agpr, 0
	.set _ZN9rocsolver6v33100L16reset_batch_infoIdiiPdEEvT2_lT0_T1_.numbered_sgpr, 6
	.set _ZN9rocsolver6v33100L16reset_batch_infoIdiiPdEEvT2_lT0_T1_.num_named_barrier, 0
	.set _ZN9rocsolver6v33100L16reset_batch_infoIdiiPdEEvT2_lT0_T1_.private_seg_size, 0
	.set _ZN9rocsolver6v33100L16reset_batch_infoIdiiPdEEvT2_lT0_T1_.uses_vcc, 1
	.set _ZN9rocsolver6v33100L16reset_batch_infoIdiiPdEEvT2_lT0_T1_.uses_flat_scratch, 0
	.set _ZN9rocsolver6v33100L16reset_batch_infoIdiiPdEEvT2_lT0_T1_.has_dyn_sized_stack, 0
	.set _ZN9rocsolver6v33100L16reset_batch_infoIdiiPdEEvT2_lT0_T1_.has_recursion, 0
	.set _ZN9rocsolver6v33100L16reset_batch_infoIdiiPdEEvT2_lT0_T1_.has_indirect_call, 0
	.section	.AMDGPU.csdata,"",@progbits
; Kernel info:
; codeLenInByte = 156
; TotalNumSgprs: 8
; NumVgprs: 4
; ScratchSize: 0
; MemoryBound: 0
; FloatMode: 240
; IeeeMode: 1
; LDSByteSize: 0 bytes/workgroup (compile time only)
; SGPRBlocks: 0
; VGPRBlocks: 0
; NumSGPRsForWavesPerEU: 8
; NumVGPRsForWavesPerEU: 4
; Occupancy: 16
; WaveLimiterHint : 0
; COMPUTE_PGM_RSRC2:SCRATCH_EN: 0
; COMPUTE_PGM_RSRC2:USER_SGPR: 2
; COMPUTE_PGM_RSRC2:TRAP_HANDLER: 0
; COMPUTE_PGM_RSRC2:TGID_X_EN: 1
; COMPUTE_PGM_RSRC2:TGID_Y_EN: 1
; COMPUTE_PGM_RSRC2:TGID_Z_EN: 0
; COMPUTE_PGM_RSRC2:TIDIG_COMP_CNT: 0
	.section	.text._ZN9rocsolver6v33100L12sterf_kernelIdEEviPT_lS3_lPiS4_iS2_S2_S2_,"axG",@progbits,_ZN9rocsolver6v33100L12sterf_kernelIdEEviPT_lS3_lPiS4_iS2_S2_S2_,comdat
	.globl	_ZN9rocsolver6v33100L12sterf_kernelIdEEviPT_lS3_lPiS4_iS2_S2_S2_ ; -- Begin function _ZN9rocsolver6v33100L12sterf_kernelIdEEviPT_lS3_lPiS4_iS2_S2_S2_
	.p2align	8
	.type	_ZN9rocsolver6v33100L12sterf_kernelIdEEviPT_lS3_lPiS4_iS2_S2_S2_,@function
_ZN9rocsolver6v33100L12sterf_kernelIdEEviPT_lS3_lPiS4_iS2_S2_S2_: ; @_ZN9rocsolver6v33100L12sterf_kernelIdEEviPT_lS3_lPiS4_iS2_S2_S2_
; %bb.0:
	s_clause 0x2
	s_load_b256 s[4:11], s[0:1], 0x8
	s_load_b32 s33, s[0:1], 0x0
	s_load_b32 s56, s[0:1], 0x38
	s_mov_b32 s16, ttmp9
	s_ashr_i32 s17, ttmp9, 31
	s_wait_kmcnt 0x0
	s_mul_u64 s[2:3], s[6:7], s[16:17]
	s_mul_u64 s[6:7], s[10:11], s[16:17]
	s_min_i32 s12, s33, s56
	s_lshl_b64 s[10:11], s[2:3], 3
	s_lshl_b64 s[2:3], s[6:7], 3
	s_cmp_lt_i32 s12, 1
	s_add_nc_u64 s[6:7], s[4:5], s[10:11]
	s_add_nc_u64 s[10:11], s[8:9], s[2:3]
	s_cbranch_scc1 .LBB29_147
; %bb.1:
	s_clause 0x1
	s_load_b128 s[12:15], s[0:1], 0x40
	s_load_b64 s[18:19], s[0:1], 0x50
	v_mov_b32_e32 v2, 0
	s_add_nc_u64 s[8:9], s[8:9], s[2:3]
	s_mov_b32 s26, 0x667f3bcd
	s_add_co_i32 s57, s33, -1
	s_add_nc_u64 s[20:21], s[8:9], -8
	s_add_nc_u64 s[22:23], s[6:7], 8
	s_add_nc_u64 s[24:25], s[8:9], 8
	s_mov_b32 s58, 0
	s_mov_b32 s27, 0x3ff6a09e
	;; [unrolled: 1-line block ×4, first 2 shown]
	s_wait_kmcnt 0x0
	v_mul_f64_e64 v[0:1], s[12:13], s[12:13]
	s_branch .LBB29_3
.LBB29_2:                               ;   in Loop: Header=BB29_3 Depth=1
	s_wait_alu 0xfffe
	s_and_not1_b32 vcc_lo, exec_lo, s2
	s_wait_alu 0xfffe
	s_cbranch_vccz .LBB29_20
.LBB29_3:                               ; =>This Loop Header: Depth=1
                                        ;     Child Loop BB29_7 Depth 2
                                        ;     Child Loop BB29_14 Depth 2
	;; [unrolled: 1-line block ×6, first 2 shown]
                                        ;       Child Loop BB29_56 Depth 3
                                        ;       Child Loop BB29_69 Depth 3
                                        ;     Child Loop BB29_101 Depth 2
                                        ;       Child Loop BB29_103 Depth 3
                                        ;       Child Loop BB29_116 Depth 3
                                        ;     Child Loop BB29_46 Depth 2
                                        ;     Child Loop BB29_50 Depth 2
	s_mov_b32 s28, s29
	s_cmp_lt_i32 s29, 1
	s_cbranch_scc1 .LBB29_5
; %bb.4:                                ;   in Loop: Header=BB29_3 Depth=1
	s_mov_b32 s29, s58
	v_mov_b32_e32 v3, v2
	s_lshl_b64 s[2:3], s[28:29], 3
	s_wait_alu 0xfffe
	s_add_nc_u64 s[2:3], s[10:11], s[2:3]
	global_store_b64 v2, v[2:3], s[2:3] offset:-8
.LBB29_5:                               ;   in Loop: Header=BB29_3 Depth=1
	s_ashr_i32 s29, s28, 31
	s_mov_b32 s30, s28
	s_lshl_b64 s[34:35], s[28:29], 3
	s_delay_alu instid0(SALU_CYCLE_1)
	s_add_nc_u64 s[4:5], s[20:21], s[34:35]
	s_add_nc_u64 s[36:37], s[22:23], s[34:35]
	s_mov_b32 s2, -1
	s_wait_alu 0xfffe
	s_cmp_ge_i32 s30, s57
	s_mov_b32 s3, -1
                                        ; implicit-def: $sgpr29
	s_cbranch_scc1 .LBB29_7
.LBB29_6:                               ;   in Loop: Header=BB29_3 Depth=1
	s_wait_loadcnt 0x0
	s_clause 0x1
	global_load_b128 v[3:6], v2, s[36:37] offset:-8
	global_load_b64 v[19:20], v2, s[4:5] offset:8
	s_add_nc_u64 s[4:5], s[4:5], 8
	s_add_nc_u64 s[36:37], s[36:37], 8
	s_wait_loadcnt 0x1
	v_cmp_gt_f64_e64 s2, 0x10000000, |v[3:4]|
	v_cmp_gt_f64_e64 s3, 0x10000000, |v[5:6]|
	s_and_b32 s2, s2, exec_lo
	s_cselect_b32 s2, 0x100, 0
	s_cselect_b32 s31, 0xffffff80, 0
	s_add_co_i32 s29, s30, 1
	s_wait_alu 0xfffe
	s_and_b32 s3, s3, exec_lo
	v_ldexp_f64 v[3:4], |v[3:4]|, s2
	s_cselect_b32 s2, 0x100, 0
	s_wait_alu 0xfffe
	v_ldexp_f64 v[5:6], |v[5:6]|, s2
	s_cselect_b32 s2, 0xffffff80, 0
	s_delay_alu instid0(VALU_DEP_2) | instskip(SKIP_1) | instid1(VALU_DEP_2)
	v_rsq_f64_e32 v[7:8], v[3:4]
	v_cmp_class_f64_e64 vcc_lo, v[3:4], 0x260
	v_rsq_f64_e32 v[9:10], v[5:6]
	s_delay_alu instid0(TRANS32_DEP_2) | instskip(SKIP_1) | instid1(TRANS32_DEP_1)
	v_mul_f64_e32 v[11:12], v[3:4], v[7:8]
	v_mul_f64_e32 v[7:8], 0.5, v[7:8]
	v_mul_f64_e32 v[13:14], v[5:6], v[9:10]
	v_mul_f64_e32 v[9:10], 0.5, v[9:10]
	s_delay_alu instid0(VALU_DEP_3) | instskip(NEXT) | instid1(VALU_DEP_2)
	v_fma_f64 v[15:16], -v[7:8], v[11:12], 0.5
	v_fma_f64 v[17:18], -v[9:10], v[13:14], 0.5
	s_delay_alu instid0(VALU_DEP_2) | instskip(SKIP_1) | instid1(VALU_DEP_3)
	v_fma_f64 v[11:12], v[11:12], v[15:16], v[11:12]
	v_fma_f64 v[7:8], v[7:8], v[15:16], v[7:8]
	;; [unrolled: 1-line block ×4, first 2 shown]
	s_delay_alu instid0(VALU_DEP_4) | instskip(NEXT) | instid1(VALU_DEP_3)
	v_fma_f64 v[15:16], -v[11:12], v[11:12], v[3:4]
	v_fma_f64 v[17:18], -v[13:14], v[13:14], v[5:6]
	s_delay_alu instid0(VALU_DEP_2) | instskip(NEXT) | instid1(VALU_DEP_2)
	v_fma_f64 v[11:12], v[15:16], v[7:8], v[11:12]
	v_fma_f64 v[13:14], v[17:18], v[9:10], v[13:14]
	s_delay_alu instid0(VALU_DEP_2) | instskip(NEXT) | instid1(VALU_DEP_2)
	v_fma_f64 v[15:16], -v[11:12], v[11:12], v[3:4]
	v_fma_f64 v[17:18], -v[13:14], v[13:14], v[5:6]
	s_delay_alu instid0(VALU_DEP_2) | instskip(NEXT) | instid1(VALU_DEP_2)
	v_fma_f64 v[7:8], v[15:16], v[7:8], v[11:12]
	v_fma_f64 v[9:10], v[17:18], v[9:10], v[13:14]
	s_delay_alu instid0(VALU_DEP_2) | instskip(SKIP_1) | instid1(VALU_DEP_2)
	v_ldexp_f64 v[7:8], v[7:8], s31
	s_wait_alu 0xfffe
	v_ldexp_f64 v[9:10], v[9:10], s2
	v_cmp_class_f64_e64 s2, v[5:6], 0x260
	s_wait_alu 0xfffd
	s_delay_alu instid0(VALU_DEP_3) | instskip(SKIP_1) | instid1(VALU_DEP_2)
	v_dual_cndmask_b32 v4, v8, v4 :: v_dual_cndmask_b32 v3, v7, v3
	s_wait_alu 0xf1ff
	v_cndmask_b32_e64 v6, v10, v6, s2
	s_delay_alu instid0(VALU_DEP_4) | instskip(SKIP_1) | instid1(VALU_DEP_1)
	v_cndmask_b32_e64 v5, v9, v5, s2
	s_mov_b32 s2, 0
	v_mul_f64_e32 v[3:4], v[3:4], v[5:6]
	s_delay_alu instid0(VALU_DEP_1) | instskip(SKIP_1) | instid1(VALU_DEP_1)
	v_mul_f64_e32 v[3:4], s[12:13], v[3:4]
	s_wait_loadcnt 0x0
	v_cmp_le_f64_e64 s3, |v[19:20]|, v[3:4]
.LBB29_7:                               ;   Parent Loop BB29_3 Depth=1
                                        ; =>  This Inner Loop Header: Depth=2
	s_wait_alu 0xfffe
	s_delay_alu instid0(VALU_DEP_1)
	s_and_not1_b32 vcc_lo, exec_lo, s3
	s_wait_alu 0xfffe
	s_cbranch_vccz .LBB29_9
; %bb.8:                                ;   in Loop: Header=BB29_7 Depth=2
	s_mov_b32 s30, s29
	s_mov_b32 s2, -1
	s_wait_alu 0xfffe
	s_cmp_ge_i32 s30, s57
	s_mov_b32 s3, -1
                                        ; implicit-def: $sgpr29
	s_cbranch_scc0 .LBB29_6
	s_branch .LBB29_7
.LBB29_9:                               ;   in Loop: Header=BB29_3 Depth=1
	s_and_not1_b32 vcc_lo, exec_lo, s2
	s_mov_b32 s2, -1
	s_wait_alu 0xfffe
	s_cbranch_vccnz .LBB29_16
; %bb.10:                               ;   in Loop: Header=BB29_3 Depth=1
	s_and_not1_b32 vcc_lo, exec_lo, s2
	s_wait_alu 0xfffe
	s_cbranch_vccz .LBB29_17
.LBB29_11:                              ;   in Loop: Header=BB29_3 Depth=1
	s_cmp_lg_u32 s30, s28
	s_mov_b32 s38, -1
	s_cbranch_scc0 .LBB29_18
.LBB29_12:                              ;   in Loop: Header=BB29_3 Depth=1
	s_ashr_i32 s31, s30, 31
	s_wait_alu 0xfffe
	s_lshl_b64 s[2:3], s[30:31], 3
	s_cmp_lt_i32 s28, s30
	s_wait_alu 0xfffe
	s_add_nc_u64 s[36:37], s[6:7], s[2:3]
	s_cselect_b32 s31, -1, 0
	s_wait_loadcnt 0x0
	global_load_b64 v[6:7], v2, s[36:37]
	s_cmp_ge_i32 s28, s30
	s_wait_loadcnt 0x0
	v_dual_mov_b32 v4, v6 :: v_dual_and_b32 v5, 0x7fffffff, v7
	s_cbranch_scc1 .LBB29_15
; %bb.13:                               ;   in Loop: Header=BB29_3 Depth=1
	s_add_nc_u64 s[2:3], s[6:7], s[34:35]
	s_add_nc_u64 s[4:5], s[8:9], s[34:35]
	s_mov_b32 s39, s28
.LBB29_14:                              ;   Parent Loop BB29_3 Depth=1
                                        ; =>  This Inner Loop Header: Depth=2
	s_clause 0x1
	global_load_b64 v[8:9], v2, s[4:5]
	global_load_b64 v[10:11], v2, s[2:3]
	v_max_num_f64_e32 v[3:4], v[4:5], v[4:5]
	s_add_co_i32 s39, s39, 1
	s_wait_alu 0xfffe
	s_add_nc_u64 s[2:3], s[2:3], 8
	s_cmp_lt_i32 s39, s30
	s_add_nc_u64 s[4:5], s[4:5], 8
	s_wait_loadcnt 0x1
	v_max_num_f64_e64 v[8:9], |v[8:9]|, |v[8:9]|
	s_wait_loadcnt 0x0
	v_max_num_f64_e64 v[10:11], |v[10:11]|, |v[10:11]|
	s_delay_alu instid0(VALU_DEP_1) | instskip(NEXT) | instid1(VALU_DEP_1)
	v_max_num_f64_e32 v[8:9], v[10:11], v[8:9]
	v_max_num_f64_e32 v[4:5], v[3:4], v[8:9]
	s_cbranch_scc1 .LBB29_14
.LBB29_15:                              ;   in Loop: Header=BB29_3 Depth=1
	s_delay_alu instid0(VALU_DEP_1)
	v_cmp_eq_f64_e64 s2, 0, v[4:5]
	s_wait_alu 0xfffe
	s_and_b32 vcc_lo, exec_lo, s2
	s_mov_b32 s2, -1
	s_wait_alu 0xfffe
	s_cbranch_vccz .LBB29_2
	s_branch .LBB29_19
.LBB29_16:                              ;   in Loop: Header=BB29_3 Depth=1
	v_mov_b32_e32 v3, v2
	global_store_b64 v2, v[2:3], s[4:5]
	s_cbranch_execnz .LBB29_11
.LBB29_17:                              ;   in Loop: Header=BB29_3 Depth=1
	s_max_i32 s30, s28, s57
	s_wait_alu 0xfffe
	s_add_co_i32 s29, s30, 1
	s_cmp_lg_u32 s30, s28
	s_mov_b32 s38, -1
	s_cbranch_scc1 .LBB29_12
.LBB29_18:                              ;   in Loop: Header=BB29_3 Depth=1
                                        ; implicit-def: $sgpr36_sgpr37
                                        ; implicit-def: $vgpr6_vgpr7
                                        ; implicit-def: $sgpr31
                                        ; implicit-def: $vgpr4_vgpr5
	s_mov_b32 s2, -1
	s_cbranch_execz .LBB29_2
.LBB29_19:                              ;   in Loop: Header=BB29_3 Depth=1
	s_cmp_ge_i32 s29, s33
	s_mov_b32 s38, 0
	s_cselect_b32 s2, -1, 0
	s_branch .LBB29_2
.LBB29_20:                              ;   in Loop: Header=BB29_3 Depth=1
	s_and_b32 vcc_lo, exec_lo, s38
	s_mov_b32 s2, -1
                                        ; implicit-def: $sgpr60
	s_wait_alu 0xfffe
	s_cbranch_vccz .LBB29_52
; %bb.21:                               ;   in Loop: Header=BB29_3 Depth=1
	v_cmp_nlt_f64_e32 vcc_lo, s[18:19], v[4:5]
	s_add_nc_u64 s[38:39], s[6:7], s[34:35]
	s_cbranch_vccz .LBB29_27
; %bb.22:                               ;   in Loop: Header=BB29_3 Depth=1
	v_cmp_gt_f64_e32 vcc_lo, s[14:15], v[4:5]
	s_cbranch_vccz .LBB29_28
; %bb.23:                               ;   in Loop: Header=BB29_3 Depth=1
	v_div_scale_f64 v[8:9], null, s[14:15], s[14:15], v[4:5]
	v_div_scale_f64 v[14:15], vcc_lo, v[4:5], s[14:15], v[4:5]
	s_mov_b32 s2, 0
	v_rcp_f64_e32 v[10:11], v[8:9]
	s_delay_alu instid0(TRANS32_DEP_1) | instskip(NEXT) | instid1(VALU_DEP_1)
	v_fma_f64 v[12:13], -v[8:9], v[10:11], 1.0
	v_fma_f64 v[10:11], v[10:11], v[12:13], v[10:11]
	s_delay_alu instid0(VALU_DEP_1) | instskip(NEXT) | instid1(VALU_DEP_1)
	v_fma_f64 v[12:13], -v[8:9], v[10:11], 1.0
	v_fma_f64 v[10:11], v[10:11], v[12:13], v[10:11]
	s_delay_alu instid0(VALU_DEP_1) | instskip(NEXT) | instid1(VALU_DEP_1)
	v_mul_f64_e32 v[12:13], v[14:15], v[10:11]
	v_fma_f64 v[8:9], -v[8:9], v[12:13], v[14:15]
	s_wait_alu 0xfffd
	s_delay_alu instid0(VALU_DEP_1) | instskip(SKIP_1) | instid1(VALU_DEP_1)
	v_div_fmas_f64 v[8:9], v[8:9], v[10:11], v[12:13]
	s_and_b32 vcc_lo, exec_lo, s31
	v_div_fixup_f64 v[8:9], v[8:9], s[14:15], v[4:5]
	s_wait_loadcnt 0x0
	s_delay_alu instid0(VALU_DEP_1)
	v_mul_f64_e32 v[10:11], v[6:7], v[8:9]
	global_store_b64 v2, v[10:11], s[36:37]
	s_wait_alu 0xfffe
	s_cbranch_vccz .LBB29_28
; %bb.24:                               ;   in Loop: Header=BB29_3 Depth=1
	s_add_nc_u64 s[2:3], s[6:7], s[34:35]
	s_add_nc_u64 s[4:5], s[8:9], s[34:35]
	s_mov_b32 s40, s28
.LBB29_25:                              ;   Parent Loop BB29_3 Depth=1
                                        ; =>  This Inner Loop Header: Depth=2
	global_load_b64 v[10:11], v2, s[2:3]
	s_add_co_i32 s40, s40, 1
	s_delay_alu instid0(SALU_CYCLE_1)
	s_cmp_lt_i32 s40, s30
	s_wait_loadcnt 0x0
	v_mul_f64_e32 v[10:11], v[8:9], v[10:11]
	global_store_b64 v2, v[10:11], s[2:3]
	global_load_b64 v[10:11], v2, s[4:5]
	s_wait_alu 0xfffe
	s_add_nc_u64 s[2:3], s[2:3], 8
	s_wait_loadcnt 0x0
	v_mul_f64_e32 v[10:11], v[8:9], v[10:11]
	global_store_b64 v2, v[10:11], s[4:5]
	s_add_nc_u64 s[4:5], s[4:5], 8
	s_cbranch_scc1 .LBB29_25
; %bb.26:                               ;   in Loop: Header=BB29_3 Depth=1
	s_mov_b32 s2, -1
	s_branch .LBB29_33
.LBB29_27:                              ;   in Loop: Header=BB29_3 Depth=1
	s_mov_b32 s2, 0
	s_cbranch_execnz .LBB29_29
	s_branch .LBB29_33
.LBB29_28:                              ;   in Loop: Header=BB29_3 Depth=1
	s_branch .LBB29_33
.LBB29_29:                              ;   in Loop: Header=BB29_3 Depth=1
	v_div_scale_f64 v[8:9], null, s[18:19], s[18:19], v[4:5]
	v_div_scale_f64 v[14:15], vcc_lo, v[4:5], s[18:19], v[4:5]
	s_delay_alu instid0(VALU_DEP_2) | instskip(NEXT) | instid1(TRANS32_DEP_1)
	v_rcp_f64_e32 v[10:11], v[8:9]
	v_fma_f64 v[12:13], -v[8:9], v[10:11], 1.0
	s_delay_alu instid0(VALU_DEP_1) | instskip(NEXT) | instid1(VALU_DEP_1)
	v_fma_f64 v[10:11], v[10:11], v[12:13], v[10:11]
	v_fma_f64 v[12:13], -v[8:9], v[10:11], 1.0
	s_delay_alu instid0(VALU_DEP_1) | instskip(NEXT) | instid1(VALU_DEP_1)
	v_fma_f64 v[10:11], v[10:11], v[12:13], v[10:11]
	v_mul_f64_e32 v[12:13], v[14:15], v[10:11]
	s_delay_alu instid0(VALU_DEP_1) | instskip(SKIP_1) | instid1(VALU_DEP_1)
	v_fma_f64 v[8:9], -v[8:9], v[12:13], v[14:15]
	s_wait_alu 0xfffd
	v_div_fmas_f64 v[8:9], v[8:9], v[10:11], v[12:13]
	s_and_b32 vcc_lo, exec_lo, s31
	s_delay_alu instid0(VALU_DEP_1) | instskip(SKIP_1) | instid1(VALU_DEP_1)
	v_div_fixup_f64 v[8:9], v[8:9], s[18:19], v[4:5]
	s_wait_loadcnt 0x0
	v_mul_f64_e32 v[6:7], v[6:7], v[8:9]
	global_store_b64 v2, v[6:7], s[36:37]
	s_wait_alu 0xfffe
	s_cbranch_vccz .LBB29_33
; %bb.30:                               ;   in Loop: Header=BB29_3 Depth=1
	s_add_nc_u64 s[2:3], s[6:7], s[34:35]
	s_add_nc_u64 s[4:5], s[8:9], s[34:35]
	s_mov_b32 s40, s28
.LBB29_31:                              ;   Parent Loop BB29_3 Depth=1
                                        ; =>  This Inner Loop Header: Depth=2
	global_load_b64 v[6:7], v2, s[2:3]
	s_add_co_i32 s40, s40, 1
	s_delay_alu instid0(SALU_CYCLE_1)
	s_cmp_ge_i32 s40, s30
	s_wait_loadcnt 0x0
	v_mul_f64_e32 v[6:7], v[8:9], v[6:7]
	global_store_b64 v2, v[6:7], s[2:3]
	global_load_b64 v[6:7], v2, s[4:5]
	s_wait_alu 0xfffe
	s_add_nc_u64 s[2:3], s[2:3], 8
	s_wait_loadcnt 0x0
	v_mul_f64_e32 v[6:7], v[8:9], v[6:7]
	global_store_b64 v2, v[6:7], s[4:5]
	s_add_nc_u64 s[4:5], s[4:5], 8
	s_cbranch_scc0 .LBB29_31
; %bb.32:                               ;   in Loop: Header=BB29_3 Depth=1
	s_mov_b32 s2, -1
.LBB29_33:                              ;   in Loop: Header=BB29_3 Depth=1
	v_cndmask_b32_e64 v3, 0, 1, s31
	s_wait_alu 0xfffe
	s_and_b32 vcc_lo, exec_lo, s2
	s_delay_alu instid0(VALU_DEP_1)
	v_cmp_ne_u32_e64 s2, 1, v3
	s_wait_alu 0xfffe
	s_cbranch_vccz .LBB29_37
; %bb.34:                               ;   in Loop: Header=BB29_3 Depth=1
	s_and_b32 vcc_lo, exec_lo, s2
	s_wait_alu 0xfffe
	s_cbranch_vccnz .LBB29_37
; %bb.35:                               ;   in Loop: Header=BB29_3 Depth=1
	s_add_nc_u64 s[4:5], s[8:9], s[34:35]
	s_mov_b32 s3, s28
.LBB29_36:                              ;   Parent Loop BB29_3 Depth=1
                                        ; =>  This Inner Loop Header: Depth=2
	s_wait_loadcnt 0x0
	global_load_b64 v[6:7], v2, s[4:5]
	s_wait_alu 0xfffe
	s_add_co_i32 s3, s3, 1
	s_wait_alu 0xfffe
	s_cmp_lt_i32 s3, s30
	s_wait_loadcnt 0x0
	v_mul_f64_e32 v[6:7], v[6:7], v[6:7]
	global_store_b64 v2, v[6:7], s[4:5]
	s_add_nc_u64 s[4:5], s[4:5], 8
	s_cbranch_scc1 .LBB29_36
.LBB29_37:                              ;   in Loop: Header=BB29_3 Depth=1
	s_wait_loadcnt 0x0
	s_clause 0x1
	global_load_b64 v[6:7], v2, s[36:37]
	global_load_b64 v[8:9], v2, s[38:39]
	s_mov_b32 s4, -1
                                        ; implicit-def: $sgpr60
	s_wait_loadcnt 0x0
	v_cmp_lt_f64_e64 s3, |v[6:7]|, |v[8:9]|
	s_and_b32 s3, s3, exec_lo
	s_cselect_b32 s31, s28, s30
	s_cselect_b32 s40, s30, s28
	s_cmp_lt_i32 s59, s56
	s_cselect_b32 s3, -1, 0
	s_wait_alu 0xfffe
	s_cmp_lt_i32 s31, s40
	v_cndmask_b32_e64 v3, 0, 1, s3
	s_delay_alu instid0(VALU_DEP_1)
	v_cmp_ne_u32_e64 s3, 1, v3
	s_cbranch_scc0 .LBB29_40
; %bb.38:                               ;   in Loop: Header=BB29_3 Depth=1
	s_and_not1_b32 vcc_lo, exec_lo, s4
	s_wait_alu 0xfffe
	s_cbranch_vccz .LBB29_42
.LBB29_39:                              ;   in Loop: Header=BB29_3 Depth=1
	v_cmp_lt_f64_e32 vcc_lo, s[18:19], v[4:5]
	s_and_not1_b32 vcc_lo, exec_lo, vcc_lo
	s_wait_alu 0xfffe
	s_cbranch_vccz .LBB29_44
	s_branch .LBB29_47
.LBB29_40:                              ;   in Loop: Header=BB29_3 Depth=1
	s_and_b32 vcc_lo, exec_lo, s3
	s_mov_b32 s60, s59
	s_mov_b32 s42, s40
	s_wait_alu 0xfffe
	s_cbranch_vccz .LBB29_54
.LBB29_41:                              ;   in Loop: Header=BB29_3 Depth=1
	s_cbranch_execnz .LBB29_39
.LBB29_42:                              ;   in Loop: Header=BB29_3 Depth=1
	s_and_b32 vcc_lo, exec_lo, s3
	s_wait_alu 0xfffe
	s_cbranch_vccz .LBB29_101
.LBB29_43:                              ;   in Loop: Header=BB29_3 Depth=1
	s_mov_b32 s60, s59
	v_cmp_lt_f64_e32 vcc_lo, s[18:19], v[4:5]
	s_and_not1_b32 vcc_lo, exec_lo, vcc_lo
	s_wait_alu 0xfffe
	s_cbranch_vccnz .LBB29_47
.LBB29_44:                              ;   in Loop: Header=BB29_3 Depth=1
	s_wait_loadcnt 0x0
	v_div_scale_f64 v[6:7], null, v[4:5], v[4:5], s[18:19]
	global_load_b64 v[10:11], v2, s[36:37]
	v_rcp_f64_e32 v[8:9], v[6:7]
	s_delay_alu instid0(TRANS32_DEP_1) | instskip(NEXT) | instid1(VALU_DEP_1)
	v_fma_f64 v[12:13], -v[6:7], v[8:9], 1.0
	v_fma_f64 v[8:9], v[8:9], v[12:13], v[8:9]
	s_delay_alu instid0(VALU_DEP_1) | instskip(NEXT) | instid1(VALU_DEP_1)
	v_fma_f64 v[12:13], -v[6:7], v[8:9], 1.0
	v_fma_f64 v[8:9], v[8:9], v[12:13], v[8:9]
	v_div_scale_f64 v[12:13], vcc_lo, s[18:19], v[4:5], s[18:19]
	s_delay_alu instid0(VALU_DEP_1) | instskip(NEXT) | instid1(VALU_DEP_1)
	v_mul_f64_e32 v[14:15], v[12:13], v[8:9]
	v_fma_f64 v[6:7], -v[6:7], v[14:15], v[12:13]
	s_wait_alu 0xfffd
	s_delay_alu instid0(VALU_DEP_1) | instskip(SKIP_1) | instid1(VALU_DEP_1)
	v_div_fmas_f64 v[6:7], v[6:7], v[8:9], v[14:15]
	s_and_b32 vcc_lo, exec_lo, s2
	v_div_fixup_f64 v[6:7], v[6:7], v[4:5], s[18:19]
	s_wait_loadcnt 0x0
	s_delay_alu instid0(VALU_DEP_1)
	v_mul_f64_e32 v[8:9], v[6:7], v[10:11]
	global_store_b64 v2, v[8:9], s[36:37]
	s_wait_alu 0xfffe
	s_cbranch_vccnz .LBB29_47
; %bb.45:                               ;   in Loop: Header=BB29_3 Depth=1
	s_add_nc_u64 s[4:5], s[6:7], s[34:35]
	s_add_nc_u64 s[40:41], s[8:9], s[34:35]
	s_mov_b32 s3, s28
.LBB29_46:                              ;   Parent Loop BB29_3 Depth=1
                                        ; =>  This Inner Loop Header: Depth=2
	global_load_b64 v[8:9], v2, s[4:5]
	s_wait_alu 0xfffe
	s_add_co_i32 s3, s3, 1
	s_wait_alu 0xfffe
	s_cmp_lt_i32 s3, s30
	s_wait_loadcnt 0x0
	v_mul_f64_e32 v[8:9], v[6:7], v[8:9]
	global_store_b64 v2, v[8:9], s[4:5]
	global_load_b64 v[8:9], v2, s[40:41]
	s_add_nc_u64 s[4:5], s[4:5], 8
	s_wait_loadcnt 0x0
	v_mul_f64_e32 v[8:9], v[6:7], v[8:9]
	global_store_b64 v2, v[8:9], s[40:41]
	s_add_nc_u64 s[40:41], s[40:41], 8
	s_cbranch_scc1 .LBB29_46
.LBB29_47:                              ;   in Loop: Header=BB29_3 Depth=1
	v_cmp_ngt_f64_e32 vcc_lo, s[14:15], v[4:5]
	s_cbranch_vccnz .LBB29_51
; %bb.48:                               ;   in Loop: Header=BB29_3 Depth=1
	s_wait_loadcnt 0x0
	v_div_scale_f64 v[6:7], null, v[4:5], v[4:5], s[14:15]
	global_load_b64 v[10:11], v2, s[36:37]
	v_rcp_f64_e32 v[8:9], v[6:7]
	s_delay_alu instid0(TRANS32_DEP_1) | instskip(NEXT) | instid1(VALU_DEP_1)
	v_fma_f64 v[12:13], -v[6:7], v[8:9], 1.0
	v_fma_f64 v[8:9], v[8:9], v[12:13], v[8:9]
	s_delay_alu instid0(VALU_DEP_1) | instskip(NEXT) | instid1(VALU_DEP_1)
	v_fma_f64 v[12:13], -v[6:7], v[8:9], 1.0
	v_fma_f64 v[8:9], v[8:9], v[12:13], v[8:9]
	v_div_scale_f64 v[12:13], vcc_lo, s[14:15], v[4:5], s[14:15]
	s_delay_alu instid0(VALU_DEP_1) | instskip(NEXT) | instid1(VALU_DEP_1)
	v_mul_f64_e32 v[14:15], v[12:13], v[8:9]
	v_fma_f64 v[6:7], -v[6:7], v[14:15], v[12:13]
	s_wait_alu 0xfffd
	s_delay_alu instid0(VALU_DEP_1) | instskip(SKIP_1) | instid1(VALU_DEP_1)
	v_div_fmas_f64 v[6:7], v[6:7], v[8:9], v[14:15]
	s_and_b32 vcc_lo, exec_lo, s2
	v_div_fixup_f64 v[3:4], v[6:7], v[4:5], s[14:15]
	s_wait_loadcnt 0x0
	s_delay_alu instid0(VALU_DEP_1)
	v_mul_f64_e32 v[5:6], v[3:4], v[10:11]
	global_store_b64 v2, v[5:6], s[36:37]
	s_wait_alu 0xfffe
	s_cbranch_vccnz .LBB29_51
; %bb.49:                               ;   in Loop: Header=BB29_3 Depth=1
	s_add_nc_u64 s[2:3], s[8:9], s[34:35]
.LBB29_50:                              ;   Parent Loop BB29_3 Depth=1
                                        ; =>  This Inner Loop Header: Depth=2
	global_load_b64 v[5:6], v2, s[38:39]
	s_add_co_i32 s28, s28, 1
	s_delay_alu instid0(SALU_CYCLE_1)
	s_cmp_lt_i32 s28, s30
	s_wait_loadcnt 0x0
	v_mul_f64_e32 v[5:6], v[3:4], v[5:6]
	global_store_b64 v2, v[5:6], s[38:39]
	global_load_b64 v[5:6], v2, s[2:3]
	s_add_nc_u64 s[38:39], s[38:39], 8
	s_wait_loadcnt 0x0
	v_mul_f64_e32 v[5:6], v[3:4], v[5:6]
	global_store_b64 v2, v[5:6], s[2:3]
	s_wait_alu 0xfffe
	s_add_nc_u64 s[2:3], s[2:3], 8
	s_cbranch_scc1 .LBB29_50
.LBB29_51:                              ;   in Loop: Header=BB29_3 Depth=1
	s_cmp_ge_i32 s60, s56
	s_cselect_b32 s2, -1, 0
	s_cmp_ge_i32 s29, s33
	s_cselect_b32 s3, -1, 0
	s_wait_alu 0xfffe
	s_or_b32 s2, s3, s2
.LBB29_52:                              ;   in Loop: Header=BB29_3 Depth=1
	s_wait_alu 0xfffe
	s_and_b32 vcc_lo, exec_lo, s2
	s_mov_b32 s59, s60
	s_wait_alu 0xfffe
	s_cbranch_vccz .LBB29_3
	s_branch .LBB29_147
.LBB29_53:                              ;   in Loop: Header=BB29_54 Depth=2
	s_and_not1_b32 vcc_lo, exec_lo, s41
	s_wait_alu 0xfffe
	s_cbranch_vccz .LBB29_41
.LBB29_54:                              ;   Parent Loop BB29_3 Depth=1
                                        ; =>  This Loop Header: Depth=2
                                        ;       Child Loop BB29_56 Depth 3
                                        ;       Child Loop BB29_69 Depth 3
	s_ashr_i32 s43, s42, 31
	s_max_i32 s46, s31, s42
	s_wait_alu 0xfffe
	s_lshl_b64 s[48:49], s[42:43], 3
	s_mov_b32 s41, s42
	s_add_nc_u64 s[4:5], s[20:21], s[48:49]
	s_add_nc_u64 s[44:45], s[22:23], s[48:49]
	s_mov_b32 s43, -1
	s_cmp_ge_i32 s41, s31
	s_mov_b32 s50, -1
                                        ; implicit-def: $sgpr47
	s_cbranch_scc1 .LBB29_56
.LBB29_55:                              ;   in Loop: Header=BB29_54 Depth=2
	s_wait_loadcnt 0x0
	s_clause 0x1
	global_load_b128 v[6:9], v2, s[44:45] offset:-8
	global_load_b64 v[10:11], v2, s[4:5] offset:8
	s_wait_alu 0xfffe
	s_add_nc_u64 s[4:5], s[4:5], 8
	s_add_co_i32 s47, s41, 1
	s_add_nc_u64 s[44:45], s[44:45], 8
	s_mov_b32 s43, 0
	s_wait_loadcnt 0x1
	v_mul_f64_e32 v[6:7], v[6:7], v[8:9]
	s_delay_alu instid0(VALU_DEP_1) | instskip(SKIP_1) | instid1(VALU_DEP_1)
	v_mul_f64_e64 v[6:7], v[0:1], |v[6:7]|
	s_wait_loadcnt 0x0
	v_cmp_le_f64_e64 s50, |v[10:11]|, v[6:7]
.LBB29_56:                              ;   Parent Loop BB29_3 Depth=1
                                        ;     Parent Loop BB29_54 Depth=2
                                        ; =>    This Inner Loop Header: Depth=3
	s_delay_alu instid0(VALU_DEP_1)
	s_and_not1_b32 vcc_lo, exec_lo, s50
	s_wait_alu 0xfffe
	s_cbranch_vccz .LBB29_58
; %bb.57:                               ;   in Loop: Header=BB29_56 Depth=3
	s_mov_b32 s41, s47
	s_mov_b32 s43, -1
	s_cmp_ge_i32 s41, s31
	s_mov_b32 s50, -1
                                        ; implicit-def: $sgpr47
	s_cbranch_scc0 .LBB29_55
	s_branch .LBB29_56
.LBB29_58:                              ;   in Loop: Header=BB29_54 Depth=2
	s_and_not1_b32 vcc_lo, exec_lo, s43
	s_wait_alu 0xfffe
	s_cbranch_vccz .LBB29_60
; %bb.59:                               ;   in Loop: Header=BB29_54 Depth=2
	v_mov_b32_e32 v3, v2
	s_mov_b32 s46, s41
	global_store_b64 v2, v[2:3], s[4:5]
.LBB29_60:                              ;   in Loop: Header=BB29_54 Depth=2
	s_add_co_i32 s4, s42, 1
	s_cmp_eq_u32 s46, s42
	s_mov_b32 s41, -1
	s_cbranch_scc1 .LBB29_75
; %bb.61:                               ;   in Loop: Header=BB29_54 Depth=2
	s_add_nc_u64 s[44:45], s[6:7], s[48:49]
	s_wait_alu 0xfffe
	s_cmp_lg_u32 s46, s4
	s_wait_loadcnt 0x0
	global_load_b64 v[6:7], v2, s[44:45]
	s_cbranch_scc0 .LBB29_76
; %bb.62:                               ;   in Loop: Header=BB29_54 Depth=2
	s_mov_b32 s43, 0
	s_cmp_lg_u32 s60, s56
	s_mov_b32 s5, s56
	s_mov_b32 s4, 0
	s_cbranch_scc0 .LBB29_77
; %bb.63:                               ;   in Loop: Header=BB29_54 Depth=2
	s_add_nc_u64 s[50:51], s[10:11], s[48:49]
	s_clause 0x1
	global_load_b64 v[8:9], v2, s[50:51]
	global_load_b64 v[10:11], v2, s[44:45] offset:8
	s_wait_loadcnt 0x1
	v_cmp_gt_f64_e32 vcc_lo, 0x10000000, v[8:9]
	s_wait_loadcnt 0x0
	v_add_f64_e64 v[10:11], v[10:11], -v[6:7]
	s_and_b32 s4, vcc_lo, exec_lo
	s_cselect_b32 s4, 0x100, 0
	s_wait_alu 0xfffe
	v_ldexp_f64 v[8:9], v[8:9], s4
	s_cselect_b32 s4, 0xffffff80, 0
	s_delay_alu instid0(VALU_DEP_1) | instskip(SKIP_1) | instid1(TRANS32_DEP_1)
	v_rsq_f64_e32 v[12:13], v[8:9]
	v_cmp_class_f64_e64 vcc_lo, v[8:9], 0x260
	v_mul_f64_e32 v[14:15], v[8:9], v[12:13]
	v_mul_f64_e32 v[12:13], 0.5, v[12:13]
	s_delay_alu instid0(VALU_DEP_1) | instskip(NEXT) | instid1(VALU_DEP_1)
	v_fma_f64 v[16:17], -v[12:13], v[14:15], 0.5
	v_fma_f64 v[14:15], v[14:15], v[16:17], v[14:15]
	v_fma_f64 v[12:13], v[12:13], v[16:17], v[12:13]
	s_delay_alu instid0(VALU_DEP_2) | instskip(NEXT) | instid1(VALU_DEP_1)
	v_fma_f64 v[16:17], -v[14:15], v[14:15], v[8:9]
	v_fma_f64 v[14:15], v[16:17], v[12:13], v[14:15]
	s_delay_alu instid0(VALU_DEP_1) | instskip(NEXT) | instid1(VALU_DEP_1)
	v_fma_f64 v[16:17], -v[14:15], v[14:15], v[8:9]
	v_fma_f64 v[12:13], v[16:17], v[12:13], v[14:15]
	s_wait_alu 0xfffe
	s_delay_alu instid0(VALU_DEP_1) | instskip(SKIP_1) | instid1(VALU_DEP_1)
	v_ldexp_f64 v[12:13], v[12:13], s4
	s_wait_alu 0xfffd
	v_dual_cndmask_b32 v9, v13, v9 :: v_dual_cndmask_b32 v8, v12, v8
	s_delay_alu instid0(VALU_DEP_1) | instskip(NEXT) | instid1(VALU_DEP_1)
	v_add_f64_e32 v[12:13], v[8:9], v[8:9]
	v_div_scale_f64 v[14:15], null, v[12:13], v[12:13], v[10:11]
	v_div_scale_f64 v[20:21], vcc_lo, v[10:11], v[12:13], v[10:11]
	s_delay_alu instid0(VALU_DEP_2) | instskip(NEXT) | instid1(TRANS32_DEP_1)
	v_rcp_f64_e32 v[16:17], v[14:15]
	v_fma_f64 v[18:19], -v[14:15], v[16:17], 1.0
	s_delay_alu instid0(VALU_DEP_1) | instskip(NEXT) | instid1(VALU_DEP_1)
	v_fma_f64 v[16:17], v[16:17], v[18:19], v[16:17]
	v_fma_f64 v[18:19], -v[14:15], v[16:17], 1.0
	s_delay_alu instid0(VALU_DEP_1) | instskip(NEXT) | instid1(VALU_DEP_1)
	v_fma_f64 v[16:17], v[16:17], v[18:19], v[16:17]
	v_mul_f64_e32 v[18:19], v[20:21], v[16:17]
	s_delay_alu instid0(VALU_DEP_1) | instskip(SKIP_1) | instid1(VALU_DEP_1)
	v_fma_f64 v[14:15], -v[14:15], v[18:19], v[20:21]
	s_wait_alu 0xfffd
	v_div_fmas_f64 v[14:15], v[14:15], v[16:17], v[18:19]
	s_delay_alu instid0(VALU_DEP_1) | instskip(NEXT) | instid1(VALU_DEP_1)
	v_div_fixup_f64 v[10:11], v[14:15], v[12:13], v[10:11]
	v_fma_f64 v[12:13], v[10:11], v[10:11], 1.0
	s_delay_alu instid0(VALU_DEP_1)
	v_cmp_gt_f64_e32 vcc_lo, 0x10000000, v[12:13]
	s_and_b32 s4, vcc_lo, exec_lo
	s_cselect_b32 s4, 0x100, 0
	s_wait_alu 0xfffe
	v_ldexp_f64 v[12:13], v[12:13], s4
	s_cselect_b32 s4, 0xffffff80, 0
	s_ashr_i32 s47, s46, 31
	s_delay_alu instid0(VALU_DEP_1) | instskip(SKIP_1) | instid1(TRANS32_DEP_1)
	v_rsq_f64_e32 v[14:15], v[12:13]
	v_cmp_class_f64_e64 vcc_lo, v[12:13], 0x260
	v_mul_f64_e32 v[16:17], v[12:13], v[14:15]
	v_mul_f64_e32 v[14:15], 0.5, v[14:15]
	s_delay_alu instid0(VALU_DEP_1) | instskip(NEXT) | instid1(VALU_DEP_1)
	v_fma_f64 v[18:19], -v[14:15], v[16:17], 0.5
	v_fma_f64 v[16:17], v[16:17], v[18:19], v[16:17]
	v_fma_f64 v[14:15], v[14:15], v[18:19], v[14:15]
	s_delay_alu instid0(VALU_DEP_2) | instskip(NEXT) | instid1(VALU_DEP_1)
	v_fma_f64 v[18:19], -v[16:17], v[16:17], v[12:13]
	v_fma_f64 v[16:17], v[18:19], v[14:15], v[16:17]
	s_delay_alu instid0(VALU_DEP_1) | instskip(NEXT) | instid1(VALU_DEP_1)
	v_fma_f64 v[18:19], -v[16:17], v[16:17], v[12:13]
	v_fma_f64 v[14:15], v[18:19], v[14:15], v[16:17]
	s_wait_alu 0xfffe
	s_delay_alu instid0(VALU_DEP_1)
	v_ldexp_f64 v[14:15], v[14:15], s4
	s_lshl_b64 s[4:5], s[46:47], 3
	s_cmp_le_i32 s46, s42
	s_wait_alu 0xfffe
	s_add_nc_u64 s[52:53], s[6:7], s[4:5]
	global_load_b64 v[18:19], v2, s[52:53]
	s_wait_alu 0xfffd
	v_dual_cndmask_b32 v3, v15, v13 :: v_dual_cndmask_b32 v12, v14, v12
	v_cmp_nle_f64_e32 vcc_lo, 0, v[10:11]
	s_delay_alu instid0(VALU_DEP_2) | instskip(SKIP_2) | instid1(VALU_DEP_1)
	v_and_b32_e32 v13, 0x7fffffff, v3
	v_or_b32_e32 v3, 0x80000000, v3
	s_wait_alu 0xfffd
	v_cndmask_b32_e32 v13, v13, v3, vcc_lo
	s_delay_alu instid0(VALU_DEP_1) | instskip(NEXT) | instid1(VALU_DEP_1)
	v_add_f64_e32 v[10:11], v[10:11], v[12:13]
	v_div_scale_f64 v[12:13], null, v[10:11], v[10:11], v[8:9]
	s_delay_alu instid0(VALU_DEP_1) | instskip(NEXT) | instid1(TRANS32_DEP_1)
	v_rcp_f64_e32 v[14:15], v[12:13]
	v_fma_f64 v[16:17], -v[12:13], v[14:15], 1.0
	s_delay_alu instid0(VALU_DEP_1) | instskip(NEXT) | instid1(VALU_DEP_1)
	v_fma_f64 v[14:15], v[14:15], v[16:17], v[14:15]
	v_fma_f64 v[16:17], -v[12:13], v[14:15], 1.0
	s_delay_alu instid0(VALU_DEP_1) | instskip(SKIP_1) | instid1(VALU_DEP_1)
	v_fma_f64 v[14:15], v[14:15], v[16:17], v[14:15]
	v_div_scale_f64 v[16:17], vcc_lo, v[8:9], v[10:11], v[8:9]
	v_mul_f64_e32 v[20:21], v[16:17], v[14:15]
	s_delay_alu instid0(VALU_DEP_1) | instskip(SKIP_1) | instid1(VALU_DEP_1)
	v_fma_f64 v[12:13], -v[12:13], v[20:21], v[16:17]
	s_wait_alu 0xfffd
	v_div_fmas_f64 v[12:13], v[12:13], v[14:15], v[20:21]
	s_delay_alu instid0(VALU_DEP_1) | instskip(SKIP_2) | instid1(VALU_DEP_3)
	v_div_fixup_f64 v[8:9], v[12:13], v[10:11], v[8:9]
	v_mov_b32_e32 v12, 0
	v_mov_b32_e32 v13, 0
	v_add_f64_e64 v[8:9], v[6:7], -v[8:9]
	s_wait_loadcnt 0x0
	s_delay_alu instid0(VALU_DEP_1) | instskip(NEXT) | instid1(VALU_DEP_1)
	v_add_f64_e64 v[14:15], v[18:19], -v[8:9]
	v_mul_f64_e32 v[16:17], v[14:15], v[14:15]
	s_cbranch_scc1 .LBB29_97
; %bb.64:                               ;   in Loop: Header=BB29_54 Depth=2
	s_add_nc_u64 s[4:5], s[10:11], s[4:5]
	s_clause 0x1
	global_load_b64 v[10:11], v2, s[4:5] offset:-8
	global_load_b64 v[20:21], v2, s[52:53] offset:-8
	s_wait_loadcnt 0x1
	v_add_f64_e32 v[18:19], v[16:17], v[10:11]
	s_delay_alu instid0(VALU_DEP_1) | instskip(SKIP_2) | instid1(VALU_DEP_3)
	v_div_scale_f64 v[12:13], null, v[18:19], v[18:19], v[16:17]
	v_div_scale_f64 v[22:23], null, v[18:19], v[18:19], v[10:11]
	v_div_scale_f64 v[32:33], vcc_lo, v[16:17], v[18:19], v[16:17]
	v_rcp_f64_e32 v[24:25], v[12:13]
	s_delay_alu instid0(VALU_DEP_2) | instskip(NEXT) | instid1(TRANS32_DEP_2)
	v_rcp_f64_e32 v[26:27], v[22:23]
	v_fma_f64 v[28:29], -v[12:13], v[24:25], 1.0
	s_delay_alu instid0(TRANS32_DEP_1) | instskip(NEXT) | instid1(VALU_DEP_2)
	v_fma_f64 v[30:31], -v[22:23], v[26:27], 1.0
	v_fma_f64 v[24:25], v[24:25], v[28:29], v[24:25]
	s_delay_alu instid0(VALU_DEP_2) | instskip(NEXT) | instid1(VALU_DEP_2)
	v_fma_f64 v[26:27], v[26:27], v[30:31], v[26:27]
	v_fma_f64 v[28:29], -v[12:13], v[24:25], 1.0
	s_delay_alu instid0(VALU_DEP_2) | instskip(NEXT) | instid1(VALU_DEP_2)
	v_fma_f64 v[30:31], -v[22:23], v[26:27], 1.0
	v_fma_f64 v[24:25], v[24:25], v[28:29], v[24:25]
	v_div_scale_f64 v[28:29], s4, v[10:11], v[18:19], v[10:11]
	s_delay_alu instid0(VALU_DEP_3) | instskip(NEXT) | instid1(VALU_DEP_3)
	v_fma_f64 v[26:27], v[26:27], v[30:31], v[26:27]
	v_mul_f64_e32 v[30:31], v[32:33], v[24:25]
	s_delay_alu instid0(VALU_DEP_2) | instskip(NEXT) | instid1(VALU_DEP_2)
	v_mul_f64_e32 v[34:35], v[28:29], v[26:27]
	v_fma_f64 v[12:13], -v[12:13], v[30:31], v[32:33]
	s_delay_alu instid0(VALU_DEP_2) | instskip(SKIP_1) | instid1(VALU_DEP_2)
	v_fma_f64 v[22:23], -v[22:23], v[34:35], v[28:29]
	s_wait_alu 0xfffd
	v_div_fmas_f64 v[24:25], v[12:13], v[24:25], v[30:31]
	s_wait_alu 0xfffe
	s_mov_b32 vcc_lo, s4
	s_wait_alu 0xfffe
	s_delay_alu instid0(VALU_DEP_2) | instskip(SKIP_2) | instid1(VALU_DEP_3)
	v_div_fmas_f64 v[12:13], v[22:23], v[26:27], v[34:35]
	s_wait_loadcnt 0x0
	v_add_f64_e64 v[22:23], v[20:21], -v[8:9]
	v_div_fixup_f64 v[16:17], v[24:25], v[18:19], v[16:17]
	s_delay_alu instid0(VALU_DEP_3) | instskip(NEXT) | instid1(VALU_DEP_2)
	v_div_fixup_f64 v[12:13], v[12:13], v[18:19], v[10:11]
	v_cmp_eq_f64_e32 vcc_lo, 0, v[16:17]
	s_delay_alu instid0(VALU_DEP_2) | instskip(SKIP_1) | instid1(VALU_DEP_1)
	v_mul_f64_e32 v[18:19], v[14:15], v[12:13]
	s_and_b32 vcc_lo, exec_lo, vcc_lo
	v_fma_f64 v[18:19], v[16:17], v[22:23], -v[18:19]
	s_delay_alu instid0(VALU_DEP_1) | instskip(NEXT) | instid1(VALU_DEP_1)
	v_add_f64_e64 v[20:21], v[20:21], -v[18:19]
	v_add_f64_e32 v[14:15], v[14:15], v[20:21]
	global_store_b64 v2, v[14:15], s[52:53]
	s_wait_alu 0xfffe
	s_cbranch_vccnz .LBB29_66
; %bb.65:                               ;   in Loop: Header=BB29_54 Depth=2
	v_mul_f64_e32 v[10:11], v[18:19], v[18:19]
	s_delay_alu instid0(VALU_DEP_1) | instskip(NEXT) | instid1(VALU_DEP_1)
	v_div_scale_f64 v[14:15], null, v[16:17], v[16:17], v[10:11]
	v_rcp_f64_e32 v[20:21], v[14:15]
	s_delay_alu instid0(TRANS32_DEP_1) | instskip(NEXT) | instid1(VALU_DEP_1)
	v_fma_f64 v[22:23], -v[14:15], v[20:21], 1.0
	v_fma_f64 v[20:21], v[20:21], v[22:23], v[20:21]
	s_delay_alu instid0(VALU_DEP_1) | instskip(NEXT) | instid1(VALU_DEP_1)
	v_fma_f64 v[22:23], -v[14:15], v[20:21], 1.0
	v_fma_f64 v[20:21], v[20:21], v[22:23], v[20:21]
	v_div_scale_f64 v[22:23], vcc_lo, v[10:11], v[16:17], v[10:11]
	s_delay_alu instid0(VALU_DEP_1) | instskip(NEXT) | instid1(VALU_DEP_1)
	v_mul_f64_e32 v[24:25], v[22:23], v[20:21]
	v_fma_f64 v[14:15], -v[14:15], v[24:25], v[22:23]
	s_wait_alu 0xfffd
	s_delay_alu instid0(VALU_DEP_1) | instskip(NEXT) | instid1(VALU_DEP_1)
	v_div_fmas_f64 v[14:15], v[14:15], v[20:21], v[24:25]
	v_div_fixup_f64 v[10:11], v[14:15], v[16:17], v[10:11]
.LBB29_66:                              ;   in Loop: Header=BB29_54 Depth=2
	s_add_co_i32 s4, s46, -1
	s_wait_alu 0xfffe
	s_cmp_le_i32 s4, s42
	s_cbranch_scc1 .LBB29_95
; %bb.67:                               ;   in Loop: Header=BB29_54 Depth=2
	s_add_co_i32 s4, s46, -2
	s_wait_alu 0xfffe
	s_ashr_i32 s5, s4, 31
	s_wait_alu 0xfffe
	s_lshl_b64 s[4:5], s[4:5], 3
	s_wait_alu 0xfffe
	s_add_nc_u64 s[52:53], s[22:23], s[4:5]
	s_add_nc_u64 s[54:55], s[24:25], s[4:5]
	s_mov_b32 s5, -1
	global_load_b64 v[20:21], v2, s[54:55] offset:-8
	s_wait_alu 0xfffe
	s_cmp_eq_u32 s5, 0
	s_wait_loadcnt 0x0
	v_add_f64_e32 v[14:15], v[10:11], v[20:21]
	s_cbranch_scc1 .LBB29_69
.LBB29_68:                              ;   in Loop: Header=BB29_54 Depth=2
	s_delay_alu instid0(VALU_DEP_1)
	v_mul_f64_e32 v[12:13], v[12:13], v[14:15]
	global_store_b64 v2, v[12:13], s[54:55]
.LBB29_69:                              ;   Parent Loop BB29_3 Depth=1
                                        ;     Parent Loop BB29_54 Depth=2
                                        ; =>    This Inner Loop Header: Depth=3
	s_delay_alu instid0(VALU_DEP_1)
	v_div_scale_f64 v[12:13], null, v[14:15], v[14:15], v[10:11]
	v_div_scale_f64 v[22:23], null, v[14:15], v[14:15], v[20:21]
	global_load_b64 v[28:29], v2, s[52:53] offset:-8
	v_div_scale_f64 v[34:35], vcc_lo, v[10:11], v[14:15], v[10:11]
	v_rcp_f64_e32 v[24:25], v[12:13]
	v_rcp_f64_e32 v[26:27], v[22:23]
	s_delay_alu instid0(TRANS32_DEP_2) | instskip(NEXT) | instid1(TRANS32_DEP_1)
	v_fma_f64 v[30:31], -v[12:13], v[24:25], 1.0
	v_fma_f64 v[32:33], -v[22:23], v[26:27], 1.0
	s_delay_alu instid0(VALU_DEP_2) | instskip(NEXT) | instid1(VALU_DEP_2)
	v_fma_f64 v[24:25], v[24:25], v[30:31], v[24:25]
	v_fma_f64 v[26:27], v[26:27], v[32:33], v[26:27]
	s_delay_alu instid0(VALU_DEP_2) | instskip(NEXT) | instid1(VALU_DEP_2)
	v_fma_f64 v[30:31], -v[12:13], v[24:25], 1.0
	v_fma_f64 v[32:33], -v[22:23], v[26:27], 1.0
	s_delay_alu instid0(VALU_DEP_2) | instskip(SKIP_1) | instid1(VALU_DEP_3)
	v_fma_f64 v[24:25], v[24:25], v[30:31], v[24:25]
	v_div_scale_f64 v[30:31], s4, v[20:21], v[14:15], v[20:21]
	v_fma_f64 v[26:27], v[26:27], v[32:33], v[26:27]
	s_delay_alu instid0(VALU_DEP_3) | instskip(NEXT) | instid1(VALU_DEP_2)
	v_mul_f64_e32 v[32:33], v[34:35], v[24:25]
	v_mul_f64_e32 v[36:37], v[30:31], v[26:27]
	s_delay_alu instid0(VALU_DEP_2) | instskip(NEXT) | instid1(VALU_DEP_2)
	v_fma_f64 v[12:13], -v[12:13], v[32:33], v[34:35]
	v_fma_f64 v[22:23], -v[22:23], v[36:37], v[30:31]
	s_wait_alu 0xfffd
	s_delay_alu instid0(VALU_DEP_2) | instskip(SKIP_2) | instid1(VALU_DEP_2)
	v_div_fmas_f64 v[24:25], v[12:13], v[24:25], v[32:33]
	s_mov_b32 vcc_lo, s4
	s_wait_alu 0xfffe
	v_div_fmas_f64 v[12:13], v[22:23], v[26:27], v[36:37]
	s_wait_loadcnt 0x0
	v_add_f64_e64 v[26:27], v[28:29], -v[8:9]
	s_delay_alu instid0(VALU_DEP_3) | instskip(NEXT) | instid1(VALU_DEP_3)
	v_div_fixup_f64 v[22:23], v[24:25], v[14:15], v[10:11]
	v_div_fixup_f64 v[12:13], v[12:13], v[14:15], v[20:21]
	s_delay_alu instid0(VALU_DEP_2) | instskip(NEXT) | instid1(VALU_DEP_2)
	v_cmp_eq_f64_e32 vcc_lo, 0, v[22:23]
	v_mul_f64_e32 v[10:11], v[18:19], v[12:13]
	s_and_b32 vcc_lo, exec_lo, vcc_lo
	s_delay_alu instid0(VALU_DEP_1) | instskip(NEXT) | instid1(VALU_DEP_1)
	v_fma_f64 v[14:15], v[22:23], v[26:27], -v[10:11]
	v_add_f64_e64 v[10:11], v[28:29], -v[14:15]
	s_delay_alu instid0(VALU_DEP_1)
	v_add_f64_e32 v[10:11], v[18:19], v[10:11]
	global_store_b64 v2, v[10:11], s[52:53]
	s_wait_alu 0xfffe
	s_cbranch_vccz .LBB29_74
; %bb.70:                               ;   in Loop: Header=BB29_69 Depth=3
	v_mul_f64_e32 v[10:11], v[16:17], v[20:21]
	s_cbranch_execnz .LBB29_72
.LBB29_71:                              ;   in Loop: Header=BB29_69 Depth=3
	v_mul_f64_e32 v[10:11], v[14:15], v[14:15]
	s_delay_alu instid0(VALU_DEP_1) | instskip(NEXT) | instid1(VALU_DEP_1)
	v_div_scale_f64 v[16:17], null, v[22:23], v[22:23], v[10:11]
	v_rcp_f64_e32 v[18:19], v[16:17]
	s_delay_alu instid0(TRANS32_DEP_1) | instskip(NEXT) | instid1(VALU_DEP_1)
	v_fma_f64 v[20:21], -v[16:17], v[18:19], 1.0
	v_fma_f64 v[18:19], v[18:19], v[20:21], v[18:19]
	s_delay_alu instid0(VALU_DEP_1) | instskip(NEXT) | instid1(VALU_DEP_1)
	v_fma_f64 v[20:21], -v[16:17], v[18:19], 1.0
	v_fma_f64 v[18:19], v[18:19], v[20:21], v[18:19]
	v_div_scale_f64 v[20:21], vcc_lo, v[10:11], v[22:23], v[10:11]
	s_delay_alu instid0(VALU_DEP_1) | instskip(NEXT) | instid1(VALU_DEP_1)
	v_mul_f64_e32 v[24:25], v[20:21], v[18:19]
	v_fma_f64 v[16:17], -v[16:17], v[24:25], v[20:21]
	s_wait_alu 0xfffd
	s_delay_alu instid0(VALU_DEP_1) | instskip(NEXT) | instid1(VALU_DEP_1)
	v_div_fmas_f64 v[16:17], v[16:17], v[18:19], v[24:25]
	v_div_fixup_f64 v[10:11], v[16:17], v[22:23], v[10:11]
.LBB29_72:                              ;   in Loop: Header=BB29_69 Depth=3
	s_add_co_i32 s5, s5, -1
	s_add_nc_u64 s[54:55], s[54:55], -8
	s_wait_alu 0xfffe
	s_add_co_i32 s4, s46, s5
	s_add_nc_u64 s[52:53], s[52:53], -8
	s_wait_alu 0xfffe
	s_cmp_le_i32 s4, s42
	s_cbranch_scc1 .LBB29_96
; %bb.73:                               ;   in Loop: Header=BB29_69 Depth=3
	v_dual_mov_b32 v16, v22 :: v_dual_mov_b32 v17, v23
	v_dual_mov_b32 v19, v15 :: v_dual_mov_b32 v18, v14
	global_load_b64 v[20:21], v2, s[54:55] offset:-8
	s_cmp_eq_u32 s5, 0
	s_wait_loadcnt 0x0
	v_add_f64_e32 v[14:15], v[10:11], v[20:21]
	s_cbranch_scc0 .LBB29_68
	s_branch .LBB29_69
.LBB29_74:                              ;   in Loop: Header=BB29_69 Depth=3
                                        ; implicit-def: $vgpr10_vgpr11
	s_branch .LBB29_71
.LBB29_75:                              ;   in Loop: Header=BB29_54 Depth=2
	s_wait_alu 0xfffe
	s_mov_b32 s42, s4
	s_cbranch_execz .LBB29_53
	s_branch .LBB29_99
.LBB29_76:                              ;   in Loop: Header=BB29_54 Depth=2
	s_mov_b32 s43, -1
	s_mov_b32 s4, 0
                                        ; implicit-def: $sgpr5
.LBB29_77:                              ;   in Loop: Header=BB29_54 Depth=2
	s_wait_alu 0xfffe
	s_and_b32 vcc_lo, exec_lo, s43
	s_wait_alu 0xfffe
	s_cbranch_vccz .LBB29_98
.LBB29_78:                              ;   in Loop: Header=BB29_54 Depth=2
	s_add_nc_u64 s[48:49], s[10:11], s[48:49]
	global_load_b64 v[8:9], v2, s[48:49]
	s_wait_loadcnt 0x0
	v_cmp_gt_f64_e32 vcc_lo, 0x10000000, v[8:9]
	s_and_b32 s4, vcc_lo, exec_lo
	s_cselect_b32 s4, 0x100, 0
	s_cselect_b32 s43, 0xffffff80, 0
	s_wait_alu 0xfffe
	v_ldexp_f64 v[8:9], v[8:9], s4
	s_ashr_i32 s47, s46, 31
	s_delay_alu instid0(SALU_CYCLE_1)
	s_lshl_b64 s[4:5], s[46:47], 3
	s_wait_alu 0xfffe
	s_add_nc_u64 s[46:47], s[6:7], s[4:5]
	global_load_b64 v[10:11], v2, s[46:47]
	v_rsq_f64_e32 v[12:13], v[8:9]
	v_cmp_class_f64_e64 vcc_lo, v[8:9], 0x260
	s_delay_alu instid0(TRANS32_DEP_1) | instskip(SKIP_1) | instid1(VALU_DEP_1)
	v_mul_f64_e32 v[14:15], v[8:9], v[12:13]
	v_mul_f64_e32 v[12:13], 0.5, v[12:13]
	v_fma_f64 v[16:17], -v[12:13], v[14:15], 0.5
	s_delay_alu instid0(VALU_DEP_1) | instskip(SKIP_1) | instid1(VALU_DEP_2)
	v_fma_f64 v[14:15], v[14:15], v[16:17], v[14:15]
	v_fma_f64 v[12:13], v[12:13], v[16:17], v[12:13]
	v_fma_f64 v[16:17], -v[14:15], v[14:15], v[8:9]
	s_delay_alu instid0(VALU_DEP_1) | instskip(NEXT) | instid1(VALU_DEP_1)
	v_fma_f64 v[14:15], v[16:17], v[12:13], v[14:15]
	v_fma_f64 v[16:17], -v[14:15], v[14:15], v[8:9]
	s_delay_alu instid0(VALU_DEP_1) | instskip(SKIP_2) | instid1(VALU_DEP_2)
	v_fma_f64 v[12:13], v[16:17], v[12:13], v[14:15]
	s_wait_loadcnt 0x0
	v_add_f64_e64 v[14:15], v[6:7], -v[10:11]
	v_ldexp_f64 v[12:13], v[12:13], s43
	s_wait_alu 0xfffd
	s_delay_alu instid0(VALU_DEP_1) | instskip(NEXT) | instid1(VALU_DEP_1)
	v_dual_cndmask_b32 v9, v13, v9 :: v_dual_cndmask_b32 v8, v12, v8
	v_add_f64_e32 v[16:17], v[8:9], v[8:9]
	s_delay_alu instid0(VALU_DEP_1)
	v_cmp_ngt_f64_e64 s4, |v[14:15]|, |v[16:17]|
	s_and_b32 vcc_lo, exec_lo, s4
	s_wait_alu 0xfffe
	s_cbranch_vccz .LBB29_81
; %bb.79:                               ;   in Loop: Header=BB29_54 Depth=2
	v_cmp_nlt_f64_e64 s4, |v[14:15]|, |v[16:17]|
	s_and_b32 vcc_lo, exec_lo, s4
	s_wait_alu 0xfffe
	s_cbranch_vccz .LBB29_82
; %bb.80:                               ;   in Loop: Header=BB29_54 Depth=2
	v_mul_f64_e64 v[12:13], |v[16:17]|, s[26:27]
	s_cbranch_execz .LBB29_83
	s_branch .LBB29_84
.LBB29_81:                              ;   in Loop: Header=BB29_54 Depth=2
                                        ; implicit-def: $vgpr12_vgpr13
	s_branch .LBB29_85
.LBB29_82:                              ;   in Loop: Header=BB29_54 Depth=2
                                        ; implicit-def: $vgpr12_vgpr13
.LBB29_83:                              ;   in Loop: Header=BB29_54 Depth=2
	v_dual_mov_b32 v12, v14 :: v_dual_and_b32 v13, 0x7fffffff, v15
	v_dual_mov_b32 v18, v16 :: v_dual_and_b32 v19, 0x7fffffff, v17
	s_delay_alu instid0(VALU_DEP_1) | instskip(SKIP_1) | instid1(VALU_DEP_2)
	v_div_scale_f64 v[20:21], null, v[18:19], v[18:19], v[12:13]
	v_div_scale_f64 v[12:13], vcc_lo, v[12:13], v[18:19], v[12:13]
	v_rcp_f64_e32 v[22:23], v[20:21]
	s_delay_alu instid0(TRANS32_DEP_1) | instskip(NEXT) | instid1(VALU_DEP_1)
	v_fma_f64 v[24:25], -v[20:21], v[22:23], 1.0
	v_fma_f64 v[22:23], v[22:23], v[24:25], v[22:23]
	s_delay_alu instid0(VALU_DEP_1) | instskip(NEXT) | instid1(VALU_DEP_1)
	v_fma_f64 v[24:25], -v[20:21], v[22:23], 1.0
	v_fma_f64 v[18:19], v[22:23], v[24:25], v[22:23]
	s_delay_alu instid0(VALU_DEP_1) | instskip(NEXT) | instid1(VALU_DEP_1)
	v_mul_f64_e32 v[22:23], v[12:13], v[18:19]
	v_fma_f64 v[12:13], -v[20:21], v[22:23], v[12:13]
	s_wait_alu 0xfffd
	s_delay_alu instid0(VALU_DEP_1) | instskip(NEXT) | instid1(VALU_DEP_1)
	v_div_fmas_f64 v[12:13], v[12:13], v[18:19], v[22:23]
	v_div_fixup_f64 v[12:13], v[12:13], |v[16:17]|, |v[14:15]|
	s_delay_alu instid0(VALU_DEP_1) | instskip(NEXT) | instid1(VALU_DEP_1)
	v_fma_f64 v[12:13], v[12:13], v[12:13], 1.0
	v_cmp_gt_f64_e32 vcc_lo, 0x10000000, v[12:13]
	s_and_b32 s4, vcc_lo, exec_lo
	s_cselect_b32 s4, 0x100, 0
	s_wait_alu 0xfffe
	v_ldexp_f64 v[12:13], v[12:13], s4
	s_cselect_b32 s4, 0xffffff80, 0
	s_delay_alu instid0(VALU_DEP_1) | instskip(SKIP_1) | instid1(TRANS32_DEP_1)
	v_rsq_f64_e32 v[18:19], v[12:13]
	v_cmp_class_f64_e64 vcc_lo, v[12:13], 0x260
	v_mul_f64_e32 v[20:21], v[12:13], v[18:19]
	v_mul_f64_e32 v[18:19], 0.5, v[18:19]
	s_delay_alu instid0(VALU_DEP_1) | instskip(NEXT) | instid1(VALU_DEP_1)
	v_fma_f64 v[22:23], -v[18:19], v[20:21], 0.5
	v_fma_f64 v[20:21], v[20:21], v[22:23], v[20:21]
	v_fma_f64 v[18:19], v[18:19], v[22:23], v[18:19]
	s_delay_alu instid0(VALU_DEP_2) | instskip(NEXT) | instid1(VALU_DEP_1)
	v_fma_f64 v[22:23], -v[20:21], v[20:21], v[12:13]
	v_fma_f64 v[20:21], v[22:23], v[18:19], v[20:21]
	s_delay_alu instid0(VALU_DEP_1) | instskip(NEXT) | instid1(VALU_DEP_1)
	v_fma_f64 v[22:23], -v[20:21], v[20:21], v[12:13]
	v_fma_f64 v[18:19], v[22:23], v[18:19], v[20:21]
	s_wait_alu 0xfffe
	s_delay_alu instid0(VALU_DEP_1) | instskip(SKIP_1) | instid1(VALU_DEP_1)
	v_ldexp_f64 v[18:19], v[18:19], s4
	s_wait_alu 0xfffd
	v_dual_cndmask_b32 v13, v19, v13 :: v_dual_cndmask_b32 v12, v18, v12
	s_delay_alu instid0(VALU_DEP_1)
	v_mul_f64_e64 v[12:13], |v[16:17]|, v[12:13]
.LBB29_84:                              ;   in Loop: Header=BB29_54 Depth=2
	s_cbranch_execnz .LBB29_86
.LBB29_85:                              ;   in Loop: Header=BB29_54 Depth=2
	v_dual_mov_b32 v12, v16 :: v_dual_and_b32 v13, 0x7fffffff, v17
	v_dual_mov_b32 v18, v14 :: v_dual_and_b32 v19, 0x7fffffff, v15
	s_delay_alu instid0(VALU_DEP_1) | instskip(SKIP_1) | instid1(VALU_DEP_2)
	v_div_scale_f64 v[20:21], null, v[18:19], v[18:19], v[12:13]
	v_div_scale_f64 v[12:13], vcc_lo, v[12:13], v[18:19], v[12:13]
	v_rcp_f64_e32 v[22:23], v[20:21]
	s_delay_alu instid0(TRANS32_DEP_1) | instskip(NEXT) | instid1(VALU_DEP_1)
	v_fma_f64 v[24:25], -v[20:21], v[22:23], 1.0
	v_fma_f64 v[22:23], v[22:23], v[24:25], v[22:23]
	s_delay_alu instid0(VALU_DEP_1) | instskip(NEXT) | instid1(VALU_DEP_1)
	v_fma_f64 v[24:25], -v[20:21], v[22:23], 1.0
	v_fma_f64 v[18:19], v[22:23], v[24:25], v[22:23]
	s_delay_alu instid0(VALU_DEP_1) | instskip(NEXT) | instid1(VALU_DEP_1)
	v_mul_f64_e32 v[22:23], v[12:13], v[18:19]
	v_fma_f64 v[12:13], -v[20:21], v[22:23], v[12:13]
	s_wait_alu 0xfffd
	s_delay_alu instid0(VALU_DEP_1) | instskip(NEXT) | instid1(VALU_DEP_1)
	v_div_fmas_f64 v[12:13], v[12:13], v[18:19], v[22:23]
	v_div_fixup_f64 v[12:13], v[12:13], |v[14:15]|, |v[16:17]|
	s_delay_alu instid0(VALU_DEP_1) | instskip(NEXT) | instid1(VALU_DEP_1)
	v_fma_f64 v[12:13], v[12:13], v[12:13], 1.0
	v_cmp_gt_f64_e32 vcc_lo, 0x10000000, v[12:13]
	s_and_b32 s4, vcc_lo, exec_lo
	s_cselect_b32 s4, 0x100, 0
	s_wait_alu 0xfffe
	v_ldexp_f64 v[12:13], v[12:13], s4
	s_cselect_b32 s4, 0xffffff80, 0
	s_delay_alu instid0(VALU_DEP_1) | instskip(SKIP_1) | instid1(TRANS32_DEP_1)
	v_rsq_f64_e32 v[16:17], v[12:13]
	v_cmp_class_f64_e64 vcc_lo, v[12:13], 0x260
	v_mul_f64_e32 v[18:19], v[12:13], v[16:17]
	v_mul_f64_e32 v[16:17], 0.5, v[16:17]
	s_delay_alu instid0(VALU_DEP_1) | instskip(NEXT) | instid1(VALU_DEP_1)
	v_fma_f64 v[20:21], -v[16:17], v[18:19], 0.5
	v_fma_f64 v[18:19], v[18:19], v[20:21], v[18:19]
	v_fma_f64 v[16:17], v[16:17], v[20:21], v[16:17]
	s_delay_alu instid0(VALU_DEP_2) | instskip(NEXT) | instid1(VALU_DEP_1)
	v_fma_f64 v[20:21], -v[18:19], v[18:19], v[12:13]
	v_fma_f64 v[18:19], v[20:21], v[16:17], v[18:19]
	s_delay_alu instid0(VALU_DEP_1) | instskip(NEXT) | instid1(VALU_DEP_1)
	v_fma_f64 v[20:21], -v[18:19], v[18:19], v[12:13]
	v_fma_f64 v[16:17], v[20:21], v[16:17], v[18:19]
	s_wait_alu 0xfffe
	s_delay_alu instid0(VALU_DEP_1) | instskip(SKIP_1) | instid1(VALU_DEP_1)
	v_ldexp_f64 v[16:17], v[16:17], s4
	s_wait_alu 0xfffd
	v_dual_cndmask_b32 v13, v17, v13 :: v_dual_cndmask_b32 v12, v16, v12
	s_delay_alu instid0(VALU_DEP_1)
	v_mul_f64_e64 v[12:13], |v[14:15]|, v[12:13]
.LBB29_86:                              ;   in Loop: Header=BB29_54 Depth=2
	v_add_f64_e32 v[16:17], v[6:7], v[10:11]
	v_cmp_gt_f64_e64 vcc_lo, |v[6:7]|, |v[10:11]|
	s_delay_alu instid0(VALU_DEP_2)
	v_cmp_ngt_f64_e64 s4, 0, v[16:17]
	s_wait_alu 0xfffd
	v_dual_cndmask_b32 v15, v7, v11 :: v_dual_cndmask_b32 v14, v6, v10
	v_dual_cndmask_b32 v7, v11, v7 :: v_dual_cndmask_b32 v6, v10, v6
	s_and_b32 vcc_lo, exec_lo, s4
	s_wait_alu 0xfffe
	s_cbranch_vccz .LBB29_89
; %bb.87:                               ;   in Loop: Header=BB29_54 Depth=2
	v_cmp_nlt_f64_e32 vcc_lo, 0, v[16:17]
	s_cbranch_vccz .LBB29_90
; %bb.88:                               ;   in Loop: Header=BB29_54 Depth=2
	v_mul_f64_e32 v[10:11], 0.5, v[12:13]
	v_mul_f64_e32 v[18:19], -0.5, v[12:13]
	s_cbranch_execz .LBB29_91
	s_branch .LBB29_92
.LBB29_89:                              ;   in Loop: Header=BB29_54 Depth=2
                                        ; implicit-def: $vgpr18_vgpr19
                                        ; implicit-def: $vgpr10_vgpr11
	s_branch .LBB29_93
.LBB29_90:                              ;   in Loop: Header=BB29_54 Depth=2
                                        ; implicit-def: $vgpr18_vgpr19
                                        ; implicit-def: $vgpr10_vgpr11
.LBB29_91:                              ;   in Loop: Header=BB29_54 Depth=2
	v_add_f64_e32 v[10:11], v[16:17], v[12:13]
	s_delay_alu instid0(VALU_DEP_1) | instskip(NEXT) | instid1(VALU_DEP_1)
	v_mul_f64_e32 v[10:11], 0.5, v[10:11]
	v_div_scale_f64 v[18:19], null, v[10:11], v[10:11], v[6:7]
	v_div_scale_f64 v[20:21], null, v[10:11], v[10:11], v[8:9]
	v_div_scale_f64 v[30:31], vcc_lo, v[6:7], v[10:11], v[6:7]
	s_delay_alu instid0(VALU_DEP_3) | instskip(NEXT) | instid1(VALU_DEP_2)
	v_rcp_f64_e32 v[22:23], v[18:19]
	v_rcp_f64_e32 v[24:25], v[20:21]
	s_delay_alu instid0(TRANS32_DEP_2) | instskip(NEXT) | instid1(TRANS32_DEP_1)
	v_fma_f64 v[26:27], -v[18:19], v[22:23], 1.0
	v_fma_f64 v[28:29], -v[20:21], v[24:25], 1.0
	s_delay_alu instid0(VALU_DEP_2) | instskip(NEXT) | instid1(VALU_DEP_2)
	v_fma_f64 v[22:23], v[22:23], v[26:27], v[22:23]
	v_fma_f64 v[24:25], v[24:25], v[28:29], v[24:25]
	s_delay_alu instid0(VALU_DEP_2) | instskip(NEXT) | instid1(VALU_DEP_2)
	v_fma_f64 v[26:27], -v[18:19], v[22:23], 1.0
	v_fma_f64 v[28:29], -v[20:21], v[24:25], 1.0
	s_delay_alu instid0(VALU_DEP_2) | instskip(SKIP_1) | instid1(VALU_DEP_3)
	v_fma_f64 v[22:23], v[22:23], v[26:27], v[22:23]
	v_div_scale_f64 v[26:27], s4, v[8:9], v[10:11], v[8:9]
	v_fma_f64 v[24:25], v[24:25], v[28:29], v[24:25]
	s_delay_alu instid0(VALU_DEP_3) | instskip(NEXT) | instid1(VALU_DEP_2)
	v_mul_f64_e32 v[28:29], v[30:31], v[22:23]
	v_mul_f64_e32 v[32:33], v[26:27], v[24:25]
	s_delay_alu instid0(VALU_DEP_2) | instskip(NEXT) | instid1(VALU_DEP_2)
	v_fma_f64 v[18:19], -v[18:19], v[28:29], v[30:31]
	v_fma_f64 v[20:21], -v[20:21], v[32:33], v[26:27]
	s_wait_alu 0xfffd
	s_delay_alu instid0(VALU_DEP_2) | instskip(SKIP_2) | instid1(VALU_DEP_2)
	v_div_fmas_f64 v[18:19], v[18:19], v[22:23], v[28:29]
	s_mov_b32 vcc_lo, s4
	s_wait_alu 0xfffe
	v_div_fmas_f64 v[20:21], v[20:21], v[24:25], v[32:33]
	s_delay_alu instid0(VALU_DEP_2) | instskip(NEXT) | instid1(VALU_DEP_2)
	v_div_fixup_f64 v[18:19], v[18:19], v[10:11], v[6:7]
	v_div_fixup_f64 v[20:21], v[20:21], v[10:11], v[8:9]
	s_delay_alu instid0(VALU_DEP_1) | instskip(NEXT) | instid1(VALU_DEP_1)
	v_mul_f64_e32 v[20:21], v[8:9], v[20:21]
	v_fma_f64 v[18:19], v[14:15], v[18:19], -v[20:21]
.LBB29_92:                              ;   in Loop: Header=BB29_54 Depth=2
	s_cbranch_execnz .LBB29_94
.LBB29_93:                              ;   in Loop: Header=BB29_54 Depth=2
	v_add_f64_e64 v[10:11], v[16:17], -v[12:13]
	s_delay_alu instid0(VALU_DEP_1) | instskip(NEXT) | instid1(VALU_DEP_1)
	v_mul_f64_e32 v[10:11], 0.5, v[10:11]
	v_div_scale_f64 v[12:13], null, v[10:11], v[10:11], v[6:7]
	v_div_scale_f64 v[16:17], null, v[10:11], v[10:11], v[8:9]
	v_div_scale_f64 v[26:27], vcc_lo, v[6:7], v[10:11], v[6:7]
	s_delay_alu instid0(VALU_DEP_3) | instskip(NEXT) | instid1(VALU_DEP_2)
	v_rcp_f64_e32 v[18:19], v[12:13]
	v_rcp_f64_e32 v[20:21], v[16:17]
	s_delay_alu instid0(TRANS32_DEP_2) | instskip(NEXT) | instid1(TRANS32_DEP_1)
	v_fma_f64 v[22:23], -v[12:13], v[18:19], 1.0
	v_fma_f64 v[24:25], -v[16:17], v[20:21], 1.0
	s_delay_alu instid0(VALU_DEP_2) | instskip(NEXT) | instid1(VALU_DEP_2)
	v_fma_f64 v[18:19], v[18:19], v[22:23], v[18:19]
	v_fma_f64 v[20:21], v[20:21], v[24:25], v[20:21]
	s_delay_alu instid0(VALU_DEP_2) | instskip(NEXT) | instid1(VALU_DEP_2)
	v_fma_f64 v[22:23], -v[12:13], v[18:19], 1.0
	v_fma_f64 v[24:25], -v[16:17], v[20:21], 1.0
	s_delay_alu instid0(VALU_DEP_2) | instskip(SKIP_1) | instid1(VALU_DEP_3)
	v_fma_f64 v[18:19], v[18:19], v[22:23], v[18:19]
	v_div_scale_f64 v[22:23], s4, v[8:9], v[10:11], v[8:9]
	v_fma_f64 v[20:21], v[20:21], v[24:25], v[20:21]
	s_delay_alu instid0(VALU_DEP_3) | instskip(NEXT) | instid1(VALU_DEP_2)
	v_mul_f64_e32 v[24:25], v[26:27], v[18:19]
	v_mul_f64_e32 v[28:29], v[22:23], v[20:21]
	s_delay_alu instid0(VALU_DEP_2) | instskip(NEXT) | instid1(VALU_DEP_2)
	v_fma_f64 v[12:13], -v[12:13], v[24:25], v[26:27]
	v_fma_f64 v[16:17], -v[16:17], v[28:29], v[22:23]
	s_wait_alu 0xfffd
	s_delay_alu instid0(VALU_DEP_2) | instskip(SKIP_2) | instid1(VALU_DEP_2)
	v_div_fmas_f64 v[12:13], v[12:13], v[18:19], v[24:25]
	s_mov_b32 vcc_lo, s4
	s_wait_alu 0xfffe
	v_div_fmas_f64 v[16:17], v[16:17], v[20:21], v[28:29]
	s_delay_alu instid0(VALU_DEP_2) | instskip(NEXT) | instid1(VALU_DEP_2)
	v_div_fixup_f64 v[6:7], v[12:13], v[10:11], v[6:7]
	v_div_fixup_f64 v[16:17], v[16:17], v[10:11], v[8:9]
	s_delay_alu instid0(VALU_DEP_1) | instskip(NEXT) | instid1(VALU_DEP_1)
	v_mul_f64_e32 v[8:9], v[8:9], v[16:17]
	v_fma_f64 v[18:19], v[14:15], v[6:7], -v[8:9]
.LBB29_94:                              ;   in Loop: Header=BB29_54 Depth=2
	v_mov_b32_e32 v3, v2
	s_clause 0x1
	global_store_b64 v2, v[10:11], s[44:45]
	global_store_b64 v2, v[18:19], s[46:47]
	s_add_co_i32 s42, s42, 2
	global_store_b64 v2, v[2:3], s[48:49]
	s_cbranch_execz .LBB29_53
	s_branch .LBB29_99
.LBB29_95:                              ;   in Loop: Header=BB29_54 Depth=2
	v_dual_mov_b32 v14, v18 :: v_dual_mov_b32 v15, v19
.LBB29_96:                              ;   in Loop: Header=BB29_54 Depth=2
	s_delay_alu instid0(VALU_DEP_1)
	v_dual_mov_b32 v17, v11 :: v_dual_mov_b32 v16, v10
.LBB29_97:                              ;   in Loop: Header=BB29_54 Depth=2
	s_delay_alu instid0(VALU_DEP_1) | instskip(NEXT) | instid1(VALU_DEP_3)
	v_mul_f64_e32 v[10:11], v[12:13], v[16:17]
	v_add_f64_e32 v[8:9], v[8:9], v[14:15]
	s_add_co_i32 s5, s60, 1
	s_mov_b32 s4, -1
	s_clause 0x1
	global_store_b64 v2, v[10:11], s[50:51]
	global_store_b64 v2, v[8:9], s[44:45]
	s_and_b32 vcc_lo, exec_lo, s43
	s_wait_alu 0xfffe
	s_cbranch_vccnz .LBB29_78
.LBB29_98:                              ;   in Loop: Header=BB29_54 Depth=2
	s_mov_b32 s60, s5
	s_and_b32 vcc_lo, exec_lo, s4
	s_wait_alu 0xfffe
	s_cbranch_vccz .LBB29_53
.LBB29_99:                              ;   in Loop: Header=BB29_54 Depth=2
	s_wait_alu 0xfffe
	s_cmp_gt_i32 s42, s31
	s_cselect_b32 s4, -1, 0
	s_cmp_ge_i32 s60, s56
	s_cselect_b32 s5, -1, 0
	s_wait_alu 0xfffe
	s_or_b32 s41, s4, s5
	s_branch .LBB29_53
.LBB29_100:                             ;   in Loop: Header=BB29_101 Depth=2
	s_and_not1_b32 vcc_lo, exec_lo, s41
	s_wait_alu 0xfffe
	s_cbranch_vccz .LBB29_43
.LBB29_101:                             ;   Parent Loop BB29_3 Depth=1
                                        ; =>  This Loop Header: Depth=2
                                        ;       Child Loop BB29_103 Depth 3
                                        ;       Child Loop BB29_116 Depth 3
	s_ashr_i32 s41, s40, 31
	s_min_i32 s42, s31, s40
	s_lshl_b64 s[44:45], s[40:41], 3
	s_mov_b32 s3, s40
	s_add_nc_u64 s[46:47], s[6:7], s[44:45]
	s_add_nc_u64 s[4:5], s[24:25], s[44:45]
	s_mov_b32 s41, -1
	s_wait_alu 0xfffe
	s_cmp_le_i32 s3, s31
	s_mov_b32 s48, -1
                                        ; implicit-def: $sgpr43
	s_cbranch_scc1 .LBB29_103
.LBB29_102:                             ;   in Loop: Header=BB29_101 Depth=2
	s_wait_loadcnt 0x0
	s_clause 0x1
	global_load_b128 v[6:9], v2, s[46:47] offset:-8
	global_load_b64 v[10:11], v2, s[4:5] offset:-16
	s_add_co_i32 s43, s3, -1
	s_add_nc_u64 s[46:47], s[46:47], -8
	s_add_nc_u64 s[4:5], s[4:5], -8
	s_mov_b32 s41, 0
	s_wait_loadcnt 0x1
	v_mul_f64_e32 v[6:7], v[8:9], v[6:7]
	s_delay_alu instid0(VALU_DEP_1) | instskip(SKIP_1) | instid1(VALU_DEP_1)
	v_mul_f64_e64 v[6:7], v[0:1], |v[6:7]|
	s_wait_loadcnt 0x0
	v_cmp_le_f64_e64 s48, |v[10:11]|, v[6:7]
.LBB29_103:                             ;   Parent Loop BB29_3 Depth=1
                                        ;     Parent Loop BB29_101 Depth=2
                                        ; =>    This Inner Loop Header: Depth=3
	s_delay_alu instid0(VALU_DEP_1)
	s_and_not1_b32 vcc_lo, exec_lo, s48
	s_wait_alu 0xfffe
	s_cbranch_vccz .LBB29_105
; %bb.104:                              ;   in Loop: Header=BB29_103 Depth=3
	s_mov_b32 s3, s43
	s_mov_b32 s41, -1
	s_wait_alu 0xfffe
	s_cmp_le_i32 s3, s31
	s_mov_b32 s48, -1
                                        ; implicit-def: $sgpr43
	s_cbranch_scc0 .LBB29_102
	s_branch .LBB29_103
.LBB29_105:                             ;   in Loop: Header=BB29_101 Depth=2
	s_and_not1_b32 vcc_lo, exec_lo, s41
	s_wait_alu 0xfffe
	s_cbranch_vccz .LBB29_107
; %bb.106:                              ;   in Loop: Header=BB29_101 Depth=2
	v_mov_b32_e32 v3, v2
	s_mov_b32 s42, s3
	global_store_b64 v2, v[2:3], s[4:5] offset:-8
.LBB29_107:                             ;   in Loop: Header=BB29_101 Depth=2
	s_add_co_i32 s3, s40, -1
	s_wait_alu 0xfffe
	s_cmp_eq_u32 s42, s40
	s_mov_b32 s41, -1
	s_cbranch_scc1 .LBB29_122
; %bb.108:                              ;   in Loop: Header=BB29_101 Depth=2
	s_add_nc_u64 s[4:5], s[6:7], s[44:45]
	s_cmp_lg_u32 s42, s3
	s_wait_loadcnt 0x0
	global_load_b64 v[6:7], v2, s[4:5]
	s_cbranch_scc0 .LBB29_123
; %bb.109:                              ;   in Loop: Header=BB29_101 Depth=2
	s_mov_b32 s50, 0
	s_cmp_lg_u32 s59, s56
	s_mov_b32 s43, s56
	s_mov_b32 s3, 0
	s_cbranch_scc0 .LBB29_124
; %bb.110:                              ;   in Loop: Header=BB29_101 Depth=2
	s_add_nc_u64 s[44:45], s[10:11], s[44:45]
	s_clause 0x1
	global_load_b64 v[8:9], v2, s[44:45] offset:-8
	global_load_b64 v[10:11], v2, s[4:5] offset:-8
	s_wait_loadcnt 0x1
	v_cmp_gt_f64_e32 vcc_lo, 0x10000000, v[8:9]
	s_wait_loadcnt 0x0
	v_add_f64_e64 v[10:11], v[10:11], -v[6:7]
	s_and_b32 s3, vcc_lo, exec_lo
	s_cselect_b32 s3, 0x100, 0
	s_wait_alu 0xfffe
	v_ldexp_f64 v[8:9], v[8:9], s3
	s_cselect_b32 s3, 0xffffff80, 0
	s_delay_alu instid0(VALU_DEP_1) | instskip(SKIP_1) | instid1(TRANS32_DEP_1)
	v_rsq_f64_e32 v[12:13], v[8:9]
	v_cmp_class_f64_e64 vcc_lo, v[8:9], 0x260
	v_mul_f64_e32 v[14:15], v[8:9], v[12:13]
	v_mul_f64_e32 v[12:13], 0.5, v[12:13]
	s_delay_alu instid0(VALU_DEP_1) | instskip(NEXT) | instid1(VALU_DEP_1)
	v_fma_f64 v[16:17], -v[12:13], v[14:15], 0.5
	v_fma_f64 v[14:15], v[14:15], v[16:17], v[14:15]
	v_fma_f64 v[12:13], v[12:13], v[16:17], v[12:13]
	s_delay_alu instid0(VALU_DEP_2) | instskip(NEXT) | instid1(VALU_DEP_1)
	v_fma_f64 v[16:17], -v[14:15], v[14:15], v[8:9]
	v_fma_f64 v[14:15], v[16:17], v[12:13], v[14:15]
	s_delay_alu instid0(VALU_DEP_1) | instskip(NEXT) | instid1(VALU_DEP_1)
	v_fma_f64 v[16:17], -v[14:15], v[14:15], v[8:9]
	v_fma_f64 v[12:13], v[16:17], v[12:13], v[14:15]
	s_wait_alu 0xfffe
	s_delay_alu instid0(VALU_DEP_1) | instskip(SKIP_1) | instid1(VALU_DEP_1)
	v_ldexp_f64 v[12:13], v[12:13], s3
	s_wait_alu 0xfffd
	v_dual_cndmask_b32 v9, v13, v9 :: v_dual_cndmask_b32 v8, v12, v8
	s_delay_alu instid0(VALU_DEP_1) | instskip(NEXT) | instid1(VALU_DEP_1)
	v_add_f64_e32 v[12:13], v[8:9], v[8:9]
	v_div_scale_f64 v[14:15], null, v[12:13], v[12:13], v[10:11]
	v_div_scale_f64 v[20:21], vcc_lo, v[10:11], v[12:13], v[10:11]
	s_delay_alu instid0(VALU_DEP_2) | instskip(NEXT) | instid1(TRANS32_DEP_1)
	v_rcp_f64_e32 v[16:17], v[14:15]
	v_fma_f64 v[18:19], -v[14:15], v[16:17], 1.0
	s_delay_alu instid0(VALU_DEP_1) | instskip(NEXT) | instid1(VALU_DEP_1)
	v_fma_f64 v[16:17], v[16:17], v[18:19], v[16:17]
	v_fma_f64 v[18:19], -v[14:15], v[16:17], 1.0
	s_delay_alu instid0(VALU_DEP_1) | instskip(NEXT) | instid1(VALU_DEP_1)
	v_fma_f64 v[16:17], v[16:17], v[18:19], v[16:17]
	v_mul_f64_e32 v[18:19], v[20:21], v[16:17]
	s_delay_alu instid0(VALU_DEP_1) | instskip(SKIP_1) | instid1(VALU_DEP_1)
	v_fma_f64 v[14:15], -v[14:15], v[18:19], v[20:21]
	s_wait_alu 0xfffd
	v_div_fmas_f64 v[14:15], v[14:15], v[16:17], v[18:19]
	s_delay_alu instid0(VALU_DEP_1) | instskip(NEXT) | instid1(VALU_DEP_1)
	v_div_fixup_f64 v[10:11], v[14:15], v[12:13], v[10:11]
	v_fma_f64 v[12:13], v[10:11], v[10:11], 1.0
	s_delay_alu instid0(VALU_DEP_1)
	v_cmp_gt_f64_e32 vcc_lo, 0x10000000, v[12:13]
	s_and_b32 s3, vcc_lo, exec_lo
	s_cselect_b32 s3, 0x100, 0
	s_wait_alu 0xfffe
	v_ldexp_f64 v[12:13], v[12:13], s3
	s_cselect_b32 s3, 0xffffff80, 0
	s_ashr_i32 s43, s42, 31
	s_wait_alu 0xfffe
	s_lshl_b64 s[48:49], s[42:43], 3
	s_cmp_ge_i32 s42, s40
	s_add_nc_u64 s[46:47], s[6:7], s[48:49]
	s_delay_alu instid0(VALU_DEP_1) | instskip(SKIP_1) | instid1(TRANS32_DEP_1)
	v_rsq_f64_e32 v[14:15], v[12:13]
	v_cmp_class_f64_e64 vcc_lo, v[12:13], 0x260
	v_mul_f64_e32 v[16:17], v[12:13], v[14:15]
	v_mul_f64_e32 v[14:15], 0.5, v[14:15]
	s_delay_alu instid0(VALU_DEP_1) | instskip(NEXT) | instid1(VALU_DEP_1)
	v_fma_f64 v[18:19], -v[14:15], v[16:17], 0.5
	v_fma_f64 v[16:17], v[16:17], v[18:19], v[16:17]
	v_fma_f64 v[14:15], v[14:15], v[18:19], v[14:15]
	s_delay_alu instid0(VALU_DEP_2) | instskip(NEXT) | instid1(VALU_DEP_1)
	v_fma_f64 v[18:19], -v[16:17], v[16:17], v[12:13]
	v_fma_f64 v[16:17], v[18:19], v[14:15], v[16:17]
	s_delay_alu instid0(VALU_DEP_1) | instskip(NEXT) | instid1(VALU_DEP_1)
	v_fma_f64 v[18:19], -v[16:17], v[16:17], v[12:13]
	v_fma_f64 v[14:15], v[18:19], v[14:15], v[16:17]
	global_load_b64 v[18:19], v2, s[46:47]
	v_ldexp_f64 v[14:15], v[14:15], s3
	s_wait_alu 0xfffd
	s_delay_alu instid0(VALU_DEP_1) | instskip(SKIP_1) | instid1(VALU_DEP_2)
	v_dual_cndmask_b32 v3, v15, v13 :: v_dual_cndmask_b32 v12, v14, v12
	v_cmp_nle_f64_e32 vcc_lo, 0, v[10:11]
	v_and_b32_e32 v13, 0x7fffffff, v3
	v_or_b32_e32 v3, 0x80000000, v3
	s_wait_alu 0xfffd
	s_delay_alu instid0(VALU_DEP_1) | instskip(NEXT) | instid1(VALU_DEP_1)
	v_cndmask_b32_e32 v13, v13, v3, vcc_lo
	v_add_f64_e32 v[10:11], v[10:11], v[12:13]
	s_delay_alu instid0(VALU_DEP_1) | instskip(NEXT) | instid1(VALU_DEP_1)
	v_div_scale_f64 v[12:13], null, v[10:11], v[10:11], v[8:9]
	v_rcp_f64_e32 v[14:15], v[12:13]
	s_delay_alu instid0(TRANS32_DEP_1) | instskip(NEXT) | instid1(VALU_DEP_1)
	v_fma_f64 v[16:17], -v[12:13], v[14:15], 1.0
	v_fma_f64 v[14:15], v[14:15], v[16:17], v[14:15]
	s_delay_alu instid0(VALU_DEP_1) | instskip(NEXT) | instid1(VALU_DEP_1)
	v_fma_f64 v[16:17], -v[12:13], v[14:15], 1.0
	v_fma_f64 v[14:15], v[14:15], v[16:17], v[14:15]
	v_div_scale_f64 v[16:17], vcc_lo, v[8:9], v[10:11], v[8:9]
	s_delay_alu instid0(VALU_DEP_1) | instskip(NEXT) | instid1(VALU_DEP_1)
	v_mul_f64_e32 v[20:21], v[16:17], v[14:15]
	v_fma_f64 v[12:13], -v[12:13], v[20:21], v[16:17]
	s_wait_alu 0xfffd
	s_delay_alu instid0(VALU_DEP_1) | instskip(NEXT) | instid1(VALU_DEP_1)
	v_div_fmas_f64 v[12:13], v[12:13], v[14:15], v[20:21]
	v_div_fixup_f64 v[8:9], v[12:13], v[10:11], v[8:9]
	v_mov_b32_e32 v12, 0
	v_mov_b32_e32 v13, 0
	s_delay_alu instid0(VALU_DEP_3) | instskip(SKIP_1) | instid1(VALU_DEP_1)
	v_add_f64_e64 v[8:9], v[6:7], -v[8:9]
	s_wait_loadcnt 0x0
	v_add_f64_e64 v[14:15], v[18:19], -v[8:9]
	s_delay_alu instid0(VALU_DEP_1)
	v_mul_f64_e32 v[16:17], v[14:15], v[14:15]
	s_cbranch_scc1 .LBB29_144
; %bb.111:                              ;   in Loop: Header=BB29_101 Depth=2
	s_add_nc_u64 s[48:49], s[10:11], s[48:49]
	s_clause 0x1
	global_load_b64 v[10:11], v2, s[48:49]
	global_load_b64 v[20:21], v2, s[46:47] offset:8
	s_wait_loadcnt 0x1
	v_add_f64_e32 v[18:19], v[16:17], v[10:11]
	s_delay_alu instid0(VALU_DEP_1) | instskip(SKIP_2) | instid1(VALU_DEP_3)
	v_div_scale_f64 v[12:13], null, v[18:19], v[18:19], v[16:17]
	v_div_scale_f64 v[22:23], null, v[18:19], v[18:19], v[10:11]
	v_div_scale_f64 v[32:33], vcc_lo, v[16:17], v[18:19], v[16:17]
	v_rcp_f64_e32 v[24:25], v[12:13]
	s_delay_alu instid0(VALU_DEP_2) | instskip(NEXT) | instid1(TRANS32_DEP_2)
	v_rcp_f64_e32 v[26:27], v[22:23]
	v_fma_f64 v[28:29], -v[12:13], v[24:25], 1.0
	s_delay_alu instid0(TRANS32_DEP_1) | instskip(NEXT) | instid1(VALU_DEP_2)
	v_fma_f64 v[30:31], -v[22:23], v[26:27], 1.0
	v_fma_f64 v[24:25], v[24:25], v[28:29], v[24:25]
	s_delay_alu instid0(VALU_DEP_2) | instskip(NEXT) | instid1(VALU_DEP_2)
	v_fma_f64 v[26:27], v[26:27], v[30:31], v[26:27]
	v_fma_f64 v[28:29], -v[12:13], v[24:25], 1.0
	s_delay_alu instid0(VALU_DEP_2) | instskip(NEXT) | instid1(VALU_DEP_2)
	v_fma_f64 v[30:31], -v[22:23], v[26:27], 1.0
	v_fma_f64 v[24:25], v[24:25], v[28:29], v[24:25]
	v_div_scale_f64 v[28:29], s3, v[10:11], v[18:19], v[10:11]
	s_delay_alu instid0(VALU_DEP_3) | instskip(NEXT) | instid1(VALU_DEP_3)
	v_fma_f64 v[26:27], v[26:27], v[30:31], v[26:27]
	v_mul_f64_e32 v[30:31], v[32:33], v[24:25]
	s_delay_alu instid0(VALU_DEP_2) | instskip(NEXT) | instid1(VALU_DEP_2)
	v_mul_f64_e32 v[34:35], v[28:29], v[26:27]
	v_fma_f64 v[12:13], -v[12:13], v[30:31], v[32:33]
	s_delay_alu instid0(VALU_DEP_2) | instskip(SKIP_1) | instid1(VALU_DEP_2)
	v_fma_f64 v[22:23], -v[22:23], v[34:35], v[28:29]
	s_wait_alu 0xfffd
	v_div_fmas_f64 v[24:25], v[12:13], v[24:25], v[30:31]
	s_mov_b32 vcc_lo, s3
	s_wait_alu 0xfffe
	s_delay_alu instid0(VALU_DEP_2) | instskip(SKIP_2) | instid1(VALU_DEP_3)
	v_div_fmas_f64 v[12:13], v[22:23], v[26:27], v[34:35]
	s_wait_loadcnt 0x0
	v_add_f64_e64 v[22:23], v[20:21], -v[8:9]
	v_div_fixup_f64 v[16:17], v[24:25], v[18:19], v[16:17]
	s_delay_alu instid0(VALU_DEP_3) | instskip(NEXT) | instid1(VALU_DEP_2)
	v_div_fixup_f64 v[12:13], v[12:13], v[18:19], v[10:11]
	v_cmp_eq_f64_e32 vcc_lo, 0, v[16:17]
	s_delay_alu instid0(VALU_DEP_2) | instskip(SKIP_1) | instid1(VALU_DEP_1)
	v_mul_f64_e32 v[18:19], v[14:15], v[12:13]
	s_and_b32 vcc_lo, exec_lo, vcc_lo
	v_fma_f64 v[18:19], v[16:17], v[22:23], -v[18:19]
	s_delay_alu instid0(VALU_DEP_1) | instskip(NEXT) | instid1(VALU_DEP_1)
	v_add_f64_e64 v[20:21], v[20:21], -v[18:19]
	v_add_f64_e32 v[14:15], v[14:15], v[20:21]
	global_store_b64 v2, v[14:15], s[46:47]
	s_wait_alu 0xfffe
	s_cbranch_vccnz .LBB29_113
; %bb.112:                              ;   in Loop: Header=BB29_101 Depth=2
	v_mul_f64_e32 v[10:11], v[18:19], v[18:19]
	s_delay_alu instid0(VALU_DEP_1) | instskip(NEXT) | instid1(VALU_DEP_1)
	v_div_scale_f64 v[14:15], null, v[16:17], v[16:17], v[10:11]
	v_rcp_f64_e32 v[20:21], v[14:15]
	s_delay_alu instid0(TRANS32_DEP_1) | instskip(NEXT) | instid1(VALU_DEP_1)
	v_fma_f64 v[22:23], -v[14:15], v[20:21], 1.0
	v_fma_f64 v[20:21], v[20:21], v[22:23], v[20:21]
	s_delay_alu instid0(VALU_DEP_1) | instskip(NEXT) | instid1(VALU_DEP_1)
	v_fma_f64 v[22:23], -v[14:15], v[20:21], 1.0
	v_fma_f64 v[20:21], v[20:21], v[22:23], v[20:21]
	v_div_scale_f64 v[22:23], vcc_lo, v[10:11], v[16:17], v[10:11]
	s_delay_alu instid0(VALU_DEP_1) | instskip(NEXT) | instid1(VALU_DEP_1)
	v_mul_f64_e32 v[24:25], v[22:23], v[20:21]
	v_fma_f64 v[14:15], -v[14:15], v[24:25], v[22:23]
	s_wait_alu 0xfffd
	s_delay_alu instid0(VALU_DEP_1) | instskip(NEXT) | instid1(VALU_DEP_1)
	v_div_fmas_f64 v[14:15], v[14:15], v[20:21], v[24:25]
	v_div_fixup_f64 v[10:11], v[14:15], v[16:17], v[10:11]
.LBB29_113:                             ;   in Loop: Header=BB29_101 Depth=2
	s_add_co_i32 s46, s42, 1
	s_delay_alu instid0(SALU_CYCLE_1)
	s_cmp_ge_i32 s46, s40
	s_cbranch_scc1 .LBB29_142
; %bb.114:                              ;   in Loop: Header=BB29_101 Depth=2
	s_ashr_i32 s47, s46, 31
	s_mov_b32 s43, 1
	s_lshl_b64 s[48:49], s[46:47], 3
	s_delay_alu instid0(SALU_CYCLE_1)
	s_add_nc_u64 s[46:47], s[8:9], s[48:49]
	s_add_nc_u64 s[48:49], s[22:23], s[48:49]
	global_load_b64 v[20:21], v2, s[46:47]
	s_wait_alu 0xfffe
	s_cmp_eq_u32 s43, 0
	s_wait_loadcnt 0x0
	v_add_f64_e32 v[14:15], v[10:11], v[20:21]
	s_cbranch_scc1 .LBB29_116
.LBB29_115:                             ;   in Loop: Header=BB29_101 Depth=2
	s_delay_alu instid0(VALU_DEP_1)
	v_mul_f64_e32 v[12:13], v[12:13], v[14:15]
	global_store_b64 v2, v[12:13], s[46:47] offset:-8
.LBB29_116:                             ;   Parent Loop BB29_3 Depth=1
                                        ;     Parent Loop BB29_101 Depth=2
                                        ; =>    This Inner Loop Header: Depth=3
	s_delay_alu instid0(VALU_DEP_1)
	v_div_scale_f64 v[12:13], null, v[14:15], v[14:15], v[10:11]
	v_div_scale_f64 v[22:23], null, v[14:15], v[14:15], v[20:21]
	global_load_b64 v[28:29], v2, s[48:49]
	v_div_scale_f64 v[34:35], vcc_lo, v[10:11], v[14:15], v[10:11]
	v_rcp_f64_e32 v[24:25], v[12:13]
	v_rcp_f64_e32 v[26:27], v[22:23]
	s_delay_alu instid0(TRANS32_DEP_2) | instskip(NEXT) | instid1(TRANS32_DEP_1)
	v_fma_f64 v[30:31], -v[12:13], v[24:25], 1.0
	v_fma_f64 v[32:33], -v[22:23], v[26:27], 1.0
	s_delay_alu instid0(VALU_DEP_2) | instskip(NEXT) | instid1(VALU_DEP_2)
	v_fma_f64 v[24:25], v[24:25], v[30:31], v[24:25]
	v_fma_f64 v[26:27], v[26:27], v[32:33], v[26:27]
	s_delay_alu instid0(VALU_DEP_2) | instskip(NEXT) | instid1(VALU_DEP_2)
	v_fma_f64 v[30:31], -v[12:13], v[24:25], 1.0
	v_fma_f64 v[32:33], -v[22:23], v[26:27], 1.0
	s_delay_alu instid0(VALU_DEP_2) | instskip(SKIP_1) | instid1(VALU_DEP_3)
	v_fma_f64 v[24:25], v[24:25], v[30:31], v[24:25]
	v_div_scale_f64 v[30:31], s3, v[20:21], v[14:15], v[20:21]
	v_fma_f64 v[26:27], v[26:27], v[32:33], v[26:27]
	s_delay_alu instid0(VALU_DEP_3) | instskip(NEXT) | instid1(VALU_DEP_2)
	v_mul_f64_e32 v[32:33], v[34:35], v[24:25]
	v_mul_f64_e32 v[36:37], v[30:31], v[26:27]
	s_delay_alu instid0(VALU_DEP_2) | instskip(NEXT) | instid1(VALU_DEP_2)
	v_fma_f64 v[12:13], -v[12:13], v[32:33], v[34:35]
	v_fma_f64 v[22:23], -v[22:23], v[36:37], v[30:31]
	s_wait_alu 0xfffd
	s_delay_alu instid0(VALU_DEP_2) | instskip(SKIP_2) | instid1(VALU_DEP_2)
	v_div_fmas_f64 v[24:25], v[12:13], v[24:25], v[32:33]
	s_mov_b32 vcc_lo, s3
	s_wait_alu 0xfffe
	v_div_fmas_f64 v[12:13], v[22:23], v[26:27], v[36:37]
	s_wait_loadcnt 0x0
	v_add_f64_e64 v[26:27], v[28:29], -v[8:9]
	s_delay_alu instid0(VALU_DEP_3) | instskip(NEXT) | instid1(VALU_DEP_3)
	v_div_fixup_f64 v[22:23], v[24:25], v[14:15], v[10:11]
	v_div_fixup_f64 v[12:13], v[12:13], v[14:15], v[20:21]
	s_delay_alu instid0(VALU_DEP_2) | instskip(NEXT) | instid1(VALU_DEP_2)
	v_cmp_eq_f64_e32 vcc_lo, 0, v[22:23]
	v_mul_f64_e32 v[10:11], v[18:19], v[12:13]
	s_and_b32 vcc_lo, exec_lo, vcc_lo
	s_delay_alu instid0(VALU_DEP_1) | instskip(NEXT) | instid1(VALU_DEP_1)
	v_fma_f64 v[14:15], v[22:23], v[26:27], -v[10:11]
	v_add_f64_e64 v[10:11], v[28:29], -v[14:15]
	s_delay_alu instid0(VALU_DEP_1)
	v_add_f64_e32 v[10:11], v[18:19], v[10:11]
	global_store_b64 v2, v[10:11], s[48:49] offset:-8
	s_wait_alu 0xfffe
	s_cbranch_vccz .LBB29_121
; %bb.117:                              ;   in Loop: Header=BB29_116 Depth=3
	v_mul_f64_e32 v[10:11], v[16:17], v[20:21]
	s_cbranch_execnz .LBB29_119
.LBB29_118:                             ;   in Loop: Header=BB29_116 Depth=3
	v_mul_f64_e32 v[10:11], v[14:15], v[14:15]
	s_delay_alu instid0(VALU_DEP_1) | instskip(NEXT) | instid1(VALU_DEP_1)
	v_div_scale_f64 v[16:17], null, v[22:23], v[22:23], v[10:11]
	v_rcp_f64_e32 v[18:19], v[16:17]
	s_delay_alu instid0(TRANS32_DEP_1) | instskip(NEXT) | instid1(VALU_DEP_1)
	v_fma_f64 v[20:21], -v[16:17], v[18:19], 1.0
	v_fma_f64 v[18:19], v[18:19], v[20:21], v[18:19]
	s_delay_alu instid0(VALU_DEP_1) | instskip(NEXT) | instid1(VALU_DEP_1)
	v_fma_f64 v[20:21], -v[16:17], v[18:19], 1.0
	v_fma_f64 v[18:19], v[18:19], v[20:21], v[18:19]
	v_div_scale_f64 v[20:21], vcc_lo, v[10:11], v[22:23], v[10:11]
	s_delay_alu instid0(VALU_DEP_1) | instskip(NEXT) | instid1(VALU_DEP_1)
	v_mul_f64_e32 v[24:25], v[20:21], v[18:19]
	v_fma_f64 v[16:17], -v[16:17], v[24:25], v[20:21]
	s_wait_alu 0xfffd
	s_delay_alu instid0(VALU_DEP_1) | instskip(NEXT) | instid1(VALU_DEP_1)
	v_div_fmas_f64 v[16:17], v[16:17], v[18:19], v[24:25]
	v_div_fixup_f64 v[10:11], v[16:17], v[22:23], v[10:11]
.LBB29_119:                             ;   in Loop: Header=BB29_116 Depth=3
	s_add_co_i32 s43, s43, 1
	s_add_nc_u64 s[46:47], s[46:47], 8
	s_wait_alu 0xfffe
	s_add_co_i32 s3, s42, s43
	s_add_nc_u64 s[48:49], s[48:49], 8
	s_wait_alu 0xfffe
	s_cmp_ge_i32 s3, s40
	s_cbranch_scc1 .LBB29_143
; %bb.120:                              ;   in Loop: Header=BB29_116 Depth=3
	v_dual_mov_b32 v16, v22 :: v_dual_mov_b32 v17, v23
	v_dual_mov_b32 v19, v15 :: v_dual_mov_b32 v18, v14
	global_load_b64 v[20:21], v2, s[46:47]
	s_cmp_eq_u32 s43, 0
	s_wait_loadcnt 0x0
	v_add_f64_e32 v[14:15], v[10:11], v[20:21]
	s_cbranch_scc0 .LBB29_115
	s_branch .LBB29_116
.LBB29_121:                             ;   in Loop: Header=BB29_116 Depth=3
                                        ; implicit-def: $vgpr10_vgpr11
	s_branch .LBB29_118
.LBB29_122:                             ;   in Loop: Header=BB29_101 Depth=2
	s_mov_b32 s40, s3
	s_cbranch_execz .LBB29_100
	s_branch .LBB29_146
.LBB29_123:                             ;   in Loop: Header=BB29_101 Depth=2
	s_mov_b32 s50, -1
	s_mov_b32 s3, 0
                                        ; implicit-def: $sgpr43
.LBB29_124:                             ;   in Loop: Header=BB29_101 Depth=2
	s_and_b32 vcc_lo, exec_lo, s50
	s_wait_alu 0xfffe
	s_cbranch_vccz .LBB29_145
.LBB29_125:                             ;   in Loop: Header=BB29_101 Depth=2
	s_ashr_i32 s43, s42, 31
	s_wait_alu 0xfffe
	s_lshl_b64 s[44:45], s[42:43], 3
	s_delay_alu instid0(SALU_CYCLE_1)
	s_add_nc_u64 s[42:43], s[10:11], s[44:45]
	s_add_nc_u64 s[44:45], s[6:7], s[44:45]
	s_clause 0x1
	global_load_b64 v[8:9], v2, s[42:43]
	global_load_b64 v[10:11], v2, s[44:45]
	s_wait_loadcnt 0x1
	v_cmp_gt_f64_e32 vcc_lo, 0x10000000, v[8:9]
	s_and_b32 s3, vcc_lo, exec_lo
	s_cselect_b32 s3, 0x100, 0
	s_wait_alu 0xfffe
	v_ldexp_f64 v[8:9], v[8:9], s3
	s_cselect_b32 s3, 0xffffff80, 0
	s_delay_alu instid0(VALU_DEP_1) | instskip(SKIP_1) | instid1(TRANS32_DEP_1)
	v_rsq_f64_e32 v[12:13], v[8:9]
	v_cmp_class_f64_e64 vcc_lo, v[8:9], 0x260
	v_mul_f64_e32 v[14:15], v[8:9], v[12:13]
	v_mul_f64_e32 v[12:13], 0.5, v[12:13]
	s_delay_alu instid0(VALU_DEP_1) | instskip(NEXT) | instid1(VALU_DEP_1)
	v_fma_f64 v[16:17], -v[12:13], v[14:15], 0.5
	v_fma_f64 v[14:15], v[14:15], v[16:17], v[14:15]
	v_fma_f64 v[12:13], v[12:13], v[16:17], v[12:13]
	s_delay_alu instid0(VALU_DEP_2) | instskip(NEXT) | instid1(VALU_DEP_1)
	v_fma_f64 v[16:17], -v[14:15], v[14:15], v[8:9]
	v_fma_f64 v[14:15], v[16:17], v[12:13], v[14:15]
	s_delay_alu instid0(VALU_DEP_1) | instskip(NEXT) | instid1(VALU_DEP_1)
	v_fma_f64 v[16:17], -v[14:15], v[14:15], v[8:9]
	v_fma_f64 v[12:13], v[16:17], v[12:13], v[14:15]
	s_wait_loadcnt 0x0
	v_add_f64_e64 v[14:15], v[6:7], -v[10:11]
	s_wait_alu 0xfffe
	s_delay_alu instid0(VALU_DEP_2) | instskip(SKIP_1) | instid1(VALU_DEP_1)
	v_ldexp_f64 v[12:13], v[12:13], s3
	s_wait_alu 0xfffd
	v_dual_cndmask_b32 v9, v13, v9 :: v_dual_cndmask_b32 v8, v12, v8
	s_delay_alu instid0(VALU_DEP_1) | instskip(NEXT) | instid1(VALU_DEP_1)
	v_add_f64_e32 v[16:17], v[8:9], v[8:9]
	v_cmp_ngt_f64_e64 s3, |v[14:15]|, |v[16:17]|
	s_and_b32 vcc_lo, exec_lo, s3
	s_wait_alu 0xfffe
	s_cbranch_vccz .LBB29_128
; %bb.126:                              ;   in Loop: Header=BB29_101 Depth=2
	v_cmp_nlt_f64_e64 s3, |v[14:15]|, |v[16:17]|
	s_and_b32 vcc_lo, exec_lo, s3
	s_wait_alu 0xfffe
	s_cbranch_vccz .LBB29_129
; %bb.127:                              ;   in Loop: Header=BB29_101 Depth=2
	v_mul_f64_e64 v[12:13], |v[16:17]|, s[26:27]
	s_cbranch_execz .LBB29_130
	s_branch .LBB29_131
.LBB29_128:                             ;   in Loop: Header=BB29_101 Depth=2
                                        ; implicit-def: $vgpr12_vgpr13
	s_branch .LBB29_132
.LBB29_129:                             ;   in Loop: Header=BB29_101 Depth=2
                                        ; implicit-def: $vgpr12_vgpr13
.LBB29_130:                             ;   in Loop: Header=BB29_101 Depth=2
	v_dual_mov_b32 v12, v14 :: v_dual_and_b32 v13, 0x7fffffff, v15
	v_dual_mov_b32 v18, v16 :: v_dual_and_b32 v19, 0x7fffffff, v17
	s_delay_alu instid0(VALU_DEP_1) | instskip(SKIP_1) | instid1(VALU_DEP_2)
	v_div_scale_f64 v[20:21], null, v[18:19], v[18:19], v[12:13]
	v_div_scale_f64 v[12:13], vcc_lo, v[12:13], v[18:19], v[12:13]
	v_rcp_f64_e32 v[22:23], v[20:21]
	s_delay_alu instid0(TRANS32_DEP_1) | instskip(NEXT) | instid1(VALU_DEP_1)
	v_fma_f64 v[24:25], -v[20:21], v[22:23], 1.0
	v_fma_f64 v[22:23], v[22:23], v[24:25], v[22:23]
	s_delay_alu instid0(VALU_DEP_1) | instskip(NEXT) | instid1(VALU_DEP_1)
	v_fma_f64 v[24:25], -v[20:21], v[22:23], 1.0
	v_fma_f64 v[18:19], v[22:23], v[24:25], v[22:23]
	s_delay_alu instid0(VALU_DEP_1) | instskip(NEXT) | instid1(VALU_DEP_1)
	v_mul_f64_e32 v[22:23], v[12:13], v[18:19]
	v_fma_f64 v[12:13], -v[20:21], v[22:23], v[12:13]
	s_wait_alu 0xfffd
	s_delay_alu instid0(VALU_DEP_1) | instskip(NEXT) | instid1(VALU_DEP_1)
	v_div_fmas_f64 v[12:13], v[12:13], v[18:19], v[22:23]
	v_div_fixup_f64 v[12:13], v[12:13], |v[16:17]|, |v[14:15]|
	s_delay_alu instid0(VALU_DEP_1) | instskip(NEXT) | instid1(VALU_DEP_1)
	v_fma_f64 v[12:13], v[12:13], v[12:13], 1.0
	v_cmp_gt_f64_e32 vcc_lo, 0x10000000, v[12:13]
	s_and_b32 s3, vcc_lo, exec_lo
	s_cselect_b32 s3, 0x100, 0
	s_wait_alu 0xfffe
	v_ldexp_f64 v[12:13], v[12:13], s3
	s_cselect_b32 s3, 0xffffff80, 0
	s_delay_alu instid0(VALU_DEP_1) | instskip(SKIP_1) | instid1(TRANS32_DEP_1)
	v_rsq_f64_e32 v[18:19], v[12:13]
	v_cmp_class_f64_e64 vcc_lo, v[12:13], 0x260
	v_mul_f64_e32 v[20:21], v[12:13], v[18:19]
	v_mul_f64_e32 v[18:19], 0.5, v[18:19]
	s_delay_alu instid0(VALU_DEP_1) | instskip(NEXT) | instid1(VALU_DEP_1)
	v_fma_f64 v[22:23], -v[18:19], v[20:21], 0.5
	v_fma_f64 v[20:21], v[20:21], v[22:23], v[20:21]
	v_fma_f64 v[18:19], v[18:19], v[22:23], v[18:19]
	s_delay_alu instid0(VALU_DEP_2) | instskip(NEXT) | instid1(VALU_DEP_1)
	v_fma_f64 v[22:23], -v[20:21], v[20:21], v[12:13]
	v_fma_f64 v[20:21], v[22:23], v[18:19], v[20:21]
	s_delay_alu instid0(VALU_DEP_1) | instskip(NEXT) | instid1(VALU_DEP_1)
	v_fma_f64 v[22:23], -v[20:21], v[20:21], v[12:13]
	v_fma_f64 v[18:19], v[22:23], v[18:19], v[20:21]
	s_wait_alu 0xfffe
	s_delay_alu instid0(VALU_DEP_1) | instskip(SKIP_1) | instid1(VALU_DEP_1)
	v_ldexp_f64 v[18:19], v[18:19], s3
	s_wait_alu 0xfffd
	v_dual_cndmask_b32 v13, v19, v13 :: v_dual_cndmask_b32 v12, v18, v12
	s_delay_alu instid0(VALU_DEP_1)
	v_mul_f64_e64 v[12:13], |v[16:17]|, v[12:13]
.LBB29_131:                             ;   in Loop: Header=BB29_101 Depth=2
	s_cbranch_execnz .LBB29_133
.LBB29_132:                             ;   in Loop: Header=BB29_101 Depth=2
	v_dual_mov_b32 v12, v16 :: v_dual_and_b32 v13, 0x7fffffff, v17
	v_dual_mov_b32 v18, v14 :: v_dual_and_b32 v19, 0x7fffffff, v15
	s_delay_alu instid0(VALU_DEP_1) | instskip(SKIP_1) | instid1(VALU_DEP_2)
	v_div_scale_f64 v[20:21], null, v[18:19], v[18:19], v[12:13]
	v_div_scale_f64 v[12:13], vcc_lo, v[12:13], v[18:19], v[12:13]
	v_rcp_f64_e32 v[22:23], v[20:21]
	s_delay_alu instid0(TRANS32_DEP_1) | instskip(NEXT) | instid1(VALU_DEP_1)
	v_fma_f64 v[24:25], -v[20:21], v[22:23], 1.0
	v_fma_f64 v[22:23], v[22:23], v[24:25], v[22:23]
	s_delay_alu instid0(VALU_DEP_1) | instskip(NEXT) | instid1(VALU_DEP_1)
	v_fma_f64 v[24:25], -v[20:21], v[22:23], 1.0
	v_fma_f64 v[18:19], v[22:23], v[24:25], v[22:23]
	s_delay_alu instid0(VALU_DEP_1) | instskip(NEXT) | instid1(VALU_DEP_1)
	v_mul_f64_e32 v[22:23], v[12:13], v[18:19]
	v_fma_f64 v[12:13], -v[20:21], v[22:23], v[12:13]
	s_wait_alu 0xfffd
	s_delay_alu instid0(VALU_DEP_1) | instskip(NEXT) | instid1(VALU_DEP_1)
	v_div_fmas_f64 v[12:13], v[12:13], v[18:19], v[22:23]
	v_div_fixup_f64 v[12:13], v[12:13], |v[14:15]|, |v[16:17]|
	s_delay_alu instid0(VALU_DEP_1) | instskip(NEXT) | instid1(VALU_DEP_1)
	v_fma_f64 v[12:13], v[12:13], v[12:13], 1.0
	v_cmp_gt_f64_e32 vcc_lo, 0x10000000, v[12:13]
	s_and_b32 s3, vcc_lo, exec_lo
	s_cselect_b32 s3, 0x100, 0
	s_wait_alu 0xfffe
	v_ldexp_f64 v[12:13], v[12:13], s3
	s_cselect_b32 s3, 0xffffff80, 0
	s_delay_alu instid0(VALU_DEP_1) | instskip(SKIP_1) | instid1(TRANS32_DEP_1)
	v_rsq_f64_e32 v[16:17], v[12:13]
	v_cmp_class_f64_e64 vcc_lo, v[12:13], 0x260
	v_mul_f64_e32 v[18:19], v[12:13], v[16:17]
	v_mul_f64_e32 v[16:17], 0.5, v[16:17]
	s_delay_alu instid0(VALU_DEP_1) | instskip(NEXT) | instid1(VALU_DEP_1)
	v_fma_f64 v[20:21], -v[16:17], v[18:19], 0.5
	v_fma_f64 v[18:19], v[18:19], v[20:21], v[18:19]
	v_fma_f64 v[16:17], v[16:17], v[20:21], v[16:17]
	s_delay_alu instid0(VALU_DEP_2) | instskip(NEXT) | instid1(VALU_DEP_1)
	v_fma_f64 v[20:21], -v[18:19], v[18:19], v[12:13]
	v_fma_f64 v[18:19], v[20:21], v[16:17], v[18:19]
	s_delay_alu instid0(VALU_DEP_1) | instskip(NEXT) | instid1(VALU_DEP_1)
	v_fma_f64 v[20:21], -v[18:19], v[18:19], v[12:13]
	v_fma_f64 v[16:17], v[20:21], v[16:17], v[18:19]
	s_wait_alu 0xfffe
	s_delay_alu instid0(VALU_DEP_1) | instskip(SKIP_1) | instid1(VALU_DEP_1)
	v_ldexp_f64 v[16:17], v[16:17], s3
	s_wait_alu 0xfffd
	v_dual_cndmask_b32 v13, v17, v13 :: v_dual_cndmask_b32 v12, v16, v12
	s_delay_alu instid0(VALU_DEP_1)
	v_mul_f64_e64 v[12:13], |v[14:15]|, v[12:13]
.LBB29_133:                             ;   in Loop: Header=BB29_101 Depth=2
	v_add_f64_e32 v[16:17], v[6:7], v[10:11]
	v_cmp_gt_f64_e64 vcc_lo, |v[6:7]|, |v[10:11]|
	s_delay_alu instid0(VALU_DEP_2)
	v_cmp_ngt_f64_e64 s3, 0, v[16:17]
	s_wait_alu 0xfffd
	v_dual_cndmask_b32 v15, v7, v11 :: v_dual_cndmask_b32 v14, v6, v10
	v_dual_cndmask_b32 v7, v11, v7 :: v_dual_cndmask_b32 v6, v10, v6
	s_and_b32 vcc_lo, exec_lo, s3
	s_wait_alu 0xfffe
	s_cbranch_vccz .LBB29_136
; %bb.134:                              ;   in Loop: Header=BB29_101 Depth=2
	v_cmp_nlt_f64_e32 vcc_lo, 0, v[16:17]
	s_cbranch_vccz .LBB29_137
; %bb.135:                              ;   in Loop: Header=BB29_101 Depth=2
	v_mul_f64_e32 v[10:11], 0.5, v[12:13]
	v_mul_f64_e32 v[18:19], -0.5, v[12:13]
	s_cbranch_execz .LBB29_138
	s_branch .LBB29_139
.LBB29_136:                             ;   in Loop: Header=BB29_101 Depth=2
                                        ; implicit-def: $vgpr18_vgpr19
                                        ; implicit-def: $vgpr10_vgpr11
	s_branch .LBB29_140
.LBB29_137:                             ;   in Loop: Header=BB29_101 Depth=2
                                        ; implicit-def: $vgpr18_vgpr19
                                        ; implicit-def: $vgpr10_vgpr11
.LBB29_138:                             ;   in Loop: Header=BB29_101 Depth=2
	v_add_f64_e32 v[10:11], v[16:17], v[12:13]
	s_delay_alu instid0(VALU_DEP_1) | instskip(NEXT) | instid1(VALU_DEP_1)
	v_mul_f64_e32 v[10:11], 0.5, v[10:11]
	v_div_scale_f64 v[18:19], null, v[10:11], v[10:11], v[6:7]
	v_div_scale_f64 v[20:21], null, v[10:11], v[10:11], v[8:9]
	v_div_scale_f64 v[30:31], vcc_lo, v[6:7], v[10:11], v[6:7]
	s_delay_alu instid0(VALU_DEP_3) | instskip(NEXT) | instid1(VALU_DEP_2)
	v_rcp_f64_e32 v[22:23], v[18:19]
	v_rcp_f64_e32 v[24:25], v[20:21]
	s_delay_alu instid0(TRANS32_DEP_2) | instskip(NEXT) | instid1(TRANS32_DEP_1)
	v_fma_f64 v[26:27], -v[18:19], v[22:23], 1.0
	v_fma_f64 v[28:29], -v[20:21], v[24:25], 1.0
	s_delay_alu instid0(VALU_DEP_2) | instskip(NEXT) | instid1(VALU_DEP_2)
	v_fma_f64 v[22:23], v[22:23], v[26:27], v[22:23]
	v_fma_f64 v[24:25], v[24:25], v[28:29], v[24:25]
	s_delay_alu instid0(VALU_DEP_2) | instskip(NEXT) | instid1(VALU_DEP_2)
	v_fma_f64 v[26:27], -v[18:19], v[22:23], 1.0
	v_fma_f64 v[28:29], -v[20:21], v[24:25], 1.0
	s_delay_alu instid0(VALU_DEP_2) | instskip(SKIP_1) | instid1(VALU_DEP_3)
	v_fma_f64 v[22:23], v[22:23], v[26:27], v[22:23]
	v_div_scale_f64 v[26:27], s3, v[8:9], v[10:11], v[8:9]
	v_fma_f64 v[24:25], v[24:25], v[28:29], v[24:25]
	s_delay_alu instid0(VALU_DEP_3) | instskip(NEXT) | instid1(VALU_DEP_2)
	v_mul_f64_e32 v[28:29], v[30:31], v[22:23]
	v_mul_f64_e32 v[32:33], v[26:27], v[24:25]
	s_delay_alu instid0(VALU_DEP_2) | instskip(NEXT) | instid1(VALU_DEP_2)
	v_fma_f64 v[18:19], -v[18:19], v[28:29], v[30:31]
	v_fma_f64 v[20:21], -v[20:21], v[32:33], v[26:27]
	s_wait_alu 0xfffd
	s_delay_alu instid0(VALU_DEP_2) | instskip(SKIP_2) | instid1(VALU_DEP_2)
	v_div_fmas_f64 v[18:19], v[18:19], v[22:23], v[28:29]
	s_mov_b32 vcc_lo, s3
	s_wait_alu 0xfffe
	v_div_fmas_f64 v[20:21], v[20:21], v[24:25], v[32:33]
	s_delay_alu instid0(VALU_DEP_2) | instskip(NEXT) | instid1(VALU_DEP_2)
	v_div_fixup_f64 v[18:19], v[18:19], v[10:11], v[6:7]
	v_div_fixup_f64 v[20:21], v[20:21], v[10:11], v[8:9]
	s_delay_alu instid0(VALU_DEP_1) | instskip(NEXT) | instid1(VALU_DEP_1)
	v_mul_f64_e32 v[20:21], v[8:9], v[20:21]
	v_fma_f64 v[18:19], v[14:15], v[18:19], -v[20:21]
.LBB29_139:                             ;   in Loop: Header=BB29_101 Depth=2
	s_cbranch_execnz .LBB29_141
.LBB29_140:                             ;   in Loop: Header=BB29_101 Depth=2
	v_add_f64_e64 v[10:11], v[16:17], -v[12:13]
	s_delay_alu instid0(VALU_DEP_1) | instskip(NEXT) | instid1(VALU_DEP_1)
	v_mul_f64_e32 v[10:11], 0.5, v[10:11]
	v_div_scale_f64 v[12:13], null, v[10:11], v[10:11], v[6:7]
	v_div_scale_f64 v[16:17], null, v[10:11], v[10:11], v[8:9]
	v_div_scale_f64 v[26:27], vcc_lo, v[6:7], v[10:11], v[6:7]
	s_delay_alu instid0(VALU_DEP_3) | instskip(NEXT) | instid1(VALU_DEP_2)
	v_rcp_f64_e32 v[18:19], v[12:13]
	v_rcp_f64_e32 v[20:21], v[16:17]
	s_delay_alu instid0(TRANS32_DEP_2) | instskip(NEXT) | instid1(TRANS32_DEP_1)
	v_fma_f64 v[22:23], -v[12:13], v[18:19], 1.0
	v_fma_f64 v[24:25], -v[16:17], v[20:21], 1.0
	s_delay_alu instid0(VALU_DEP_2) | instskip(NEXT) | instid1(VALU_DEP_2)
	v_fma_f64 v[18:19], v[18:19], v[22:23], v[18:19]
	v_fma_f64 v[20:21], v[20:21], v[24:25], v[20:21]
	s_delay_alu instid0(VALU_DEP_2) | instskip(NEXT) | instid1(VALU_DEP_2)
	v_fma_f64 v[22:23], -v[12:13], v[18:19], 1.0
	v_fma_f64 v[24:25], -v[16:17], v[20:21], 1.0
	s_delay_alu instid0(VALU_DEP_2) | instskip(SKIP_1) | instid1(VALU_DEP_3)
	v_fma_f64 v[18:19], v[18:19], v[22:23], v[18:19]
	v_div_scale_f64 v[22:23], s3, v[8:9], v[10:11], v[8:9]
	v_fma_f64 v[20:21], v[20:21], v[24:25], v[20:21]
	s_delay_alu instid0(VALU_DEP_3) | instskip(NEXT) | instid1(VALU_DEP_2)
	v_mul_f64_e32 v[24:25], v[26:27], v[18:19]
	v_mul_f64_e32 v[28:29], v[22:23], v[20:21]
	s_delay_alu instid0(VALU_DEP_2) | instskip(NEXT) | instid1(VALU_DEP_2)
	v_fma_f64 v[12:13], -v[12:13], v[24:25], v[26:27]
	v_fma_f64 v[16:17], -v[16:17], v[28:29], v[22:23]
	s_wait_alu 0xfffd
	s_delay_alu instid0(VALU_DEP_2) | instskip(SKIP_2) | instid1(VALU_DEP_2)
	v_div_fmas_f64 v[12:13], v[12:13], v[18:19], v[24:25]
	s_mov_b32 vcc_lo, s3
	s_wait_alu 0xfffe
	v_div_fmas_f64 v[16:17], v[16:17], v[20:21], v[28:29]
	s_delay_alu instid0(VALU_DEP_2) | instskip(NEXT) | instid1(VALU_DEP_2)
	v_div_fixup_f64 v[6:7], v[12:13], v[10:11], v[6:7]
	v_div_fixup_f64 v[16:17], v[16:17], v[10:11], v[8:9]
	s_delay_alu instid0(VALU_DEP_1) | instskip(NEXT) | instid1(VALU_DEP_1)
	v_mul_f64_e32 v[8:9], v[8:9], v[16:17]
	v_fma_f64 v[18:19], v[14:15], v[6:7], -v[8:9]
.LBB29_141:                             ;   in Loop: Header=BB29_101 Depth=2
	v_mov_b32_e32 v3, v2
	s_clause 0x1
	global_store_b64 v2, v[10:11], s[4:5]
	global_store_b64 v2, v[18:19], s[44:45]
	s_add_co_i32 s40, s40, -2
	global_store_b64 v2, v[2:3], s[42:43]
	s_cbranch_execz .LBB29_100
	s_branch .LBB29_146
.LBB29_142:                             ;   in Loop: Header=BB29_101 Depth=2
	v_dual_mov_b32 v14, v18 :: v_dual_mov_b32 v15, v19
.LBB29_143:                             ;   in Loop: Header=BB29_101 Depth=2
	s_delay_alu instid0(VALU_DEP_1)
	v_dual_mov_b32 v17, v11 :: v_dual_mov_b32 v16, v10
.LBB29_144:                             ;   in Loop: Header=BB29_101 Depth=2
	s_delay_alu instid0(VALU_DEP_1) | instskip(NEXT) | instid1(VALU_DEP_3)
	v_mul_f64_e32 v[10:11], v[16:17], v[12:13]
	v_add_f64_e32 v[8:9], v[8:9], v[14:15]
	s_add_co_i32 s43, s59, 1
	s_mov_b32 s3, -1
	s_clause 0x1
	global_store_b64 v2, v[10:11], s[44:45] offset:-8
	global_store_b64 v2, v[8:9], s[4:5]
	s_and_b32 vcc_lo, exec_lo, s50
	s_wait_alu 0xfffe
	s_cbranch_vccnz .LBB29_125
.LBB29_145:                             ;   in Loop: Header=BB29_101 Depth=2
	s_mov_b32 s59, s43
	s_and_b32 vcc_lo, exec_lo, s3
	s_wait_alu 0xfffe
	s_cbranch_vccz .LBB29_100
.LBB29_146:                             ;   in Loop: Header=BB29_101 Depth=2
	s_cmp_lt_i32 s40, s31
	s_cselect_b32 s3, -1, 0
	s_cmp_ge_i32 s59, s56
	s_cselect_b32 s4, -1, 0
	s_wait_alu 0xfffe
	s_or_b32 s41, s3, s4
	s_branch .LBB29_100
.LBB29_147:
	s_cmp_lt_i32 s33, 2
	s_cbranch_scc1 .LBB29_158
; %bb.148:
	s_load_b64 s[0:1], s[0:1], 0x28
	v_mov_b32_e32 v0, 0
	s_lshl_b64 s[2:3], s[16:17], 2
	s_wait_kmcnt 0x0
	s_wait_alu 0xfffe
	s_add_nc_u64 s[0:1], s[0:1], s[2:3]
	s_mov_b32 s2, 1
	s_branch .LBB29_150
.LBB29_149:                             ;   in Loop: Header=BB29_150 Depth=1
	s_wait_alu 0xfffe
	s_add_co_i32 s2, s2, 1
	s_add_nc_u64 s[10:11], s[10:11], 8
	s_wait_alu 0xfffe
	s_cmp_lg_u32 s33, s2
	s_cbranch_scc0 .LBB29_152
.LBB29_150:                             ; =>This Inner Loop Header: Depth=1
	global_load_b64 v[1:2], v0, s[10:11]
	s_wait_loadcnt 0x0
	v_cmp_eq_f64_e32 vcc_lo, 0, v[1:2]
	s_cbranch_vccnz .LBB29_149
; %bb.151:                              ;   in Loop: Header=BB29_150 Depth=1
	global_load_b32 v1, v0, s[0:1]
	s_wait_loadcnt 0x0
	v_add_nc_u32_e32 v1, 1, v1
	global_store_b32 v0, v1, s[0:1]
	s_branch .LBB29_149
.LBB29_152:
	v_mov_b32_e32 v4, 0
	s_add_nc_u64 s[0:1], s[6:7], 8
	s_mov_b32 s2, 1
	s_branch .LBB29_154
.LBB29_153:                             ;   in Loop: Header=BB29_154 Depth=1
	s_add_co_i32 s2, s2, 1
	s_add_nc_u64 s[0:1], s[0:1], 8
	s_wait_alu 0xfffe
	s_cmp_lg_u32 s2, s33
	s_cbranch_scc0 .LBB29_158
.LBB29_154:                             ; =>This Loop Header: Depth=1
                                        ;     Child Loop BB29_155 Depth 2
	s_wait_alu 0xfffe
	s_ashr_i32 s3, s2, 31
	s_mov_b64 s[10:11], s[0:1]
	s_wait_alu 0xfffe
	s_lshl_b64 s[4:5], s[2:3], 3
	s_add_co_i32 s3, s2, -1
	s_wait_alu 0xfffe
	s_add_nc_u64 s[4:5], s[6:7], s[4:5]
	s_mov_b32 s9, s2
	global_load_b64 v[0:1], v4, s[4:5] offset:-8
	s_mov_b32 s8, s3
	s_wait_loadcnt 0x0
	v_dual_mov_b32 v3, v1 :: v_dual_mov_b32 v2, v0
.LBB29_155:                             ;   Parent Loop BB29_154 Depth=1
                                        ; =>  This Inner Loop Header: Depth=2
	global_load_b64 v[5:6], v4, s[10:11]
	s_add_nc_u64 s[10:11], s[10:11], 8
	s_wait_loadcnt 0x0
	v_cmp_lt_f64_e32 vcc_lo, v[5:6], v[2:3]
	s_wait_alu 0xfffd
	v_dual_cndmask_b32 v3, v3, v6 :: v_dual_cndmask_b32 v2, v2, v5
	s_and_b32 s12, vcc_lo, exec_lo
	s_cselect_b32 s8, s9, s8
	s_add_co_i32 s9, s9, 1
	s_delay_alu instid0(SALU_CYCLE_1)
	s_cmp_eq_u32 s33, s9
	s_cbranch_scc0 .LBB29_155
; %bb.156:                              ;   in Loop: Header=BB29_154 Depth=1
	s_cmp_lg_u32 s8, s3
	s_cbranch_scc0 .LBB29_153
; %bb.157:                              ;   in Loop: Header=BB29_154 Depth=1
	s_ashr_i32 s9, s8, 31
	s_delay_alu instid0(SALU_CYCLE_1) | instskip(NEXT) | instid1(SALU_CYCLE_1)
	s_lshl_b64 s[8:9], s[8:9], 3
	s_add_nc_u64 s[8:9], s[6:7], s[8:9]
	s_clause 0x1
	global_store_b64 v4, v[0:1], s[8:9]
	global_store_b64 v4, v[2:3], s[4:5] offset:-8
	s_branch .LBB29_153
.LBB29_158:
	s_endpgm
	.section	.rodata,"a",@progbits
	.p2align	6, 0x0
	.amdhsa_kernel _ZN9rocsolver6v33100L12sterf_kernelIdEEviPT_lS3_lPiS4_iS2_S2_S2_
		.amdhsa_group_segment_fixed_size 0
		.amdhsa_private_segment_fixed_size 0
		.amdhsa_kernarg_size 88
		.amdhsa_user_sgpr_count 2
		.amdhsa_user_sgpr_dispatch_ptr 0
		.amdhsa_user_sgpr_queue_ptr 0
		.amdhsa_user_sgpr_kernarg_segment_ptr 1
		.amdhsa_user_sgpr_dispatch_id 0
		.amdhsa_user_sgpr_private_segment_size 0
		.amdhsa_wavefront_size32 1
		.amdhsa_uses_dynamic_stack 0
		.amdhsa_enable_private_segment 0
		.amdhsa_system_sgpr_workgroup_id_x 1
		.amdhsa_system_sgpr_workgroup_id_y 0
		.amdhsa_system_sgpr_workgroup_id_z 0
		.amdhsa_system_sgpr_workgroup_info 0
		.amdhsa_system_vgpr_workitem_id 0
		.amdhsa_next_free_vgpr 38
		.amdhsa_next_free_sgpr 61
		.amdhsa_reserve_vcc 1
		.amdhsa_float_round_mode_32 0
		.amdhsa_float_round_mode_16_64 0
		.amdhsa_float_denorm_mode_32 3
		.amdhsa_float_denorm_mode_16_64 3
		.amdhsa_fp16_overflow 0
		.amdhsa_workgroup_processor_mode 1
		.amdhsa_memory_ordered 1
		.amdhsa_forward_progress 1
		.amdhsa_inst_pref_size 81
		.amdhsa_round_robin_scheduling 0
		.amdhsa_exception_fp_ieee_invalid_op 0
		.amdhsa_exception_fp_denorm_src 0
		.amdhsa_exception_fp_ieee_div_zero 0
		.amdhsa_exception_fp_ieee_overflow 0
		.amdhsa_exception_fp_ieee_underflow 0
		.amdhsa_exception_fp_ieee_inexact 0
		.amdhsa_exception_int_div_zero 0
	.end_amdhsa_kernel
	.section	.text._ZN9rocsolver6v33100L12sterf_kernelIdEEviPT_lS3_lPiS4_iS2_S2_S2_,"axG",@progbits,_ZN9rocsolver6v33100L12sterf_kernelIdEEviPT_lS3_lPiS4_iS2_S2_S2_,comdat
.Lfunc_end29:
	.size	_ZN9rocsolver6v33100L12sterf_kernelIdEEviPT_lS3_lPiS4_iS2_S2_S2_, .Lfunc_end29-_ZN9rocsolver6v33100L12sterf_kernelIdEEviPT_lS3_lPiS4_iS2_S2_S2_
                                        ; -- End function
	.set _ZN9rocsolver6v33100L12sterf_kernelIdEEviPT_lS3_lPiS4_iS2_S2_S2_.num_vgpr, 38
	.set _ZN9rocsolver6v33100L12sterf_kernelIdEEviPT_lS3_lPiS4_iS2_S2_S2_.num_agpr, 0
	.set _ZN9rocsolver6v33100L12sterf_kernelIdEEviPT_lS3_lPiS4_iS2_S2_S2_.numbered_sgpr, 61
	.set _ZN9rocsolver6v33100L12sterf_kernelIdEEviPT_lS3_lPiS4_iS2_S2_S2_.num_named_barrier, 0
	.set _ZN9rocsolver6v33100L12sterf_kernelIdEEviPT_lS3_lPiS4_iS2_S2_S2_.private_seg_size, 0
	.set _ZN9rocsolver6v33100L12sterf_kernelIdEEviPT_lS3_lPiS4_iS2_S2_S2_.uses_vcc, 1
	.set _ZN9rocsolver6v33100L12sterf_kernelIdEEviPT_lS3_lPiS4_iS2_S2_S2_.uses_flat_scratch, 0
	.set _ZN9rocsolver6v33100L12sterf_kernelIdEEviPT_lS3_lPiS4_iS2_S2_S2_.has_dyn_sized_stack, 0
	.set _ZN9rocsolver6v33100L12sterf_kernelIdEEviPT_lS3_lPiS4_iS2_S2_S2_.has_recursion, 0
	.set _ZN9rocsolver6v33100L12sterf_kernelIdEEviPT_lS3_lPiS4_iS2_S2_S2_.has_indirect_call, 0
	.section	.AMDGPU.csdata,"",@progbits
; Kernel info:
; codeLenInByte = 10284
; TotalNumSgprs: 63
; NumVgprs: 38
; ScratchSize: 0
; MemoryBound: 0
; FloatMode: 240
; IeeeMode: 1
; LDSByteSize: 0 bytes/workgroup (compile time only)
; SGPRBlocks: 0
; VGPRBlocks: 4
; NumSGPRsForWavesPerEU: 63
; NumVGPRsForWavesPerEU: 38
; Occupancy: 16
; WaveLimiterHint : 0
; COMPUTE_PGM_RSRC2:SCRATCH_EN: 0
; COMPUTE_PGM_RSRC2:USER_SGPR: 2
; COMPUTE_PGM_RSRC2:TRAP_HANDLER: 0
; COMPUTE_PGM_RSRC2:TGID_X_EN: 1
; COMPUTE_PGM_RSRC2:TGID_Y_EN: 0
; COMPUTE_PGM_RSRC2:TGID_Z_EN: 0
; COMPUTE_PGM_RSRC2:TIDIG_COMP_CNT: 0
	.section	.text._ZN9rocsolver6v33100L11lasr_kernelIddPdiEEv13rocblas_side_14rocblas_pivot_15rocblas_direct_T2_S6_PT0_lS8_lT1_lS6_lS6_,"axG",@progbits,_ZN9rocsolver6v33100L11lasr_kernelIddPdiEEv13rocblas_side_14rocblas_pivot_15rocblas_direct_T2_S6_PT0_lS8_lT1_lS6_lS6_,comdat
	.globl	_ZN9rocsolver6v33100L11lasr_kernelIddPdiEEv13rocblas_side_14rocblas_pivot_15rocblas_direct_T2_S6_PT0_lS8_lT1_lS6_lS6_ ; -- Begin function _ZN9rocsolver6v33100L11lasr_kernelIddPdiEEv13rocblas_side_14rocblas_pivot_15rocblas_direct_T2_S6_PT0_lS8_lT1_lS6_lS6_
	.p2align	8
	.type	_ZN9rocsolver6v33100L11lasr_kernelIddPdiEEv13rocblas_side_14rocblas_pivot_15rocblas_direct_T2_S6_PT0_lS8_lT1_lS6_lS6_,@function
_ZN9rocsolver6v33100L11lasr_kernelIddPdiEEv13rocblas_side_14rocblas_pivot_15rocblas_direct_T2_S6_PT0_lS8_lT1_lS6_lS6_: ; @_ZN9rocsolver6v33100L11lasr_kernelIddPdiEEv13rocblas_side_14rocblas_pivot_15rocblas_direct_T2_S6_PT0_lS8_lT1_lS6_lS6_
; %bb.0:
	s_load_b32 s33, s[0:1], 0x58
	s_lshr_b32 s20, ttmp7, 16
	s_wait_kmcnt 0x0
	s_cmp_ge_u32 s20, s33
	s_cbranch_scc1 .LBB30_108
; %bb.1:
	s_clause 0x6
	s_load_b32 s22, s[0:1], 0x48
	s_load_b64 s[24:25], s[0:1], 0x68
	s_load_b128 s[16:19], s[0:1], 0x38
	s_load_b128 s[12:15], s[0:1], 0x0
	s_load_b32 s21, s[0:1], 0x60
	s_load_b32 s76, s[0:1], 0x10
	s_load_b256 s[4:11], s[0:1], 0x18
	v_mov_b32_e32 v36, 0
	s_wait_kmcnt 0x0
	s_ashr_i32 s23, s22, 31
	s_and_b32 s25, s25, 0xffff
	s_lshl_b64 s[2:3], s[18:19], 3
	s_cmp_eq_u32 s12, 0x8d
	v_mad_co_u64_u32 v[0:1], null, ttmp9, s25, v[0:1]
	s_cselect_b32 s28, -1, 0
	s_cmp_eq_u32 s12, 0x8e
	s_load_b64 s[18:19], s[0:1], 0x50
	s_cselect_b32 s29, -1, 0
	s_cmp_eq_u32 s13, 0x119
	s_mul_i32 s12, s21, s25
	s_cselect_b32 s30, -1, 0
	s_cmp_eq_u32 s13, 0x11b
	v_ashrrev_i32_e32 v1, 31, v0
	s_cselect_b32 s0, -1, 0
	s_cmp_eq_u32 s13, 0x11a
	v_mad_co_i64_i32 v[3:4], null, s22, v0, 0
	s_cselect_b32 s1, -1, 0
	s_cmp_eq_u32 s14, 0xab
	v_lshlrev_b64_e32 v[1:2], 3, v[0:1]
	s_cselect_b32 s13, -1, 0
	s_cmp_eq_u32 s14, 0xac
	s_add_nc_u64 s[26:27], s[16:17], s[2:3]
	s_cselect_b32 s21, -1, 0
	s_and_b32 s14, s28, s30
	s_wait_alu 0xfffe
	s_and_b32 s25, s28, s1
	s_and_b32 s28, s28, s0
	;; [unrolled: 1-line block ×5, first 2 shown]
	v_cmp_gt_i32_e64 s0, s15, v0
	s_and_b32 s31, s14, s13
	s_and_b32 s37, s28, s13
	s_and_b32 s28, s28, s21
	s_and_b32 s34, s14, s21
	s_xor_b32 s14, s31, -1
	s_and_b32 s31, s30, s13
	s_xor_b32 s80, s28, -1
	s_and_b32 s28, s30, s21
	s_wait_alu 0xfffe
	s_and_b32 s30, s1, s13
	s_and_b32 s1, s1, s21
	;; [unrolled: 1-line block ×4, first 2 shown]
	s_xor_b32 s82, s28, -1
	s_and_b32 s13, s29, s13
	s_wait_alu 0xfffe
	s_xor_b32 s84, s1, -1
	s_and_b32 s1, s21, s0
	s_add_co_i32 s28, s76, -1
	s_xor_b32 s25, s34, -1
	s_xor_b32 s77, s35, -1
	;; [unrolled: 1-line block ×7, first 2 shown]
	s_wait_alu 0xfffe
	s_and_b32 s86, s29, s1
	s_ashr_i32 s29, s28, 31
	s_add_co_i32 s38, s76, -2
	s_cmp_gt_i32 s76, 1
	s_mov_b32 s21, 0
	s_cselect_b32 s87, -1, 0
	s_ashr_i32 s35, s15, 31
	s_add_co_i32 s48, s15, -2
	s_cmp_gt_i32 s15, 1
	s_mov_b32 s39, s21
	s_cselect_b32 s88, -1, 0
	s_lshl_b64 s[40:41], s[38:39], 3
	s_mul_u64 s[38:39], s[22:23], s[38:39]
	s_mul_u64 s[30:31], s[22:23], s[28:29]
	s_lshl_b64 s[42:43], s[38:39], 3
	s_mov_b32 s29, s21
	s_add_nc_u64 s[36:37], s[4:5], s[40:41]
	s_add_nc_u64 s[38:39], s[8:9], s[40:41]
	s_add_nc_u64 s[40:41], s[42:43], s[2:3]
	s_mul_u64 s[50:51], s[22:23], s[28:29]
	s_add_nc_u64 s[40:41], s[16:17], s[40:41]
	s_lshl_b64 s[50:51], s[50:51], 3
	v_add_co_u32 v18, vcc_lo, s40, v1
	s_add_nc_u64 s[50:51], s[50:51], s[2:3]
	v_add_co_ci_u32_e64 v19, null, s41, v2, vcc_lo
	s_lshl_b64 s[44:45], s[22:23], 3
	v_add_co_u32 v20, vcc_lo, s26, v1
	s_add_nc_u64 s[50:51], s[16:17], s[50:51]
	s_wait_alu 0xfffd
	v_add_co_ci_u32_e64 v21, null, s27, v2, vcc_lo
	s_add_nc_u64 s[52:53], s[2:3], s[44:45]
	v_add_co_u32 v22, vcc_lo, s50, v1
	v_lshlrev_b64_e32 v[3:4], 3, v[3:4]
	s_wait_alu 0xfffd
	v_add_co_ci_u32_e64 v23, null, s51, v2, vcc_lo
	s_add_nc_u64 s[50:51], s[16:17], s[52:53]
	s_mov_b32 s49, s21
	s_wait_alu 0xfffe
	v_add_co_u32 v24, vcc_lo, s50, v1
	s_wait_alu 0xfffd
	v_add_co_ci_u32_e64 v25, null, s51, v2, vcc_lo
	v_add_co_u32 v1, vcc_lo, v3, s2
	s_lshl_b64 s[52:53], s[48:49], 3
	s_wait_alu 0xfffd
	v_add_co_ci_u32_e64 v2, null, s3, v4, vcc_lo
	s_add_nc_u64 s[2:3], s[16:17], s[52:53]
	s_add_co_i32 s48, s15, -1
	s_wait_alu 0xfffe
	v_add_co_u32 v26, vcc_lo, s2, v1
	s_wait_alu 0xfffd
	v_add_co_ci_u32_e64 v27, null, s3, v2, vcc_lo
	s_lshl_b64 s[54:55], s[48:49], 3
	v_add_co_u32 v28, vcc_lo, s16, v1
	s_wait_alu 0xfffd
	v_add_co_ci_u32_e64 v29, null, s17, v2, vcc_lo
	s_add_nc_u64 s[16:17], s[16:17], s[54:55]
	s_ashr_i32 s13, s12, 31
	s_wait_alu 0xfffe
	v_add_co_u32 v30, vcc_lo, s16, v1
	s_wait_alu 0xfffd
	v_add_co_ci_u32_e64 v31, null, s17, v2, vcc_lo
	v_add_co_u32 v32, vcc_lo, v28, 8
	s_wait_alu 0xfffd
	v_add_co_ci_u32_e64 v33, null, 0, v29, vcc_lo
	v_add_co_u32 v34, vcc_lo, v26, 8
	v_cmp_gt_i32_e64 s1, s76, v0
	s_wait_alu 0xfffd
	v_add_co_ci_u32_e64 v35, null, 0, v27, vcc_lo
	s_mul_u64 s[2:3], s[22:23], s[12:13]
	s_mov_b32 s34, s15
	s_lshl_b64 s[6:7], s[6:7], 3
	s_lshl_b64 s[10:11], s[10:11], 3
	s_wait_kmcnt 0x0
	s_lshl_b64 s[40:41], s[18:19], 3
	s_lshl_b64 s[42:43], s[12:13], 3
	s_sub_nc_u64 s[46:47], 0, s[44:45]
	s_add_co_i32 s29, s76, 1
	s_add_nc_u64 s[50:51], s[4:5], s[52:53]
	s_add_nc_u64 s[16:17], s[8:9], s[52:53]
	s_wait_alu 0xfffe
	s_lshl_b64 s[52:53], s[2:3], 3
	s_add_co_i32 s13, s15, 1
	s_branch .LBB30_4
.LBB30_2:                               ;   in Loop: Header=BB30_4 Depth=1
	s_wait_alu 0xfffe
	s_or_b32 exec_lo, exec_lo, s23
.LBB30_3:                               ;   in Loop: Header=BB30_4 Depth=1
	s_add_co_i32 s20, s20, s24
	s_delay_alu instid0(SALU_CYCLE_1)
	s_cmp_ge_u32 s20, s33
	s_cbranch_scc1 .LBB30_108
.LBB30_4:                               ; =>This Loop Header: Depth=1
                                        ;     Child Loop BB30_19 Depth 2
                                        ;       Child Loop BB30_20 Depth 3
                                        ;     Child Loop BB30_26 Depth 2
                                        ;       Child Loop BB30_27 Depth 3
	;; [unrolled: 2-line block ×12, first 2 shown]
	s_mul_u64 s[64:65], s[40:41], s[20:21]
	s_mul_u64 s[56:57], s[18:19], s[20:21]
	s_wait_alu 0xfffe
	v_add_co_u32 v1, vcc_lo, v32, s64
	s_wait_alu 0xfffd
	v_add_co_ci_u32_e64 v2, null, s65, v33, vcc_lo
	s_mul_u64 s[2:3], s[6:7], s[20:21]
	s_mul_u64 s[68:69], s[10:11], s[20:21]
	s_lshl_b64 s[58:59], s[56:57], 3
	s_wait_alu 0xfffe
	s_add_nc_u64 s[54:55], s[4:5], s[2:3]
	s_add_nc_u64 s[56:57], s[8:9], s[68:69]
	;; [unrolled: 1-line block ×3, first 2 shown]
	s_and_b32 vcc_lo, exec_lo, s14
	s_mov_b32 s23, -1
	s_wait_alu 0xfffe
	s_cbranch_vccnz .LBB30_6
; %bb.5:                                ;   in Loop: Header=BB30_4 Depth=1
	s_and_not1_b32 vcc_lo, exec_lo, s23
	s_wait_alu 0xfffe
	s_cbranch_vccnz .LBB30_3
	s_branch .LBB30_103
.LBB30_6:                               ;   in Loop: Header=BB30_4 Depth=1
	s_add_nc_u64 s[60:61], s[50:51], s[2:3]
	s_add_nc_u64 s[62:63], s[16:17], s[68:69]
	s_and_b32 vcc_lo, exec_lo, s25
	s_wait_alu 0xfffe
	s_cbranch_vccz .LBB30_95
; %bb.7:                                ;   in Loop: Header=BB30_4 Depth=1
	s_and_b32 vcc_lo, exec_lo, s77
	s_wait_alu 0xfffe
	s_cbranch_vccz .LBB30_87
; %bb.8:                                ;   in Loop: Header=BB30_4 Depth=1
	;; [unrolled: 4-line block ×3, first 2 shown]
	s_and_b32 vcc_lo, exec_lo, s79
	s_wait_alu 0xfffe
	s_cbranch_vccz .LBB30_71
; %bb.10:                               ;   in Loop: Header=BB30_4 Depth=1
	s_and_b32 vcc_lo, exec_lo, s80
	s_wait_alu 0xfffe
	s_cbranch_vccz .LBB30_63
; %bb.11:                               ;   in Loop: Header=BB30_4 Depth=1
	v_add_co_u32 v3, vcc_lo, v20, s64
	s_wait_alu 0xfffd
	v_add_co_ci_u32_e64 v4, null, s65, v21, vcc_lo
	s_and_b32 vcc_lo, exec_lo, s81
	s_wait_alu 0xfffe
	s_cbranch_vccz .LBB30_55
; %bb.12:                               ;   in Loop: Header=BB30_4 Depth=1
	v_add_co_u32 v5, vcc_lo, v22, s64
	s_wait_alu 0xfffd
	v_add_co_ci_u32_e64 v6, null, s65, v23, vcc_lo
	v_add_co_u32 v7, vcc_lo, v18, s64
	s_wait_alu 0xfffd
	v_add_co_ci_u32_e64 v8, null, s65, v19, vcc_lo
	s_add_nc_u64 s[66:67], s[36:37], s[2:3]
	s_add_nc_u64 s[68:69], s[38:39], s[68:69]
	s_and_b32 vcc_lo, exec_lo, s82
	s_mov_b32 s2, -1
	s_wait_alu 0xfffe
	s_cbranch_vccz .LBB30_46
; %bb.13:                               ;   in Loop: Header=BB30_4 Depth=1
	s_and_b32 vcc_lo, exec_lo, s83
	s_wait_alu 0xfffe
	s_cbranch_vccz .LBB30_38
; %bb.14:                               ;   in Loop: Header=BB30_4 Depth=1
	s_and_b32 vcc_lo, exec_lo, s84
	s_wait_alu 0xfffe
	s_cbranch_vccz .LBB30_30
; %bb.15:                               ;   in Loop: Header=BB30_4 Depth=1
	s_and_b32 vcc_lo, exec_lo, s85
	s_wait_alu 0xfffe
	s_cbranch_vccz .LBB30_22
; %bb.16:                               ;   in Loop: Header=BB30_4 Depth=1
	s_and_saveexec_b32 s23, s86
	s_cbranch_execz .LBB30_21
; %bb.17:                               ;   in Loop: Header=BB30_4 Depth=1
	v_dual_mov_b32 v10, v8 :: v_dual_mov_b32 v9, v7
	v_mov_b32_e32 v11, v0
	s_lshl_b64 s[2:3], s[30:31], 3
	s_mov_b32 s49, 0
	s_wait_alu 0xfffe
	s_add_nc_u64 s[70:71], s[58:59], s[2:3]
	s_branch .LBB30_19
.LBB30_18:                              ;   in Loop: Header=BB30_19 Depth=2
	v_add_nc_u32_e32 v11, s12, v11
	v_add_co_u32 v9, s2, v9, s42
	s_wait_alu 0xf1fe
	v_add_co_ci_u32_e64 v10, null, s43, v10, s2
	s_delay_alu instid0(VALU_DEP_3) | instskip(SKIP_3) | instid1(SALU_CYCLE_1)
	v_cmp_le_i32_e32 vcc_lo, s15, v11
	s_wait_loadcnt 0x0
	global_store_b64 v[12:13], v[14:15], off
	s_or_b32 s49, vcc_lo, s49
	s_and_not1_b32 exec_lo, exec_lo, s49
	s_cbranch_execz .LBB30_21
.LBB30_19:                              ;   Parent Loop BB30_4 Depth=1
                                        ; =>  This Loop Header: Depth=2
                                        ;       Child Loop BB30_20 Depth 3
	v_ashrrev_i32_e32 v12, 31, v11
	v_dual_mov_b32 v17, v10 :: v_dual_mov_b32 v16, v9
	s_mov_b64 s[2:3], s[68:69]
	s_mov_b64 s[72:73], s[66:67]
	s_delay_alu instid0(VALU_DEP_2) | instskip(SKIP_2) | instid1(VALU_DEP_1)
	v_lshlrev_b64_e32 v[12:13], 3, v[11:12]
	s_mov_b32 s74, s28
	s_wait_alu 0xfffe
	v_add_co_u32 v12, vcc_lo, s70, v12
	s_wait_alu 0xfffd
	s_delay_alu instid0(VALU_DEP_2)
	v_add_co_ci_u32_e64 v13, null, s71, v13, vcc_lo
	s_and_not1_b32 vcc_lo, exec_lo, s87
	global_load_b64 v[14:15], v[12:13], off
	s_wait_alu 0xfffe
	s_cbranch_vccnz .LBB30_18
.LBB30_20:                              ;   Parent Loop BB30_4 Depth=1
                                        ;     Parent Loop BB30_19 Depth=2
                                        ; =>    This Inner Loop Header: Depth=3
	global_load_b64 v[37:38], v[16:17], off
	s_clause 0x1
	global_load_b64 v[39:40], v36, s[72:73]
	global_load_b64 v[41:42], v36, s[2:3]
	s_add_co_i32 s74, s74, -1
	s_add_nc_u64 s[72:73], s[72:73], -8
	s_cmp_eq_u32 s74, 0
	s_wait_alu 0xfffe
	s_add_nc_u64 s[2:3], s[2:3], -8
	s_wait_loadcnt 0x1
	v_mul_f64_e32 v[43:44], v[39:40], v[37:38]
	s_wait_loadcnt 0x0
	v_mul_f64_e32 v[37:38], v[41:42], v[37:38]
	s_delay_alu instid0(VALU_DEP_2) | instskip(NEXT) | instid1(VALU_DEP_2)
	v_fma_f64 v[41:42], v[14:15], v[41:42], v[43:44]
	v_fma_f64 v[14:15], v[14:15], v[39:40], -v[37:38]
	global_store_b64 v[16:17], v[41:42], off
	v_add_co_u32 v16, vcc_lo, v16, s46
	s_wait_alu 0xfffd
	v_add_co_ci_u32_e64 v17, null, s47, v17, vcc_lo
	s_cbranch_scc0 .LBB30_20
	s_branch .LBB30_18
.LBB30_21:                              ;   in Loop: Header=BB30_4 Depth=1
	s_wait_alu 0xfffe
	s_or_b32 exec_lo, exec_lo, s23
	s_mov_b32 s2, 0
.LBB30_22:                              ;   in Loop: Header=BB30_4 Depth=1
	s_wait_alu 0xfffe
	s_and_not1_b32 vcc_lo, exec_lo, s2
	s_wait_alu 0xfffe
	s_cbranch_vccnz .LBB30_29
; %bb.23:                               ;   in Loop: Header=BB30_4 Depth=1
	s_and_saveexec_b32 s23, s0
	s_cbranch_execz .LBB30_28
; %bb.24:                               ;   in Loop: Header=BB30_4 Depth=1
	v_dual_mov_b32 v10, v4 :: v_dual_mov_b32 v9, v3
	v_mov_b32_e32 v11, v0
	s_lshl_b64 s[2:3], s[30:31], 3
	s_mov_b32 s49, 0
	s_wait_alu 0xfffe
	s_add_nc_u64 s[70:71], s[58:59], s[2:3]
	s_branch .LBB30_26
.LBB30_25:                              ;   in Loop: Header=BB30_26 Depth=2
	v_add_nc_u32_e32 v11, s12, v11
	v_add_co_u32 v9, s2, v9, s42
	s_wait_alu 0xf1fe
	v_add_co_ci_u32_e64 v10, null, s43, v10, s2
	s_delay_alu instid0(VALU_DEP_3) | instskip(SKIP_3) | instid1(SALU_CYCLE_1)
	v_cmp_le_i32_e32 vcc_lo, s15, v11
	s_wait_loadcnt 0x0
	global_store_b64 v[12:13], v[14:15], off
	s_or_b32 s49, vcc_lo, s49
	s_and_not1_b32 exec_lo, exec_lo, s49
	s_cbranch_execz .LBB30_28
.LBB30_26:                              ;   Parent Loop BB30_4 Depth=1
                                        ; =>  This Loop Header: Depth=2
                                        ;       Child Loop BB30_27 Depth 3
	v_ashrrev_i32_e32 v12, 31, v11
	v_dual_mov_b32 v17, v10 :: v_dual_mov_b32 v16, v9
	s_mov_b64 s[2:3], s[56:57]
	s_mov_b64 s[72:73], s[54:55]
	s_delay_alu instid0(VALU_DEP_2) | instskip(SKIP_2) | instid1(VALU_DEP_1)
	v_lshlrev_b64_e32 v[12:13], 3, v[11:12]
	s_mov_b32 s74, s28
	s_wait_alu 0xfffe
	v_add_co_u32 v12, vcc_lo, s70, v12
	s_wait_alu 0xfffd
	s_delay_alu instid0(VALU_DEP_2)
	v_add_co_ci_u32_e64 v13, null, s71, v13, vcc_lo
	s_and_not1_b32 vcc_lo, exec_lo, s87
	global_load_b64 v[14:15], v[12:13], off
	s_wait_alu 0xfffe
	s_cbranch_vccnz .LBB30_25
.LBB30_27:                              ;   Parent Loop BB30_4 Depth=1
                                        ;     Parent Loop BB30_26 Depth=2
                                        ; =>    This Inner Loop Header: Depth=3
	global_load_b64 v[37:38], v[16:17], off
	s_clause 0x1
	global_load_b64 v[39:40], v36, s[72:73]
	global_load_b64 v[41:42], v36, s[2:3]
	s_add_co_i32 s74, s74, -1
	s_add_nc_u64 s[72:73], s[72:73], 8
	s_cmp_eq_u32 s74, 0
	s_wait_alu 0xfffe
	s_add_nc_u64 s[2:3], s[2:3], 8
	s_wait_loadcnt 0x1
	v_mul_f64_e32 v[43:44], v[39:40], v[37:38]
	s_wait_loadcnt 0x0
	v_mul_f64_e32 v[37:38], v[41:42], v[37:38]
	s_delay_alu instid0(VALU_DEP_2) | instskip(NEXT) | instid1(VALU_DEP_2)
	v_fma_f64 v[41:42], v[14:15], v[41:42], v[43:44]
	v_fma_f64 v[14:15], v[14:15], v[39:40], -v[37:38]
	global_store_b64 v[16:17], v[41:42], off
	v_add_co_u32 v16, vcc_lo, v16, s44
	s_wait_alu 0xfffd
	v_add_co_ci_u32_e64 v17, null, s45, v17, vcc_lo
	s_cbranch_scc0 .LBB30_27
	s_branch .LBB30_25
.LBB30_28:                              ;   in Loop: Header=BB30_4 Depth=1
	s_wait_alu 0xfffe
	s_or_b32 exec_lo, exec_lo, s23
.LBB30_29:                              ;   in Loop: Header=BB30_4 Depth=1
	s_mov_b32 s2, 0
.LBB30_30:                              ;   in Loop: Header=BB30_4 Depth=1
	s_wait_alu 0xfffe
	s_and_not1_b32 vcc_lo, exec_lo, s2
	s_wait_alu 0xfffe
	s_cbranch_vccnz .LBB30_37
; %bb.31:                               ;   in Loop: Header=BB30_4 Depth=1
	s_and_saveexec_b32 s23, s0
	s_cbranch_execz .LBB30_36
; %bb.32:                               ;   in Loop: Header=BB30_4 Depth=1
	v_dual_mov_b32 v10, v6 :: v_dual_mov_b32 v9, v5
	v_mov_b32_e32 v11, v0
	s_mov_b32 s49, 0
	s_branch .LBB30_34
.LBB30_33:                              ;   in Loop: Header=BB30_34 Depth=2
	v_add_nc_u32_e32 v11, s12, v11
	v_add_co_u32 v9, s2, v9, s42
	s_wait_alu 0xf1fe
	v_add_co_ci_u32_e64 v10, null, s43, v10, s2
	s_delay_alu instid0(VALU_DEP_3) | instskip(SKIP_3) | instid1(SALU_CYCLE_1)
	v_cmp_le_i32_e32 vcc_lo, s15, v11
	s_wait_loadcnt 0x0
	global_store_b64 v[12:13], v[14:15], off
	s_or_b32 s49, vcc_lo, s49
	s_and_not1_b32 exec_lo, exec_lo, s49
	s_cbranch_execz .LBB30_36
.LBB30_34:                              ;   Parent Loop BB30_4 Depth=1
                                        ; =>  This Loop Header: Depth=2
                                        ;       Child Loop BB30_35 Depth 3
	s_delay_alu instid0(VALU_DEP_1) | instskip(SKIP_3) | instid1(VALU_DEP_2)
	v_ashrrev_i32_e32 v12, 31, v11
	v_dual_mov_b32 v17, v10 :: v_dual_mov_b32 v16, v9
	s_mov_b64 s[2:3], s[68:69]
	s_mov_b64 s[70:71], s[66:67]
	v_lshlrev_b64_e32 v[12:13], 3, v[11:12]
	s_mov_b32 s72, s29
	s_delay_alu instid0(VALU_DEP_1) | instskip(SKIP_1) | instid1(VALU_DEP_2)
	v_add_co_u32 v12, vcc_lo, s58, v12
	s_wait_alu 0xfffd
	v_add_co_ci_u32_e64 v13, null, s59, v13, vcc_lo
	s_and_not1_b32 vcc_lo, exec_lo, s87
	global_load_b64 v[14:15], v[12:13], off
	s_wait_alu 0xfffe
	s_cbranch_vccnz .LBB30_33
.LBB30_35:                              ;   Parent Loop BB30_4 Depth=1
                                        ;     Parent Loop BB30_34 Depth=2
                                        ; =>    This Inner Loop Header: Depth=3
	s_clause 0x1
	global_load_b64 v[37:38], v36, s[2:3]
	global_load_b64 v[39:40], v36, s[70:71]
	global_load_b64 v[41:42], v[16:17], off
	s_add_co_i32 s72, s72, -1
	s_wait_alu 0xfffe
	s_add_nc_u64 s[70:71], s[70:71], -8
	s_cmp_lt_u32 s72, 3
	s_add_nc_u64 s[2:3], s[2:3], -8
	s_wait_loadcnt 0x2
	v_mul_f64_e32 v[43:44], v[14:15], v[37:38]
	s_wait_loadcnt 0x0
	v_mul_f64_e32 v[37:38], v[37:38], v[41:42]
	s_delay_alu instid0(VALU_DEP_2) | instskip(NEXT) | instid1(VALU_DEP_2)
	v_fma_f64 v[41:42], v[39:40], v[41:42], -v[43:44]
	v_fma_f64 v[14:15], v[14:15], v[39:40], v[37:38]
	global_store_b64 v[16:17], v[41:42], off
	v_add_co_u32 v16, vcc_lo, v16, s46
	s_wait_alu 0xfffd
	v_add_co_ci_u32_e64 v17, null, s47, v17, vcc_lo
	s_cbranch_scc0 .LBB30_35
	s_branch .LBB30_33
.LBB30_36:                              ;   in Loop: Header=BB30_4 Depth=1
	s_wait_alu 0xfffe
	s_or_b32 exec_lo, exec_lo, s23
.LBB30_37:                              ;   in Loop: Header=BB30_4 Depth=1
	s_mov_b32 s2, 0
.LBB30_38:                              ;   in Loop: Header=BB30_4 Depth=1
	s_wait_alu 0xfffe
	s_and_not1_b32 vcc_lo, exec_lo, s2
	s_wait_alu 0xfffe
	s_cbranch_vccnz .LBB30_45
; %bb.39:                               ;   in Loop: Header=BB30_4 Depth=1
	s_and_saveexec_b32 s23, s0
	s_cbranch_execz .LBB30_44
; %bb.40:                               ;   in Loop: Header=BB30_4 Depth=1
	v_add_co_u32 v9, vcc_lo, v24, s64
	s_wait_alu 0xfffd
	v_add_co_ci_u32_e64 v10, null, s65, v25, vcc_lo
	v_mov_b32_e32 v11, v0
	s_mov_b32 s49, 0
	s_branch .LBB30_42
.LBB30_41:                              ;   in Loop: Header=BB30_42 Depth=2
	v_add_nc_u32_e32 v11, s12, v11
	v_add_co_u32 v9, s2, v9, s42
	s_wait_alu 0xf1fe
	v_add_co_ci_u32_e64 v10, null, s43, v10, s2
	s_delay_alu instid0(VALU_DEP_3) | instskip(SKIP_3) | instid1(SALU_CYCLE_1)
	v_cmp_le_i32_e32 vcc_lo, s15, v11
	s_wait_loadcnt 0x0
	global_store_b64 v[12:13], v[14:15], off
	s_or_b32 s49, vcc_lo, s49
	s_and_not1_b32 exec_lo, exec_lo, s49
	s_cbranch_execz .LBB30_44
.LBB30_42:                              ;   Parent Loop BB30_4 Depth=1
                                        ; =>  This Loop Header: Depth=2
                                        ;       Child Loop BB30_43 Depth 3
	s_delay_alu instid0(VALU_DEP_1) | instskip(SKIP_3) | instid1(VALU_DEP_2)
	v_ashrrev_i32_e32 v12, 31, v11
	v_dual_mov_b32 v17, v10 :: v_dual_mov_b32 v16, v9
	s_mov_b32 s72, s28
	s_mov_b64 s[2:3], s[54:55]
	v_lshlrev_b64_e32 v[12:13], 3, v[11:12]
	s_mov_b64 s[70:71], s[56:57]
	s_delay_alu instid0(VALU_DEP_1) | instskip(SKIP_1) | instid1(VALU_DEP_2)
	v_add_co_u32 v12, vcc_lo, s58, v12
	s_wait_alu 0xfffd
	v_add_co_ci_u32_e64 v13, null, s59, v13, vcc_lo
	s_and_not1_b32 vcc_lo, exec_lo, s87
	global_load_b64 v[14:15], v[12:13], off
	s_wait_alu 0xfffe
	s_cbranch_vccnz .LBB30_41
.LBB30_43:                              ;   Parent Loop BB30_4 Depth=1
                                        ;     Parent Loop BB30_42 Depth=2
                                        ; =>    This Inner Loop Header: Depth=3
	s_clause 0x1
	global_load_b64 v[37:38], v36, s[70:71]
	global_load_b64 v[39:40], v36, s[2:3]
	global_load_b64 v[41:42], v[16:17], off
	s_add_co_i32 s72, s72, -1
	s_wait_alu 0xfffe
	s_add_nc_u64 s[70:71], s[70:71], 8
	s_cmp_eq_u32 s72, 0
	s_add_nc_u64 s[2:3], s[2:3], 8
	s_wait_loadcnt 0x2
	v_mul_f64_e32 v[43:44], v[14:15], v[37:38]
	s_wait_loadcnt 0x0
	v_mul_f64_e32 v[37:38], v[37:38], v[41:42]
	s_delay_alu instid0(VALU_DEP_2) | instskip(NEXT) | instid1(VALU_DEP_2)
	v_fma_f64 v[41:42], v[39:40], v[41:42], -v[43:44]
	v_fma_f64 v[14:15], v[14:15], v[39:40], v[37:38]
	global_store_b64 v[16:17], v[41:42], off
	v_add_co_u32 v16, vcc_lo, v16, s44
	s_wait_alu 0xfffd
	v_add_co_ci_u32_e64 v17, null, s45, v17, vcc_lo
	s_cbranch_scc0 .LBB30_43
	s_branch .LBB30_41
.LBB30_44:                              ;   in Loop: Header=BB30_4 Depth=1
	s_wait_alu 0xfffe
	s_or_b32 exec_lo, exec_lo, s23
.LBB30_45:                              ;   in Loop: Header=BB30_4 Depth=1
	s_mov_b32 s2, 0
.LBB30_46:                              ;   in Loop: Header=BB30_4 Depth=1
	s_wait_alu 0xfffe
	s_and_not1_b32 vcc_lo, exec_lo, s2
	s_wait_alu 0xfffe
	s_cbranch_vccnz .LBB30_54
; %bb.47:                               ;   in Loop: Header=BB30_4 Depth=1
	s_and_saveexec_b32 s23, s0
	s_cbranch_execz .LBB30_53
; %bb.48:                               ;   in Loop: Header=BB30_4 Depth=1
	v_mov_b32_e32 v9, v0
	s_lshl_b64 s[2:3], s[30:31], 3
	s_mov_b32 s49, 0
	s_wait_alu 0xfffe
	s_add_nc_u64 s[70:71], s[58:59], s[2:3]
	s_branch .LBB30_50
.LBB30_49:                              ;   in Loop: Header=BB30_50 Depth=2
	v_add_nc_u32_e32 v9, s12, v9
	v_add_co_u32 v12, vcc_lo, s58, v12
	s_wait_alu 0xfffd
	v_add_co_ci_u32_e64 v13, null, s59, v13, vcc_lo
	v_add_co_u32 v5, vcc_lo, v5, s42
	s_wait_alu 0xfffd
	v_add_co_ci_u32_e64 v6, null, s43, v6, vcc_lo
	v_cmp_le_i32_e32 vcc_lo, s15, v9
	v_add_co_u32 v7, s2, v7, s42
	s_wait_alu 0xf1fe
	v_add_co_ci_u32_e64 v8, null, s43, v8, s2
	s_or_b32 s49, vcc_lo, s49
	s_wait_loadcnt 0x0
	global_store_b64 v[12:13], v[10:11], off
	s_and_not1_b32 exec_lo, exec_lo, s49
	s_cbranch_execz .LBB30_53
.LBB30_50:                              ;   Parent Loop BB30_4 Depth=1
                                        ; =>  This Loop Header: Depth=2
                                        ;       Child Loop BB30_52 Depth 3
	v_ashrrev_i32_e32 v10, 31, v9
	s_delay_alu instid0(VALU_DEP_1) | instskip(SKIP_1) | instid1(VALU_DEP_1)
	v_lshlrev_b64_e32 v[12:13], 3, v[9:10]
	s_wait_alu 0xfffe
	v_add_co_u32 v10, vcc_lo, s70, v12
	s_wait_alu 0xfffd
	s_delay_alu instid0(VALU_DEP_2)
	v_add_co_ci_u32_e64 v11, null, s71, v13, vcc_lo
	s_and_not1_b32 vcc_lo, exec_lo, s87
	global_load_b64 v[10:11], v[10:11], off
	s_wait_alu 0xfffe
	s_cbranch_vccnz .LBB30_49
; %bb.51:                               ;   in Loop: Header=BB30_50 Depth=2
	s_mov_b64 s[2:3], 0
	s_mov_b64 s[72:73], s[68:69]
	;; [unrolled: 1-line block ×3, first 2 shown]
	s_mov_b32 s89, s28
.LBB30_52:                              ;   Parent Loop BB30_4 Depth=1
                                        ;     Parent Loop BB30_50 Depth=2
                                        ; =>    This Inner Loop Header: Depth=3
	s_wait_alu 0xfffe
	v_add_co_u32 v14, vcc_lo, v7, s2
	s_wait_alu 0xfffd
	v_add_co_ci_u32_e64 v15, null, s3, v8, vcc_lo
	s_add_co_i32 s89, s89, -1
	s_clause 0x1
	global_load_b64 v[16:17], v36, s[74:75]
	global_load_b64 v[37:38], v36, s[72:73]
	global_load_b64 v[14:15], v[14:15], off
	s_add_nc_u64 s[74:75], s[74:75], -8
	s_cmp_eq_u32 s89, 0
	s_add_nc_u64 s[72:73], s[72:73], -8
	s_wait_loadcnt 0x0
	v_mul_f64_e32 v[39:40], v[37:38], v[14:15]
	v_mul_f64_e32 v[14:15], v[16:17], v[14:15]
	s_delay_alu instid0(VALU_DEP_2) | instskip(NEXT) | instid1(VALU_DEP_2)
	v_fma_f64 v[16:17], v[10:11], v[16:17], -v[39:40]
	v_fma_f64 v[10:11], v[10:11], v[37:38], v[14:15]
	v_add_co_u32 v14, vcc_lo, v5, s2
	s_wait_alu 0xfffd
	v_add_co_ci_u32_e64 v15, null, s3, v6, vcc_lo
	s_sub_nc_u64 s[2:3], s[2:3], s[44:45]
	global_store_b64 v[14:15], v[16:17], off
	s_cbranch_scc0 .LBB30_52
	s_branch .LBB30_49
.LBB30_53:                              ;   in Loop: Header=BB30_4 Depth=1
	s_wait_alu 0xfffe
	s_or_b32 exec_lo, exec_lo, s23
.LBB30_54:                              ;   in Loop: Header=BB30_4 Depth=1
	s_mov_b32 s23, 0
.LBB30_55:                              ;   in Loop: Header=BB30_4 Depth=1
	s_wait_alu 0xfffe
	s_and_not1_b32 vcc_lo, exec_lo, s23
	s_wait_alu 0xfffe
	s_cbranch_vccnz .LBB30_62
; %bb.56:                               ;   in Loop: Header=BB30_4 Depth=1
	s_and_saveexec_b32 s23, s0
	s_cbranch_execz .LBB30_61
; %bb.57:                               ;   in Loop: Header=BB30_4 Depth=1
	v_mov_b32_e32 v5, v0
	s_lshl_b64 s[2:3], s[30:31], 3
	s_mov_b32 s49, 0
	s_wait_alu 0xfffe
	s_add_nc_u64 s[66:67], s[58:59], s[2:3]
	s_branch .LBB30_59
.LBB30_58:                              ;   in Loop: Header=BB30_59 Depth=2
	v_add_nc_u32_e32 v5, s12, v5
	v_add_co_u32 v8, vcc_lo, s66, v8
	s_wait_alu 0xfffd
	v_add_co_ci_u32_e64 v9, null, s67, v9, vcc_lo
	s_delay_alu instid0(VALU_DEP_3)
	v_cmp_le_i32_e32 vcc_lo, s15, v5
	v_add_co_u32 v3, s2, v3, s42
	s_wait_alu 0xf1fe
	v_add_co_ci_u32_e64 v4, null, s43, v4, s2
	s_or_b32 s49, vcc_lo, s49
	s_wait_loadcnt 0x0
	global_store_b64 v[8:9], v[6:7], off
	s_and_not1_b32 exec_lo, exec_lo, s49
	s_cbranch_execz .LBB30_61
.LBB30_59:                              ;   Parent Loop BB30_4 Depth=1
                                        ; =>  This Loop Header: Depth=2
                                        ;       Child Loop BB30_60 Depth 3
	v_ashrrev_i32_e32 v6, 31, v5
	v_dual_mov_b32 v11, v4 :: v_dual_mov_b32 v10, v3
	s_mov_b64 s[2:3], s[56:57]
	s_mov_b64 s[68:69], s[54:55]
	s_delay_alu instid0(VALU_DEP_2) | instskip(SKIP_1) | instid1(VALU_DEP_1)
	v_lshlrev_b64_e32 v[8:9], 3, v[5:6]
	s_mov_b32 s70, s28
	v_add_co_u32 v6, vcc_lo, s58, v8
	s_wait_alu 0xfffd
	s_delay_alu instid0(VALU_DEP_2)
	v_add_co_ci_u32_e64 v7, null, s59, v9, vcc_lo
	s_and_not1_b32 vcc_lo, exec_lo, s87
	global_load_b64 v[6:7], v[6:7], off
	s_wait_alu 0xfffe
	s_cbranch_vccnz .LBB30_58
.LBB30_60:                              ;   Parent Loop BB30_4 Depth=1
                                        ;     Parent Loop BB30_59 Depth=2
                                        ; =>    This Inner Loop Header: Depth=3
	s_delay_alu instid0(VALU_DEP_1)
	v_add_co_u32 v12, vcc_lo, v10, s44
	s_wait_alu 0xfffd
	v_add_co_ci_u32_e64 v13, null, s45, v11, vcc_lo
	s_add_co_i32 s70, s70, -1
	global_load_b64 v[14:15], v[12:13], off
	s_clause 0x1
	global_load_b64 v[16:17], v36, s[2:3]
	global_load_b64 v[37:38], v36, s[68:69]
	s_add_nc_u64 s[68:69], s[68:69], 8
	s_wait_alu 0xfffe
	s_cmp_eq_u32 s70, 0
	s_add_nc_u64 s[2:3], s[2:3], 8
	s_wait_loadcnt 0x1
	v_mul_f64_e32 v[39:40], v[16:17], v[14:15]
	v_mul_f64_e32 v[16:17], v[6:7], v[16:17]
	s_wait_loadcnt 0x0
	s_delay_alu instid0(VALU_DEP_2) | instskip(NEXT) | instid1(VALU_DEP_2)
	v_fma_f64 v[39:40], v[6:7], v[37:38], v[39:40]
	v_fma_f64 v[6:7], v[37:38], v[14:15], -v[16:17]
	global_store_b64 v[10:11], v[39:40], off
	v_dual_mov_b32 v10, v12 :: v_dual_mov_b32 v11, v13
	s_cbranch_scc0 .LBB30_60
	s_branch .LBB30_58
.LBB30_61:                              ;   in Loop: Header=BB30_4 Depth=1
	s_wait_alu 0xfffe
	s_or_b32 exec_lo, exec_lo, s23
.LBB30_62:                              ;   in Loop: Header=BB30_4 Depth=1
	s_mov_b32 s23, 0
.LBB30_63:                              ;   in Loop: Header=BB30_4 Depth=1
	s_wait_alu 0xfffe
	s_and_not1_b32 vcc_lo, exec_lo, s23
	s_wait_alu 0xfffe
	s_cbranch_vccnz .LBB30_70
; %bb.64:                               ;   in Loop: Header=BB30_4 Depth=1
	s_and_saveexec_b32 s23, s1
	s_cbranch_execz .LBB30_69
; %bb.65:                               ;   in Loop: Header=BB30_4 Depth=1
	v_add_co_u32 v3, vcc_lo, v26, s64
	s_wait_alu 0xfffd
	v_add_co_ci_u32_e64 v4, null, s65, v27, vcc_lo
	v_mov_b32_e32 v11, v0
	s_lshl_b64 s[2:3], s[34:35], 3
	s_mov_b32 s49, 0
	s_wait_alu 0xfffe
	s_add_nc_u64 s[66:67], s[58:59], s[2:3]
	s_branch .LBB30_67
.LBB30_66:                              ;   in Loop: Header=BB30_67 Depth=2
	v_add_nc_u32_e32 v11, s12, v11
	v_add_co_u32 v3, s2, v3, s52
	s_wait_alu 0xf1fe
	v_add_co_ci_u32_e64 v4, null, s53, v4, s2
	s_delay_alu instid0(VALU_DEP_3) | instskip(SKIP_3) | instid1(SALU_CYCLE_1)
	v_cmp_le_i32_e32 vcc_lo, s76, v11
	s_wait_loadcnt 0x0
	global_store_b64 v[5:6], v[7:8], off offset:-8
	s_or_b32 s49, vcc_lo, s49
	s_and_not1_b32 exec_lo, exec_lo, s49
	s_cbranch_execz .LBB30_69
.LBB30_67:                              ;   Parent Loop BB30_4 Depth=1
                                        ; =>  This Loop Header: Depth=2
                                        ;       Child Loop BB30_68 Depth 3
	v_mad_co_i64_i32 v[5:6], null, v11, s22, 0
	v_dual_mov_b32 v10, v4 :: v_dual_mov_b32 v9, v3
	s_mov_b64 s[2:3], s[62:63]
	s_mov_b64 s[68:69], s[60:61]
	s_mov_b32 s70, s48
	s_delay_alu instid0(VALU_DEP_2) | instskip(SKIP_1) | instid1(VALU_DEP_1)
	v_lshlrev_b64_e32 v[5:6], 3, v[5:6]
	s_wait_alu 0xfffe
	v_add_co_u32 v5, vcc_lo, s66, v5
	s_wait_alu 0xfffd
	s_delay_alu instid0(VALU_DEP_2)
	v_add_co_ci_u32_e64 v6, null, s67, v6, vcc_lo
	s_and_not1_b32 vcc_lo, exec_lo, s88
	global_load_b64 v[7:8], v[5:6], off offset:-8
	s_wait_alu 0xfffe
	s_cbranch_vccnz .LBB30_66
.LBB30_68:                              ;   Parent Loop BB30_4 Depth=1
                                        ;     Parent Loop BB30_67 Depth=2
                                        ; =>    This Inner Loop Header: Depth=3
	global_load_b64 v[12:13], v[9:10], off
	s_clause 0x1
	global_load_b64 v[14:15], v36, s[68:69]
	global_load_b64 v[16:17], v36, s[2:3]
	s_add_co_i32 s70, s70, -1
	s_add_nc_u64 s[68:69], s[68:69], -8
	s_wait_alu 0xfffe
	s_cmp_eq_u32 s70, 0
	s_add_nc_u64 s[2:3], s[2:3], -8
	s_wait_loadcnt 0x1
	v_mul_f64_e32 v[37:38], v[14:15], v[12:13]
	s_wait_loadcnt 0x0
	v_mul_f64_e32 v[12:13], v[16:17], v[12:13]
	s_delay_alu instid0(VALU_DEP_2) | instskip(NEXT) | instid1(VALU_DEP_2)
	v_fma_f64 v[16:17], v[7:8], v[16:17], v[37:38]
	v_fma_f64 v[7:8], v[7:8], v[14:15], -v[12:13]
	global_store_b64 v[9:10], v[16:17], off
	v_add_co_u32 v9, vcc_lo, v9, -8
	s_wait_alu 0xfffd
	v_add_co_ci_u32_e64 v10, null, -1, v10, vcc_lo
	s_cbranch_scc0 .LBB30_68
	s_branch .LBB30_66
.LBB30_69:                              ;   in Loop: Header=BB30_4 Depth=1
	s_wait_alu 0xfffe
	s_or_b32 exec_lo, exec_lo, s23
.LBB30_70:                              ;   in Loop: Header=BB30_4 Depth=1
	s_mov_b32 s23, 0
.LBB30_71:                              ;   in Loop: Header=BB30_4 Depth=1
	s_wait_alu 0xfffe
	s_and_not1_b32 vcc_lo, exec_lo, s23
	s_wait_alu 0xfffe
	s_cbranch_vccnz .LBB30_78
; %bb.72:                               ;   in Loop: Header=BB30_4 Depth=1
	s_and_saveexec_b32 s23, s1
	s_cbranch_execz .LBB30_77
; %bb.73:                               ;   in Loop: Header=BB30_4 Depth=1
	v_add_co_u32 v3, vcc_lo, v28, s64
	s_wait_alu 0xfffd
	v_add_co_ci_u32_e64 v4, null, s65, v29, vcc_lo
	v_mov_b32_e32 v11, v0
	s_lshl_b64 s[2:3], s[34:35], 3
	s_mov_b32 s49, 0
	s_wait_alu 0xfffe
	s_add_nc_u64 s[66:67], s[58:59], s[2:3]
	s_branch .LBB30_75
.LBB30_74:                              ;   in Loop: Header=BB30_75 Depth=2
	v_add_nc_u32_e32 v11, s12, v11
	v_add_co_u32 v3, s2, v3, s52
	s_wait_alu 0xf1fe
	v_add_co_ci_u32_e64 v4, null, s53, v4, s2
	s_delay_alu instid0(VALU_DEP_3) | instskip(SKIP_3) | instid1(SALU_CYCLE_1)
	v_cmp_le_i32_e32 vcc_lo, s76, v11
	s_wait_loadcnt 0x0
	global_store_b64 v[5:6], v[7:8], off offset:-8
	s_or_b32 s49, vcc_lo, s49
	s_and_not1_b32 exec_lo, exec_lo, s49
	s_cbranch_execz .LBB30_77
.LBB30_75:                              ;   Parent Loop BB30_4 Depth=1
                                        ; =>  This Loop Header: Depth=2
                                        ;       Child Loop BB30_76 Depth 3
	v_mad_co_i64_i32 v[5:6], null, v11, s22, 0
	v_dual_mov_b32 v10, v4 :: v_dual_mov_b32 v9, v3
	s_mov_b64 s[2:3], s[56:57]
	s_mov_b64 s[68:69], s[54:55]
	s_mov_b32 s70, s48
	s_delay_alu instid0(VALU_DEP_2) | instskip(SKIP_1) | instid1(VALU_DEP_1)
	v_lshlrev_b64_e32 v[5:6], 3, v[5:6]
	s_wait_alu 0xfffe
	v_add_co_u32 v5, vcc_lo, s66, v5
	s_wait_alu 0xfffd
	s_delay_alu instid0(VALU_DEP_2)
	v_add_co_ci_u32_e64 v6, null, s67, v6, vcc_lo
	s_and_not1_b32 vcc_lo, exec_lo, s88
	global_load_b64 v[7:8], v[5:6], off offset:-8
	s_wait_alu 0xfffe
	s_cbranch_vccnz .LBB30_74
.LBB30_76:                              ;   Parent Loop BB30_4 Depth=1
                                        ;     Parent Loop BB30_75 Depth=2
                                        ; =>    This Inner Loop Header: Depth=3
	global_load_b64 v[12:13], v[9:10], off
	s_clause 0x1
	global_load_b64 v[14:15], v36, s[68:69]
	global_load_b64 v[16:17], v36, s[2:3]
	s_add_co_i32 s70, s70, -1
	s_add_nc_u64 s[68:69], s[68:69], 8
	s_wait_alu 0xfffe
	s_cmp_eq_u32 s70, 0
	s_add_nc_u64 s[2:3], s[2:3], 8
	s_wait_loadcnt 0x1
	v_mul_f64_e32 v[37:38], v[14:15], v[12:13]
	s_wait_loadcnt 0x0
	v_mul_f64_e32 v[12:13], v[16:17], v[12:13]
	s_delay_alu instid0(VALU_DEP_2) | instskip(NEXT) | instid1(VALU_DEP_2)
	v_fma_f64 v[16:17], v[7:8], v[16:17], v[37:38]
	v_fma_f64 v[7:8], v[7:8], v[14:15], -v[12:13]
	global_store_b64 v[9:10], v[16:17], off
	v_add_co_u32 v9, vcc_lo, v9, 8
	s_wait_alu 0xfffd
	v_add_co_ci_u32_e64 v10, null, 0, v10, vcc_lo
	s_cbranch_scc0 .LBB30_76
	s_branch .LBB30_74
.LBB30_77:                              ;   in Loop: Header=BB30_4 Depth=1
	s_wait_alu 0xfffe
	s_or_b32 exec_lo, exec_lo, s23
.LBB30_78:                              ;   in Loop: Header=BB30_4 Depth=1
	s_mov_b32 s23, 0
.LBB30_79:                              ;   in Loop: Header=BB30_4 Depth=1
	s_wait_alu 0xfffe
	s_and_not1_b32 vcc_lo, exec_lo, s23
	s_wait_alu 0xfffe
	s_cbranch_vccnz .LBB30_86
; %bb.80:                               ;   in Loop: Header=BB30_4 Depth=1
	s_and_saveexec_b32 s23, s1
	s_cbranch_execz .LBB30_85
; %bb.81:                               ;   in Loop: Header=BB30_4 Depth=1
	v_add_co_u32 v3, vcc_lo, v30, s64
	s_wait_alu 0xfffd
	v_add_co_ci_u32_e64 v4, null, s65, v31, vcc_lo
	v_mov_b32_e32 v11, v0
	s_mov_b32 s49, 0
	s_branch .LBB30_83
.LBB30_82:                              ;   in Loop: Header=BB30_83 Depth=2
	v_add_nc_u32_e32 v11, s12, v11
	v_add_co_u32 v3, s2, v3, s52
	s_wait_alu 0xf1fe
	v_add_co_ci_u32_e64 v4, null, s53, v4, s2
	s_delay_alu instid0(VALU_DEP_3) | instskip(SKIP_3) | instid1(SALU_CYCLE_1)
	v_cmp_le_i32_e32 vcc_lo, s76, v11
	s_wait_loadcnt 0x0
	global_store_b64 v[5:6], v[7:8], off
	s_or_b32 s49, vcc_lo, s49
	s_and_not1_b32 exec_lo, exec_lo, s49
	s_cbranch_execz .LBB30_85
.LBB30_83:                              ;   Parent Loop BB30_4 Depth=1
                                        ; =>  This Loop Header: Depth=2
                                        ;       Child Loop BB30_84 Depth 3
	s_delay_alu instid0(VALU_DEP_1) | instskip(SKIP_4) | instid1(VALU_DEP_2)
	v_mad_co_i64_i32 v[5:6], null, v11, s22, 0
	v_dual_mov_b32 v10, v4 :: v_dual_mov_b32 v9, v3
	s_mov_b64 s[2:3], s[62:63]
	s_mov_b64 s[66:67], s[60:61]
	s_mov_b32 s68, s13
	v_lshlrev_b64_e32 v[5:6], 3, v[5:6]
	s_delay_alu instid0(VALU_DEP_1) | instskip(SKIP_1) | instid1(VALU_DEP_2)
	v_add_co_u32 v5, vcc_lo, s58, v5
	s_wait_alu 0xfffd
	v_add_co_ci_u32_e64 v6, null, s59, v6, vcc_lo
	s_and_not1_b32 vcc_lo, exec_lo, s88
	global_load_b64 v[7:8], v[5:6], off
	s_wait_alu 0xfffe
	s_cbranch_vccnz .LBB30_82
.LBB30_84:                              ;   Parent Loop BB30_4 Depth=1
                                        ;     Parent Loop BB30_83 Depth=2
                                        ; =>    This Inner Loop Header: Depth=3
	s_clause 0x1
	global_load_b64 v[12:13], v36, s[2:3]
	global_load_b64 v[14:15], v36, s[66:67]
	global_load_b64 v[16:17], v[9:10], off
	s_add_co_i32 s68, s68, -1
	s_wait_alu 0xfffe
	s_add_nc_u64 s[66:67], s[66:67], -8
	s_cmp_lt_u32 s68, 3
	s_add_nc_u64 s[2:3], s[2:3], -8
	s_wait_loadcnt 0x2
	v_mul_f64_e32 v[37:38], v[7:8], v[12:13]
	s_wait_loadcnt 0x0
	v_mul_f64_e32 v[12:13], v[12:13], v[16:17]
	s_delay_alu instid0(VALU_DEP_2) | instskip(NEXT) | instid1(VALU_DEP_2)
	v_fma_f64 v[16:17], v[14:15], v[16:17], -v[37:38]
	v_fma_f64 v[7:8], v[7:8], v[14:15], v[12:13]
	global_store_b64 v[9:10], v[16:17], off
	v_add_co_u32 v9, vcc_lo, v9, -8
	s_wait_alu 0xfffd
	v_add_co_ci_u32_e64 v10, null, -1, v10, vcc_lo
	s_cbranch_scc0 .LBB30_84
	s_branch .LBB30_82
.LBB30_85:                              ;   in Loop: Header=BB30_4 Depth=1
	s_wait_alu 0xfffe
	s_or_b32 exec_lo, exec_lo, s23
.LBB30_86:                              ;   in Loop: Header=BB30_4 Depth=1
	s_mov_b32 s23, 0
.LBB30_87:                              ;   in Loop: Header=BB30_4 Depth=1
	s_wait_alu 0xfffe
	s_and_not1_b32 vcc_lo, exec_lo, s23
	s_wait_alu 0xfffe
	s_cbranch_vccnz .LBB30_94
; %bb.88:                               ;   in Loop: Header=BB30_4 Depth=1
	s_and_saveexec_b32 s23, s1
	s_cbranch_execz .LBB30_93
; %bb.89:                               ;   in Loop: Header=BB30_4 Depth=1
	v_dual_mov_b32 v4, v2 :: v_dual_mov_b32 v3, v1
	v_mov_b32_e32 v11, v0
	s_mov_b32 s49, 0
	s_branch .LBB30_91
.LBB30_90:                              ;   in Loop: Header=BB30_91 Depth=2
	v_add_nc_u32_e32 v11, s12, v11
	v_add_co_u32 v3, s2, v3, s52
	s_wait_alu 0xf1fe
	v_add_co_ci_u32_e64 v4, null, s53, v4, s2
	s_delay_alu instid0(VALU_DEP_3) | instskip(SKIP_3) | instid1(SALU_CYCLE_1)
	v_cmp_le_i32_e32 vcc_lo, s76, v11
	s_wait_loadcnt 0x0
	global_store_b64 v[5:6], v[7:8], off
	s_or_b32 s49, vcc_lo, s49
	s_and_not1_b32 exec_lo, exec_lo, s49
	s_cbranch_execz .LBB30_93
.LBB30_91:                              ;   Parent Loop BB30_4 Depth=1
                                        ; =>  This Loop Header: Depth=2
                                        ;       Child Loop BB30_92 Depth 3
	s_delay_alu instid0(VALU_DEP_1) | instskip(SKIP_4) | instid1(VALU_DEP_2)
	v_mad_co_i64_i32 v[5:6], null, v11, s22, 0
	v_dual_mov_b32 v10, v4 :: v_dual_mov_b32 v9, v3
	s_mov_b32 s68, s48
	s_mov_b64 s[2:3], s[54:55]
	s_mov_b64 s[66:67], s[56:57]
	v_lshlrev_b64_e32 v[5:6], 3, v[5:6]
	s_delay_alu instid0(VALU_DEP_1) | instskip(SKIP_1) | instid1(VALU_DEP_2)
	v_add_co_u32 v5, vcc_lo, s58, v5
	s_wait_alu 0xfffd
	v_add_co_ci_u32_e64 v6, null, s59, v6, vcc_lo
	s_and_not1_b32 vcc_lo, exec_lo, s88
	global_load_b64 v[7:8], v[5:6], off
	s_wait_alu 0xfffe
	s_cbranch_vccnz .LBB30_90
.LBB30_92:                              ;   Parent Loop BB30_4 Depth=1
                                        ;     Parent Loop BB30_91 Depth=2
                                        ; =>    This Inner Loop Header: Depth=3
	s_clause 0x1
	global_load_b64 v[12:13], v36, s[66:67]
	global_load_b64 v[14:15], v36, s[2:3]
	global_load_b64 v[16:17], v[9:10], off
	s_add_co_i32 s68, s68, -1
	s_wait_alu 0xfffe
	s_add_nc_u64 s[66:67], s[66:67], 8
	s_cmp_eq_u32 s68, 0
	s_add_nc_u64 s[2:3], s[2:3], 8
	s_wait_loadcnt 0x2
	v_mul_f64_e32 v[37:38], v[7:8], v[12:13]
	s_wait_loadcnt 0x0
	v_mul_f64_e32 v[12:13], v[12:13], v[16:17]
	s_delay_alu instid0(VALU_DEP_2) | instskip(NEXT) | instid1(VALU_DEP_2)
	v_fma_f64 v[16:17], v[14:15], v[16:17], -v[37:38]
	v_fma_f64 v[7:8], v[7:8], v[14:15], v[12:13]
	global_store_b64 v[9:10], v[16:17], off
	v_add_co_u32 v9, vcc_lo, v9, 8
	s_wait_alu 0xfffd
	v_add_co_ci_u32_e64 v10, null, 0, v10, vcc_lo
	s_cbranch_scc0 .LBB30_92
	s_branch .LBB30_90
.LBB30_93:                              ;   in Loop: Header=BB30_4 Depth=1
	s_wait_alu 0xfffe
	s_or_b32 exec_lo, exec_lo, s23
.LBB30_94:                              ;   in Loop: Header=BB30_4 Depth=1
	s_mov_b32 s23, 0
.LBB30_95:                              ;   in Loop: Header=BB30_4 Depth=1
	s_wait_alu 0xfffe
	s_and_not1_b32 vcc_lo, exec_lo, s23
	s_wait_alu 0xfffe
	s_cbranch_vccnz .LBB30_102
; %bb.96:                               ;   in Loop: Header=BB30_4 Depth=1
	s_and_saveexec_b32 s23, s1
	s_cbranch_execz .LBB30_101
; %bb.97:                               ;   in Loop: Header=BB30_4 Depth=1
	v_add_co_u32 v3, vcc_lo, v34, s64
	s_wait_alu 0xfffd
	v_add_co_ci_u32_e64 v4, null, s65, v35, vcc_lo
	v_mov_b32_e32 v11, v0
	s_lshl_b64 s[2:3], s[34:35], 3
	s_mov_b32 s49, 0
	s_wait_alu 0xfffe
	s_add_nc_u64 s[64:65], s[58:59], s[2:3]
	s_branch .LBB30_99
.LBB30_98:                              ;   in Loop: Header=BB30_99 Depth=2
	v_add_nc_u32_e32 v11, s12, v11
	v_add_co_u32 v7, vcc_lo, s58, v7
	s_wait_alu 0xfffd
	v_add_co_ci_u32_e64 v8, null, s59, v8, vcc_lo
	s_delay_alu instid0(VALU_DEP_3)
	v_cmp_le_i32_e32 vcc_lo, s76, v11
	v_add_co_u32 v3, s2, v3, s52
	s_wait_alu 0xf1fe
	v_add_co_ci_u32_e64 v4, null, s53, v4, s2
	s_or_b32 s49, vcc_lo, s49
	s_wait_loadcnt 0x0
	global_store_b64 v[7:8], v[5:6], off
	s_and_not1_b32 exec_lo, exec_lo, s49
	s_cbranch_execz .LBB30_101
.LBB30_99:                              ;   Parent Loop BB30_4 Depth=1
                                        ; =>  This Loop Header: Depth=2
                                        ;       Child Loop BB30_100 Depth 3
	v_mad_co_i64_i32 v[5:6], null, v11, s22, 0
	v_dual_mov_b32 v10, v4 :: v_dual_mov_b32 v9, v3
	s_mov_b64 s[2:3], s[62:63]
	s_mov_b64 s[66:67], s[60:61]
	s_mov_b32 s68, s48
	s_delay_alu instid0(VALU_DEP_2) | instskip(SKIP_1) | instid1(VALU_DEP_1)
	v_lshlrev_b64_e32 v[7:8], 3, v[5:6]
	s_wait_alu 0xfffe
	v_add_co_u32 v5, vcc_lo, s64, v7
	s_wait_alu 0xfffd
	s_delay_alu instid0(VALU_DEP_2)
	v_add_co_ci_u32_e64 v6, null, s65, v8, vcc_lo
	s_and_not1_b32 vcc_lo, exec_lo, s88
	global_load_b64 v[5:6], v[5:6], off offset:-8
	s_wait_alu 0xfffe
	s_cbranch_vccnz .LBB30_98
.LBB30_100:                             ;   Parent Loop BB30_4 Depth=1
                                        ;     Parent Loop BB30_99 Depth=2
                                        ; =>    This Inner Loop Header: Depth=3
	global_load_b64 v[12:13], v[9:10], off offset:-8
	s_clause 0x1
	global_load_b64 v[14:15], v36, s[2:3]
	global_load_b64 v[16:17], v36, s[66:67]
	s_add_co_i32 s68, s68, -1
	s_wait_alu 0xfffe
	s_add_nc_u64 s[66:67], s[66:67], -8
	s_cmp_eq_u32 s68, 0
	s_add_nc_u64 s[2:3], s[2:3], -8
	s_wait_loadcnt 0x1
	v_mul_f64_e32 v[37:38], v[14:15], v[12:13]
	s_wait_loadcnt 0x0
	v_mul_f64_e32 v[12:13], v[16:17], v[12:13]
	s_delay_alu instid0(VALU_DEP_2) | instskip(NEXT) | instid1(VALU_DEP_2)
	v_fma_f64 v[16:17], v[5:6], v[16:17], -v[37:38]
	v_fma_f64 v[5:6], v[5:6], v[14:15], v[12:13]
	v_add_co_u32 v12, vcc_lo, v9, -8
	s_wait_alu 0xfffd
	v_add_co_ci_u32_e64 v13, null, -1, v10, vcc_lo
	global_store_b64 v[9:10], v[16:17], off
	v_dual_mov_b32 v9, v12 :: v_dual_mov_b32 v10, v13
	s_cbranch_scc0 .LBB30_100
	s_branch .LBB30_98
.LBB30_101:                             ;   in Loop: Header=BB30_4 Depth=1
	s_wait_alu 0xfffe
	s_or_b32 exec_lo, exec_lo, s23
.LBB30_102:                             ;   in Loop: Header=BB30_4 Depth=1
	s_cbranch_execnz .LBB30_3
.LBB30_103:                             ;   in Loop: Header=BB30_4 Depth=1
	s_and_saveexec_b32 s23, s1
	s_cbranch_execz .LBB30_2
; %bb.104:                              ;   in Loop: Header=BB30_4 Depth=1
	v_mov_b32_e32 v9, v0
	s_lshl_b64 s[2:3], s[34:35], 3
	s_mov_b32 s49, 0
	s_wait_alu 0xfffe
	s_add_nc_u64 s[60:61], s[58:59], s[2:3]
	s_branch .LBB30_106
.LBB30_105:                             ;   in Loop: Header=BB30_106 Depth=2
	v_add_nc_u32_e32 v9, s12, v9
	v_add_co_u32 v5, vcc_lo, s60, v5
	s_wait_alu 0xfffd
	v_add_co_ci_u32_e64 v6, null, s61, v6, vcc_lo
	s_delay_alu instid0(VALU_DEP_3)
	v_cmp_le_i32_e32 vcc_lo, s76, v9
	v_add_co_u32 v1, s2, v1, s52
	s_wait_alu 0xf1fe
	v_add_co_ci_u32_e64 v2, null, s53, v2, s2
	s_or_b32 s49, vcc_lo, s49
	s_wait_loadcnt 0x0
	global_store_b64 v[5:6], v[3:4], off offset:-8
	s_and_not1_b32 exec_lo, exec_lo, s49
	s_cbranch_execz .LBB30_2
.LBB30_106:                             ;   Parent Loop BB30_4 Depth=1
                                        ; =>  This Loop Header: Depth=2
                                        ;       Child Loop BB30_107 Depth 3
	v_mad_co_i64_i32 v[3:4], null, v9, s22, 0
	v_dual_mov_b32 v8, v2 :: v_dual_mov_b32 v7, v1
	s_mov_b64 s[2:3], s[56:57]
	s_mov_b64 s[62:63], s[54:55]
	s_mov_b32 s64, s48
	s_delay_alu instid0(VALU_DEP_2) | instskip(NEXT) | instid1(VALU_DEP_1)
	v_lshlrev_b64_e32 v[5:6], 3, v[3:4]
	v_add_co_u32 v3, vcc_lo, s58, v5
	s_wait_alu 0xfffd
	s_delay_alu instid0(VALU_DEP_2)
	v_add_co_ci_u32_e64 v4, null, s59, v6, vcc_lo
	s_and_not1_b32 vcc_lo, exec_lo, s88
	global_load_b64 v[3:4], v[3:4], off
	s_wait_alu 0xfffe
	s_cbranch_vccnz .LBB30_105
.LBB30_107:                             ;   Parent Loop BB30_4 Depth=1
                                        ;     Parent Loop BB30_106 Depth=2
                                        ; =>    This Inner Loop Header: Depth=3
	global_load_b64 v[10:11], v[7:8], off
	s_clause 0x1
	global_load_b64 v[12:13], v36, s[2:3]
	global_load_b64 v[14:15], v36, s[62:63]
	s_add_co_i32 s64, s64, -1
	s_add_nc_u64 s[62:63], s[62:63], 8
	s_wait_alu 0xfffe
	s_cmp_eq_u32 s64, 0
	s_add_nc_u64 s[2:3], s[2:3], 8
	s_wait_loadcnt 0x1
	v_mul_f64_e32 v[16:17], v[12:13], v[10:11]
	v_mul_f64_e32 v[12:13], v[3:4], v[12:13]
	s_wait_loadcnt 0x0
	s_delay_alu instid0(VALU_DEP_2) | instskip(NEXT) | instid1(VALU_DEP_2)
	v_fma_f64 v[16:17], v[3:4], v[14:15], v[16:17]
	v_fma_f64 v[3:4], v[14:15], v[10:11], -v[12:13]
	global_store_b64 v[7:8], v[16:17], off offset:-8
	v_add_co_u32 v7, vcc_lo, v7, 8
	s_wait_alu 0xfffd
	v_add_co_ci_u32_e64 v8, null, 0, v8, vcc_lo
	s_cbranch_scc0 .LBB30_107
	s_branch .LBB30_105
.LBB30_108:
	s_endpgm
	.section	.rodata,"a",@progbits
	.p2align	6, 0x0
	.amdhsa_kernel _ZN9rocsolver6v33100L11lasr_kernelIddPdiEEv13rocblas_side_14rocblas_pivot_15rocblas_direct_T2_S6_PT0_lS8_lT1_lS6_lS6_
		.amdhsa_group_segment_fixed_size 0
		.amdhsa_private_segment_fixed_size 0
		.amdhsa_kernarg_size 352
		.amdhsa_user_sgpr_count 2
		.amdhsa_user_sgpr_dispatch_ptr 0
		.amdhsa_user_sgpr_queue_ptr 0
		.amdhsa_user_sgpr_kernarg_segment_ptr 1
		.amdhsa_user_sgpr_dispatch_id 0
		.amdhsa_user_sgpr_private_segment_size 0
		.amdhsa_wavefront_size32 1
		.amdhsa_uses_dynamic_stack 0
		.amdhsa_enable_private_segment 0
		.amdhsa_system_sgpr_workgroup_id_x 1
		.amdhsa_system_sgpr_workgroup_id_y 0
		.amdhsa_system_sgpr_workgroup_id_z 1
		.amdhsa_system_sgpr_workgroup_info 0
		.amdhsa_system_vgpr_workitem_id 0
		.amdhsa_next_free_vgpr 45
		.amdhsa_next_free_sgpr 90
		.amdhsa_reserve_vcc 1
		.amdhsa_float_round_mode_32 0
		.amdhsa_float_round_mode_16_64 0
		.amdhsa_float_denorm_mode_32 3
		.amdhsa_float_denorm_mode_16_64 3
		.amdhsa_fp16_overflow 0
		.amdhsa_workgroup_processor_mode 1
		.amdhsa_memory_ordered 1
		.amdhsa_forward_progress 1
		.amdhsa_inst_pref_size 42
		.amdhsa_round_robin_scheduling 0
		.amdhsa_exception_fp_ieee_invalid_op 0
		.amdhsa_exception_fp_denorm_src 0
		.amdhsa_exception_fp_ieee_div_zero 0
		.amdhsa_exception_fp_ieee_overflow 0
		.amdhsa_exception_fp_ieee_underflow 0
		.amdhsa_exception_fp_ieee_inexact 0
		.amdhsa_exception_int_div_zero 0
	.end_amdhsa_kernel
	.section	.text._ZN9rocsolver6v33100L11lasr_kernelIddPdiEEv13rocblas_side_14rocblas_pivot_15rocblas_direct_T2_S6_PT0_lS8_lT1_lS6_lS6_,"axG",@progbits,_ZN9rocsolver6v33100L11lasr_kernelIddPdiEEv13rocblas_side_14rocblas_pivot_15rocblas_direct_T2_S6_PT0_lS8_lT1_lS6_lS6_,comdat
.Lfunc_end30:
	.size	_ZN9rocsolver6v33100L11lasr_kernelIddPdiEEv13rocblas_side_14rocblas_pivot_15rocblas_direct_T2_S6_PT0_lS8_lT1_lS6_lS6_, .Lfunc_end30-_ZN9rocsolver6v33100L11lasr_kernelIddPdiEEv13rocblas_side_14rocblas_pivot_15rocblas_direct_T2_S6_PT0_lS8_lT1_lS6_lS6_
                                        ; -- End function
	.set _ZN9rocsolver6v33100L11lasr_kernelIddPdiEEv13rocblas_side_14rocblas_pivot_15rocblas_direct_T2_S6_PT0_lS8_lT1_lS6_lS6_.num_vgpr, 45
	.set _ZN9rocsolver6v33100L11lasr_kernelIddPdiEEv13rocblas_side_14rocblas_pivot_15rocblas_direct_T2_S6_PT0_lS8_lT1_lS6_lS6_.num_agpr, 0
	.set _ZN9rocsolver6v33100L11lasr_kernelIddPdiEEv13rocblas_side_14rocblas_pivot_15rocblas_direct_T2_S6_PT0_lS8_lT1_lS6_lS6_.numbered_sgpr, 90
	.set _ZN9rocsolver6v33100L11lasr_kernelIddPdiEEv13rocblas_side_14rocblas_pivot_15rocblas_direct_T2_S6_PT0_lS8_lT1_lS6_lS6_.num_named_barrier, 0
	.set _ZN9rocsolver6v33100L11lasr_kernelIddPdiEEv13rocblas_side_14rocblas_pivot_15rocblas_direct_T2_S6_PT0_lS8_lT1_lS6_lS6_.private_seg_size, 0
	.set _ZN9rocsolver6v33100L11lasr_kernelIddPdiEEv13rocblas_side_14rocblas_pivot_15rocblas_direct_T2_S6_PT0_lS8_lT1_lS6_lS6_.uses_vcc, 1
	.set _ZN9rocsolver6v33100L11lasr_kernelIddPdiEEv13rocblas_side_14rocblas_pivot_15rocblas_direct_T2_S6_PT0_lS8_lT1_lS6_lS6_.uses_flat_scratch, 0
	.set _ZN9rocsolver6v33100L11lasr_kernelIddPdiEEv13rocblas_side_14rocblas_pivot_15rocblas_direct_T2_S6_PT0_lS8_lT1_lS6_lS6_.has_dyn_sized_stack, 0
	.set _ZN9rocsolver6v33100L11lasr_kernelIddPdiEEv13rocblas_side_14rocblas_pivot_15rocblas_direct_T2_S6_PT0_lS8_lT1_lS6_lS6_.has_recursion, 0
	.set _ZN9rocsolver6v33100L11lasr_kernelIddPdiEEv13rocblas_side_14rocblas_pivot_15rocblas_direct_T2_S6_PT0_lS8_lT1_lS6_lS6_.has_indirect_call, 0
	.section	.AMDGPU.csdata,"",@progbits
; Kernel info:
; codeLenInByte = 5364
; TotalNumSgprs: 92
; NumVgprs: 45
; ScratchSize: 0
; MemoryBound: 0
; FloatMode: 240
; IeeeMode: 1
; LDSByteSize: 0 bytes/workgroup (compile time only)
; SGPRBlocks: 0
; VGPRBlocks: 5
; NumSGPRsForWavesPerEU: 92
; NumVGPRsForWavesPerEU: 45
; Occupancy: 16
; WaveLimiterHint : 0
; COMPUTE_PGM_RSRC2:SCRATCH_EN: 0
; COMPUTE_PGM_RSRC2:USER_SGPR: 2
; COMPUTE_PGM_RSRC2:TRAP_HANDLER: 0
; COMPUTE_PGM_RSRC2:TGID_X_EN: 1
; COMPUTE_PGM_RSRC2:TGID_Y_EN: 0
; COMPUTE_PGM_RSRC2:TGID_Z_EN: 1
; COMPUTE_PGM_RSRC2:TIDIG_COMP_CNT: 0
	.section	.text._ZN9rocsolver6v33100L11swap_kernelIdiEEvT0_PT_S2_S4_S2_,"axG",@progbits,_ZN9rocsolver6v33100L11swap_kernelIdiEEvT0_PT_S2_S4_S2_,comdat
	.globl	_ZN9rocsolver6v33100L11swap_kernelIdiEEvT0_PT_S2_S4_S2_ ; -- Begin function _ZN9rocsolver6v33100L11swap_kernelIdiEEvT0_PT_S2_S4_S2_
	.p2align	8
	.type	_ZN9rocsolver6v33100L11swap_kernelIdiEEvT0_PT_S2_S4_S2_,@function
_ZN9rocsolver6v33100L11swap_kernelIdiEEvT0_PT_S2_S4_S2_: ; @_ZN9rocsolver6v33100L11swap_kernelIdiEEvT0_PT_S2_S4_S2_
; %bb.0:
	s_load_b32 s12, s[0:1], 0x0
	s_wait_kmcnt 0x0
	s_cmp_lt_i32 s12, 1
	s_cbranch_scc1 .LBB31_10
; %bb.1:
	s_clause 0x3
	s_load_b32 s2, s[0:1], 0x34
	s_load_b96 s[4:6], s[0:1], 0x8
	s_load_b96 s[8:10], s[0:1], 0x18
	s_load_b32 s0, s[0:1], 0x28
	s_wait_kmcnt 0x0
	s_and_b32 s1, s2, 0xffff
	s_cmp_eq_u32 s6, 1
	v_mad_co_u64_u32 v[0:1], null, ttmp9, s1, v[0:1]
	s_cselect_b32 s3, -1, 0
	s_cmp_eq_u32 s10, 1
	s_mul_i32 s2, s0, s1
	s_cselect_b32 s7, -1, 0
	s_delay_alu instid0(SALU_CYCLE_1)
	s_and_b32 s1, s3, s7
	v_cmp_gt_i32_e64 s0, s12, v0
	s_wait_alu 0xfffe
	s_and_b32 vcc_lo, exec_lo, s1
	s_mov_b32 s1, -1
	s_cbranch_vccnz .LBB31_6
; %bb.2:
	s_and_saveexec_b32 s13, s0
	s_cbranch_execz .LBB31_5
; %bb.3:
	v_mad_co_i64_i32 v[1:2], null, s10, v0, 0
	v_mad_co_i64_i32 v[3:4], null, s6, v0, 0
	s_ashr_i32 s7, s6, 31
	s_ashr_i32 s11, s10, 31
	;; [unrolled: 1-line block ×3, first 2 shown]
	v_mov_b32_e32 v5, v0
	v_lshlrev_b64_e32 v[1:2], 3, v[1:2]
	s_wait_alu 0xfffe
	s_mul_u64 s[10:11], s[10:11], s[2:3]
	v_lshlrev_b64_e32 v[3:4], 3, v[3:4]
	s_mul_u64 s[14:15], s[6:7], s[2:3]
	s_wait_alu 0xfffe
	s_lshl_b64 s[6:7], s[10:11], 3
	s_lshl_b64 s[10:11], s[14:15], 3
	v_add_co_u32 v1, vcc_lo, s8, v1
	s_delay_alu instid0(VALU_DEP_1)
	v_add_co_ci_u32_e64 v2, null, s9, v2, vcc_lo
	v_add_co_u32 v3, vcc_lo, s4, v3
	s_wait_alu 0xfffd
	v_add_co_ci_u32_e64 v4, null, s5, v4, vcc_lo
	s_mov_b32 s3, 0
.LBB31_4:                               ; =>This Inner Loop Header: Depth=1
	global_load_b64 v[6:7], v[3:4], off
	global_load_b64 v[8:9], v[1:2], off
	v_add_nc_u32_e32 v5, s2, v5
	s_wait_loadcnt 0x1
	global_store_b64 v[1:2], v[6:7], off
	s_wait_loadcnt 0x0
	global_store_b64 v[3:4], v[8:9], off
	s_wait_alu 0xfffe
	v_add_co_u32 v1, s1, v1, s6
	v_cmp_le_i32_e32 vcc_lo, s12, v5
	s_wait_alu 0xf1ff
	v_add_co_ci_u32_e64 v2, null, s7, v2, s1
	v_add_co_u32 v3, s1, v3, s10
	s_wait_alu 0xf1ff
	v_add_co_ci_u32_e64 v4, null, s11, v4, s1
	s_or_b32 s3, vcc_lo, s3
	s_wait_alu 0xfffe
	s_and_not1_b32 exec_lo, exec_lo, s3
	s_cbranch_execnz .LBB31_4
.LBB31_5:
	s_wait_alu 0xfffe
	s_or_b32 exec_lo, exec_lo, s13
	s_mov_b32 s1, 0
.LBB31_6:
	s_wait_alu 0xfffe
	s_and_not1_b32 vcc_lo, exec_lo, s1
	s_wait_alu 0xfffe
	s_cbranch_vccnz .LBB31_10
; %bb.7:
	s_and_saveexec_b32 s1, s0
	s_cbranch_execz .LBB31_10
; %bb.8:
	v_ashrrev_i32_e32 v1, 31, v0
	s_ashr_i32 s3, s2, 31
	s_mov_b32 s1, 0
	s_wait_alu 0xfffe
	s_lshl_b64 s[6:7], s[2:3], 3
	v_lshlrev_b64_e32 v[1:2], 3, v[0:1]
.LBB31_9:                               ; =>This Inner Loop Header: Depth=1
	s_delay_alu instid0(VALU_DEP_1) | instskip(SKIP_1) | instid1(VALU_DEP_2)
	v_add_co_u32 v3, vcc_lo, s4, v1
	s_wait_alu 0xfffd
	v_add_co_ci_u32_e64 v4, null, s5, v2, vcc_lo
	v_add_co_u32 v5, vcc_lo, s8, v1
	s_wait_alu 0xfffd
	v_add_co_ci_u32_e64 v6, null, s9, v2, vcc_lo
	global_load_b64 v[7:8], v[3:4], off
	global_load_b64 v[9:10], v[5:6], off
	v_add_nc_u32_e32 v0, s2, v0
	s_wait_alu 0xfffe
	v_add_co_u32 v1, s0, v1, s6
	s_wait_alu 0xf1ff
	v_add_co_ci_u32_e64 v2, null, s7, v2, s0
	v_cmp_le_i32_e32 vcc_lo, s12, v0
	s_wait_loadcnt 0x1
	global_store_b64 v[5:6], v[7:8], off
	s_wait_loadcnt 0x0
	global_store_b64 v[3:4], v[9:10], off
	s_or_b32 s1, vcc_lo, s1
	s_wait_alu 0xfffe
	s_and_not1_b32 exec_lo, exec_lo, s1
	s_cbranch_execnz .LBB31_9
.LBB31_10:
	s_endpgm
	.section	.rodata,"a",@progbits
	.p2align	6, 0x0
	.amdhsa_kernel _ZN9rocsolver6v33100L11swap_kernelIdiEEvT0_PT_S2_S4_S2_
		.amdhsa_group_segment_fixed_size 0
		.amdhsa_private_segment_fixed_size 0
		.amdhsa_kernarg_size 296
		.amdhsa_user_sgpr_count 2
		.amdhsa_user_sgpr_dispatch_ptr 0
		.amdhsa_user_sgpr_queue_ptr 0
		.amdhsa_user_sgpr_kernarg_segment_ptr 1
		.amdhsa_user_sgpr_dispatch_id 0
		.amdhsa_user_sgpr_private_segment_size 0
		.amdhsa_wavefront_size32 1
		.amdhsa_uses_dynamic_stack 0
		.amdhsa_enable_private_segment 0
		.amdhsa_system_sgpr_workgroup_id_x 1
		.amdhsa_system_sgpr_workgroup_id_y 0
		.amdhsa_system_sgpr_workgroup_id_z 0
		.amdhsa_system_sgpr_workgroup_info 0
		.amdhsa_system_vgpr_workitem_id 0
		.amdhsa_next_free_vgpr 11
		.amdhsa_next_free_sgpr 16
		.amdhsa_reserve_vcc 1
		.amdhsa_float_round_mode_32 0
		.amdhsa_float_round_mode_16_64 0
		.amdhsa_float_denorm_mode_32 3
		.amdhsa_float_denorm_mode_16_64 3
		.amdhsa_fp16_overflow 0
		.amdhsa_workgroup_processor_mode 1
		.amdhsa_memory_ordered 1
		.amdhsa_forward_progress 1
		.amdhsa_inst_pref_size 5
		.amdhsa_round_robin_scheduling 0
		.amdhsa_exception_fp_ieee_invalid_op 0
		.amdhsa_exception_fp_denorm_src 0
		.amdhsa_exception_fp_ieee_div_zero 0
		.amdhsa_exception_fp_ieee_overflow 0
		.amdhsa_exception_fp_ieee_underflow 0
		.amdhsa_exception_fp_ieee_inexact 0
		.amdhsa_exception_int_div_zero 0
	.end_amdhsa_kernel
	.section	.text._ZN9rocsolver6v33100L11swap_kernelIdiEEvT0_PT_S2_S4_S2_,"axG",@progbits,_ZN9rocsolver6v33100L11swap_kernelIdiEEvT0_PT_S2_S4_S2_,comdat
.Lfunc_end31:
	.size	_ZN9rocsolver6v33100L11swap_kernelIdiEEvT0_PT_S2_S4_S2_, .Lfunc_end31-_ZN9rocsolver6v33100L11swap_kernelIdiEEvT0_PT_S2_S4_S2_
                                        ; -- End function
	.set _ZN9rocsolver6v33100L11swap_kernelIdiEEvT0_PT_S2_S4_S2_.num_vgpr, 11
	.set _ZN9rocsolver6v33100L11swap_kernelIdiEEvT0_PT_S2_S4_S2_.num_agpr, 0
	.set _ZN9rocsolver6v33100L11swap_kernelIdiEEvT0_PT_S2_S4_S2_.numbered_sgpr, 16
	.set _ZN9rocsolver6v33100L11swap_kernelIdiEEvT0_PT_S2_S4_S2_.num_named_barrier, 0
	.set _ZN9rocsolver6v33100L11swap_kernelIdiEEvT0_PT_S2_S4_S2_.private_seg_size, 0
	.set _ZN9rocsolver6v33100L11swap_kernelIdiEEvT0_PT_S2_S4_S2_.uses_vcc, 1
	.set _ZN9rocsolver6v33100L11swap_kernelIdiEEvT0_PT_S2_S4_S2_.uses_flat_scratch, 0
	.set _ZN9rocsolver6v33100L11swap_kernelIdiEEvT0_PT_S2_S4_S2_.has_dyn_sized_stack, 0
	.set _ZN9rocsolver6v33100L11swap_kernelIdiEEvT0_PT_S2_S4_S2_.has_recursion, 0
	.set _ZN9rocsolver6v33100L11swap_kernelIdiEEvT0_PT_S2_S4_S2_.has_indirect_call, 0
	.section	.AMDGPU.csdata,"",@progbits
; Kernel info:
; codeLenInByte = 580
; TotalNumSgprs: 18
; NumVgprs: 11
; ScratchSize: 0
; MemoryBound: 0
; FloatMode: 240
; IeeeMode: 1
; LDSByteSize: 0 bytes/workgroup (compile time only)
; SGPRBlocks: 0
; VGPRBlocks: 1
; NumSGPRsForWavesPerEU: 18
; NumVGPRsForWavesPerEU: 11
; Occupancy: 16
; WaveLimiterHint : 0
; COMPUTE_PGM_RSRC2:SCRATCH_EN: 0
; COMPUTE_PGM_RSRC2:USER_SGPR: 2
; COMPUTE_PGM_RSRC2:TRAP_HANDLER: 0
; COMPUTE_PGM_RSRC2:TGID_X_EN: 1
; COMPUTE_PGM_RSRC2:TGID_Y_EN: 0
; COMPUTE_PGM_RSRC2:TGID_Z_EN: 0
; COMPUTE_PGM_RSRC2:TIDIG_COMP_CNT: 0
	.text
	.p2align	2                               ; -- Begin function _ZN9rocsolver6v331009run_steqrIddEEviiiPT0_S3_PT_iPiS3_iS2_S2_S2_b
	.type	_ZN9rocsolver6v331009run_steqrIddEEviiiPT0_S3_PT_iPiS3_iS2_S2_S2_b,@function
_ZN9rocsolver6v331009run_steqrIddEEviiiPT0_S3_PT_iPiS3_iS2_S2_S2_b: ; @_ZN9rocsolver6v331009run_steqrIddEEviiiPT0_S3_PT_iPiS3_iS2_S2_S2_b
; %bb.0:
	s_wait_loadcnt_dscnt 0x0
	s_wait_expcnt 0x0
	s_wait_samplecnt 0x0
	s_wait_bvhcnt 0x0
	s_wait_kmcnt 0x0
	s_clause 0x3
	scratch_store_b32 off, v40, s32 offset:12
	; meta instruction
	scratch_store_b32 off, v41, s32 offset:8
	; meta instruction
	;; [unrolled: 2-line block ×3, first 2 shown]
	scratch_store_b32 off, v43, s32
	v_dual_mov_b32 v23, v3 :: v_dual_mov_b32 v26, v1
	v_and_b32_e32 v1, 1, v21
	v_dual_mov_b32 v25, v11 :: v_dual_mov_b32 v24, v10
	v_cmp_eq_u32_e64 s2, 0, v0
	v_cmp_ne_u32_e64 s0, 0, v0
	s_delay_alu instid0(VALU_DEP_4)
	v_cmp_eq_u32_e64 s1, 1, v1
	s_mov_b32 s4, s15
                                        ; implicit-def: $sgpr7
                                        ; implicit-def: $sgpr6
	s_and_saveexec_b32 s3, s0
	s_wait_alu 0xfffe
	s_xor_b32 s3, exec_lo, s3
	s_cbranch_execz .LBB32_2
; %bb.1:
	s_ashr_i32 s5, s4, 31
	s_getpc_b64 s[6:7]
	s_wait_alu 0xfffe
	s_sext_i32_i16 s7, s7
	s_add_co_u32 s6, s6, llvm.amdgcn.lds.offset.table@rel32@lo+24
	s_wait_alu 0xfffe
	s_add_co_ci_u32 s7, s7, llvm.amdgcn.lds.offset.table@rel32@hi+36
	s_mul_u64 s[8:9], s[4:5], 36
	s_getpc_b64 s[10:11]
	s_wait_alu 0xfffe
	s_sext_i32_i16 s11, s11
	s_add_co_u32 s10, s10, llvm.amdgcn.lds.offset.table@rel32@lo+40
	s_wait_alu 0xfffe
	s_add_co_ci_u32 s11, s11, llvm.amdgcn.lds.offset.table@rel32@hi+52
	s_add_nc_u64 s[6:7], s[6:7], s[8:9]
	s_wait_alu 0xfffe
	s_add_nc_u64 s[8:9], s[10:11], s[8:9]
	s_clause 0x1
	s_load_b32 s6, s[6:7], 0x0
	s_load_b32 s7, s[8:9], 0x0
.LBB32_2:
	s_wait_alu 0xfffe
	s_or_saveexec_b32 s3, s3
	s_wait_kmcnt 0x0
	v_dual_mov_b32 v87, s7 :: v_dual_mov_b32 v134, s6
	v_dual_mov_b32 v11, s5 :: v_dual_mov_b32 v10, s4
	s_wait_alu 0xfffe
	s_xor_b32 exec_lo, exec_lo, s3
	s_cbranch_execz .LBB32_4
; %bb.3:
	s_ashr_i32 s5, s4, 31
	s_getpc_b64 s[6:7]
	s_wait_alu 0xfffe
	s_sext_i32_i16 s7, s7
	s_add_co_u32 s6, s6, llvm.amdgcn.lds.offset.table@rel32@lo+24
	s_wait_alu 0xfffe
	s_add_co_ci_u32 s7, s7, llvm.amdgcn.lds.offset.table@rel32@hi+36
	s_mul_u64 s[8:9], s[4:5], 36
	s_getpc_b64 s[10:11]
	s_wait_alu 0xfffe
	s_sext_i32_i16 s11, s11
	s_add_co_u32 s10, s10, llvm.amdgcn.lds.offset.table@rel32@lo+40
	s_wait_alu 0xfffe
	s_add_co_ci_u32 s11, s11, llvm.amdgcn.lds.offset.table@rel32@hi+52
	s_add_nc_u64 s[6:7], s[6:7], s[8:9]
	s_wait_alu 0xfffe
	s_add_nc_u64 s[8:9], s[10:11], s[8:9]
	s_clause 0x1
	s_load_b32 s6, s[6:7], 0x0
	s_load_b32 s7, s[8:9], 0x0
	v_mov_b32_e32 v11, s5
	v_dual_mov_b32 v1, 0 :: v_dual_mov_b32 v10, s4
	s_wait_kmcnt 0x0
	v_mov_b32_e32 v3, s6
	v_dual_mov_b32 v87, s7 :: v_dual_mov_b32 v134, s6
	v_mov_b32_e32 v21, s7
	ds_store_b32 v3, v1
	ds_store_b32 v21, v1
.LBB32_4:
	s_or_b32 exec_lo, exec_lo, s3
	s_getpc_b64 s[4:5]
	s_wait_alu 0xfffe
	s_sext_i32_i16 s5, s5
	s_add_co_u32 s4, s4, llvm.amdgcn.lds.offset.table@rel32@lo+12
	s_wait_alu 0xfffe
	s_add_co_ci_u32 s5, s5, llvm.amdgcn.lds.offset.table@rel32@hi+24
	s_wait_storecnt_dscnt 0x0
	s_barrier_signal -1
	s_barrier_wait -1
	global_inv scope:SCOPE_SE
	ds_load_b32 v28, v134
	ds_load_b32 v3, v87
	s_wait_alu 0xfffe
	v_mad_co_u64_u32 v[21:22], null, v10, 36, s[4:5]
	v_ashrrev_i32_e32 v27, 31, v26
	s_delay_alu instid0(VALU_DEP_2) | instskip(NEXT) | instid1(VALU_DEP_1)
	v_dual_mov_b32 v1, v22 :: v_dual_add_nc_u32 v32, -1, v2
	v_mad_co_u64_u32 v[10:11], null, v11, 36, v[1:2]
	v_ashrrev_i32_e32 v1, 31, v0
	s_wait_dscnt 0x1
	v_cmp_lt_i32_e32 vcc_lo, v28, v2
	s_wait_dscnt 0x0
	v_cmp_lt_i32_e64 s3, v3, v14
	s_delay_alu instid0(VALU_DEP_4)
	v_mov_b32_e32 v22, v10
	s_and_b32 s3, vcc_lo, s3
	s_wait_alu 0xfffe
	s_and_saveexec_b32 s7, s3
	s_cbranch_execz .LBB32_244
; %bb.5:
	v_mul_f64_e32 v[36:37], v[15:16], v[15:16]
	v_ashrrev_i32_e32 v3, 31, v2
	v_ashrrev_i32_e32 v10, 31, v9
	v_lshlrev_b64_e32 v[29:30], 3, v[0:1]
	v_lshlrev_b64_e32 v[38:39], 3, v[26:27]
	v_cmp_lt_i32_e64 s3, v0, v2
	v_lshlrev_b64_e32 v[34:35], 3, v[2:3]
	v_lshlrev_b64_e32 v[48:49], 3, v[9:10]
	v_dual_mov_b32 v50, 0 :: v_dual_mov_b32 v167, v87
	s_mov_b32 s8, 0x667f3bcd
	s_mov_b32 s10, 0
	s_delay_alu instid0(VALU_DEP_3)
	v_add_co_u32 v3, vcc_lo, v12, v34
	s_wait_alu 0xfffd
	v_add_co_ci_u32_e64 v11, null, v13, v35, vcc_lo
	v_add_co_u32 v135, vcc_lo, v23, 8
	s_wait_alu 0xfffd
	v_add_co_ci_u32_e64 v144, null, 0, v4, vcc_lo
	v_add_co_u32 v145, vcc_lo, v12, -8
	s_wait_alu 0xfffd
	v_add_co_ci_u32_e64 v146, null, -1, v13, vcc_lo
	v_add_co_u32 v147, vcc_lo, v23, -8
	s_wait_alu 0xfffd
	v_add_co_ci_u32_e64 v148, null, -1, v4, vcc_lo
	;; [unrolled: 3-line block ×4, first 2 shown]
	s_mov_b32 s9, 0x3ff6a09e
	v_add_co_u32 v161, vcc_lo, v12, v151
	s_wait_alu 0xfffd
	v_add_co_ci_u32_e64 v162, null, v13, v160, vcc_lo
	v_add_co_u32 v163, vcc_lo, v7, v29
	s_wait_alu 0xfffd
	v_add_co_ci_u32_e64 v164, null, v8, v30, vcc_lo
	v_sub_co_u32 v165, vcc_lo, 0, v48
	s_wait_alu 0xfffd
	v_sub_co_ci_u32_e64 v166, null, 0, v49, vcc_lo
                                        ; implicit-def: $vgpr80
                                        ; implicit-def: $vgpr70_vgpr71
                                        ; implicit-def: $vgpr52_vgpr53
                                        ; implicit-def: $vgpr66_vgpr67
                                        ; implicit-def: $vgpr176
                                        ; implicit-def: $vgpr54_vgpr55
                                        ; implicit-def: $vgpr177
                                        ; implicit-def: $vgpr68_vgpr69
                                        ; implicit-def: $vgpr64_vgpr65
	s_branch .LBB32_8
.LBB32_6:                               ;   in Loop: Header=BB32_8 Depth=1
	s_wait_alu 0xfffe
	s_or_b32 exec_lo, exec_lo, s5
	v_dual_mov_b32 v30, v167 :: v_dual_mov_b32 v31, v167
	s_wait_storecnt 0x0
	s_wait_loadcnt_dscnt 0x0
	s_barrier_signal -1
	s_barrier_wait -1
	global_inv scope:SCOPE_SE
.LBB32_7:                               ;   in Loop: Header=BB32_8 Depth=1
	s_wait_alu 0xfffe
	s_or_b32 exec_lo, exec_lo, s11
	ds_load_b32 v28, v134
	ds_load_b32 v29, v31
	v_mov_b32_e32 v167, v30
	s_wait_dscnt 0x1
	v_cmp_ge_i32_e32 vcc_lo, v28, v2
	s_wait_dscnt 0x0
	v_cmp_ge_i32_e64 s4, v29, v14
	s_or_b32 s4, vcc_lo, s4
	s_wait_alu 0xfffe
	s_and_b32 s4, exec_lo, s4
	s_wait_alu 0xfffe
	s_or_b32 s10, s4, s10
	s_wait_alu 0xfffe
	s_and_not1_b32 exec_lo, exec_lo, s10
	s_cbranch_execz .LBB32_244
.LBB32_8:                               ; =>This Loop Header: Depth=1
                                        ;     Child Loop BB32_133 Depth 2
                                        ;     Child Loop BB32_23 Depth 2
	;; [unrolled: 1-line block ×5, first 2 shown]
                                        ;       Child Loop BB32_84 Depth 3
                                        ;       Child Loop BB32_69 Depth 3
                                        ;       Child Loop BB32_126 Depth 3
                                        ;         Child Loop BB32_128 Depth 4
                                        ;     Child Loop BB32_146 Depth 2
                                        ;       Child Loop BB32_183 Depth 3
                                        ;       Child Loop BB32_168 Depth 3
	;; [unrolled: 1-line block ×3, first 2 shown]
                                        ;         Child Loop BB32_227 Depth 4
                                        ;     Child Loop BB32_237 Depth 2
                                        ;     Child Loop BB32_243 Depth 2
                                        ; implicit-def: $vgpr33
                                        ; implicit-def: $vgpr82
	s_and_saveexec_b32 s4, s0
	s_wait_alu 0xfffe
	s_xor_b32 s4, exec_lo, s4
	s_cbranch_execz .LBB32_10
; %bb.9:                                ;   in Loop: Header=BB32_8 Depth=1
	s_clause 0x1
	global_load_b64 v[82:83], v[21:22], off offset:20
	global_load_b32 v33, v[21:22], off
                                        ; implicit-def: $vgpr28
.LBB32_10:                              ;   in Loop: Header=BB32_8 Depth=1
	s_wait_alu 0xfffe
	s_and_not1_saveexec_b32 s5, s4
	s_cbranch_execz .LBB32_26
; %bb.11:                               ;   in Loop: Header=BB32_8 Depth=1
	s_mov_b32 s4, exec_lo
	v_cmpx_lt_i32_e32 0, v28
	s_cbranch_execz .LBB32_13
; %bb.12:                               ;   in Loop: Header=BB32_8 Depth=1
	v_mov_b32_e32 v29, v50
	v_mov_b32_e32 v51, v50
	s_delay_alu instid0(VALU_DEP_2) | instskip(NEXT) | instid1(VALU_DEP_1)
	v_lshlrev_b64_e32 v[29:30], 3, v[28:29]
	v_add_co_u32 v29, vcc_lo, v5, v29
	s_wait_alu 0xfffd
	s_delay_alu instid0(VALU_DEP_2)
	v_add_co_ci_u32_e64 v30, null, v6, v30, vcc_lo
	flat_store_b64 v[29:30], v[50:51] offset:-8
.LBB32_13:                              ;   in Loop: Header=BB32_8 Depth=1
	s_wait_alu 0xfffe
	s_or_b32 exec_lo, exec_lo, s4
	v_ashrrev_i32_e32 v29, 31, v28
	s_mov_b32 s4, 0
	s_mov_b32 s6, 0
	s_mov_b32 s11, exec_lo
                                        ; implicit-def: $vgpr30_vgpr31
	v_cmpx_ge_i32_e64 v28, v32
	s_wait_alu 0xfffe
	s_xor_b32 s11, exec_lo, s11
; %bb.14:                               ;   in Loop: Header=BB32_8 Depth=1
	v_dual_mov_b32 v31, v29 :: v_dual_mov_b32 v30, v28
	s_mov_b32 s6, exec_lo
; %bb.15:                               ;   in Loop: Header=BB32_8 Depth=1
	s_wait_alu 0xfffe
	s_or_saveexec_b32 s11, s11
	s_wait_loadcnt 0x1
	v_dual_mov_b32 v98, v28 :: v_dual_mov_b32 v83, v31
	v_mov_b32_e32 v82, v30
	s_wait_alu 0xfffe
	s_xor_b32 exec_lo, exec_lo, s11
	s_cbranch_execnz .LBB32_131
; %bb.16:                               ;   in Loop: Header=BB32_8 Depth=1
	s_or_b32 exec_lo, exec_lo, s11
	s_and_saveexec_b32 s11, s6
	s_cbranch_execnz .LBB32_138
.LBB32_17:                              ;   in Loop: Header=BB32_8 Depth=1
	s_wait_alu 0xfffe
	s_or_b32 exec_lo, exec_lo, s11
	s_and_saveexec_b32 s6, s4
	s_cbranch_execz .LBB32_19
.LBB32_18:                              ;   in Loop: Header=BB32_8 Depth=1
	global_load_b32 v29, v[21:22], off offset:4
	v_dual_mov_b32 v51, v50 :: v_dual_mov_b32 v30, v52
	v_dual_mov_b32 v83, v81 :: v_dual_mov_b32 v98, v80
	;; [unrolled: 1-line block ×3, first 2 shown]
	flat_store_b64 v[70:71], v[50:51]
	s_wait_loadcnt 0x0
	ds_store_b32 v29, v80
.LBB32_19:                              ;   in Loop: Header=BB32_8 Depth=1
	s_wait_alu 0xfffe
	s_or_b32 exec_lo, exec_lo, s6
	v_lshlrev_b64_e32 v[82:83], 3, v[82:83]
	v_lshlrev_b64_e32 v[96:97], 3, v[30:31]
	s_mov_b32 s4, exec_lo
	v_add_nc_u32_e32 v51, 1, v98
	s_delay_alu instid0(VALU_DEP_3)
	v_add_co_u32 v29, vcc_lo, v23, v82
	s_wait_alu 0xfffd
	v_add_co_ci_u32_e64 v30, null, v4, v83, vcc_lo
	v_add_co_u32 v85, vcc_lo, v23, v96
	s_wait_alu 0xfffd
	v_add_co_ci_u32_e64 v86, null, v4, v97, vcc_lo
	s_clause 0x1
	flat_load_b64 v[29:30], v[29:30]
	flat_load_b64 v[99:100], v[85:86]
	s_wait_loadcnt 0x2
	s_clause 0x2
	global_load_b32 v33, v[21:22], off
	global_load_b64 v[83:84], v[21:22], off offset:16
	global_load_b32 v31, v[21:22], off offset:32
	s_wait_loadcnt 0x2
	ds_store_b32 v33, v28
	s_wait_loadcnt 0x1
	ds_store_b32 v83, v28
	ds_store_b32 v84, v98
	s_wait_loadcnt 0x0
	ds_store_b32 v31, v98
	ds_store_b32 v134, v51
	s_wait_dscnt 0x5
	v_cmpx_lt_f64_e64 |v[29:30]|, |v[99:100]|
	s_cbranch_execz .LBB32_21
; %bb.20:                               ;   in Loop: Header=BB32_8 Depth=1
	ds_store_b32 v84, v28
	ds_store_b32 v33, v98
.LBB32_21:                              ;   in Loop: Header=BB32_8 Depth=1
	s_wait_alu 0xfffe
	s_or_b32 exec_lo, exec_lo, s4
	v_and_b32_e32 v30, 0x7fffffff, v30
	s_mov_b32 s6, exec_lo
	v_cmpx_lt_i32_e64 v28, v98
	s_cbranch_execz .LBB32_25
; %bb.22:                               ;   in Loop: Header=BB32_8 Depth=1
	v_add_co_u32 v82, vcc_lo, v5, v96
	s_wait_alu 0xfffd
	v_add_co_ci_u32_e64 v83, null, v6, v97, vcc_lo
	s_mov_b32 s11, 0
.LBB32_23:                              ;   Parent Loop BB32_8 Depth=1
                                        ; =>  This Inner Loop Header: Depth=2
	flat_load_b64 v[96:97], v[82:83]
	flat_load_b64 v[99:100], v[85:86]
	v_max_num_f64_e32 v[29:30], v[29:30], v[29:30]
	v_add_nc_u32_e32 v28, 1, v28
	v_add_co_u32 v82, vcc_lo, v82, 8
	s_wait_alu 0xfffd
	v_add_co_ci_u32_e64 v83, null, 0, v83, vcc_lo
	s_delay_alu instid0(VALU_DEP_3)
	v_cmp_ge_i32_e32 vcc_lo, v28, v98
	v_add_co_u32 v85, s4, v85, 8
	s_wait_alu 0xf1ff
	v_add_co_ci_u32_e64 v86, null, 0, v86, s4
	s_wait_alu 0xfffe
	s_or_b32 s11, vcc_lo, s11
	s_wait_loadcnt_dscnt 0x101
	v_max_num_f64_e64 v[96:97], |v[96:97]|, |v[96:97]|
	s_wait_loadcnt_dscnt 0x0
	v_max_num_f64_e64 v[99:100], |v[99:100]|, |v[99:100]|
	s_delay_alu instid0(VALU_DEP_1) | instskip(NEXT) | instid1(VALU_DEP_1)
	v_max_num_f64_e32 v[96:97], v[99:100], v[96:97]
	v_max_num_f64_e32 v[29:30], v[29:30], v[96:97]
	s_wait_alu 0xfffe
	s_and_not1_b32 exec_lo, exec_lo, s11
	s_cbranch_execnz .LBB32_23
; %bb.24:                               ;   in Loop: Header=BB32_8 Depth=1
	s_or_b32 exec_lo, exec_lo, s11
.LBB32_25:                              ;   in Loop: Header=BB32_8 Depth=1
	s_wait_alu 0xfffe
	s_or_b32 exec_lo, exec_lo, s6
	global_load_b32 v83, v[21:22], off offset:24
	v_mov_b32_e32 v82, v84
	s_wait_loadcnt 0x0
	ds_store_b64 v83, v[29:30]
.LBB32_26:                              ;   in Loop: Header=BB32_8 Depth=1
	s_wait_alu 0xfffe
	s_or_b32 exec_lo, exec_lo, s5
	s_wait_storecnt 0x0
	s_wait_loadcnt_dscnt 0x0
	s_barrier_signal -1
	s_barrier_wait -1
	global_inv scope:SCOPE_SE
	ds_load_b64 v[28:29], v83
	ds_load_b32 v30, v82
	ds_load_b32 v31, v33
	s_wait_dscnt 0x2
	v_cmp_neq_f64_e32 vcc_lo, 0, v[28:29]
	s_wait_dscnt 0x0
	v_cmp_ne_u32_e64 s4, v30, v31
	v_dual_mov_b32 v30, v87 :: v_dual_mov_b32 v31, v87
	s_and_b32 s4, s4, vcc_lo
	s_wait_alu 0xfffe
	s_and_saveexec_b32 s11, s4
	s_cbranch_execz .LBB32_7
; %bb.27:                               ;   in Loop: Header=BB32_8 Depth=1
	s_mov_b32 s4, exec_lo
	v_cmpx_ngt_f64_e32 v[28:29], v[19:20]
	s_wait_alu 0xfffe
	s_xor_b32 s5, exec_lo, s4
	s_cbranch_execz .LBB32_35
; %bb.28:                               ;   in Loop: Header=BB32_8 Depth=1
	s_mov_b32 s6, exec_lo
	v_cmpx_lt_f64_e32 v[28:29], v[17:18]
	s_cbranch_execz .LBB32_34
; %bb.29:                               ;   in Loop: Header=BB32_8 Depth=1
	v_div_scale_f64 v[30:31], null, v[17:18], v[17:18], v[28:29]
	s_clause 0x1
	global_load_b32 v51, v[21:22], off offset:16
	global_load_b32 v86, v[21:22], off offset:32
	v_rcp_f64_e32 v[84:85], v[30:31]
	s_delay_alu instid0(TRANS32_DEP_1) | instskip(NEXT) | instid1(VALU_DEP_1)
	v_fma_f64 v[96:97], -v[30:31], v[84:85], 1.0
	v_fma_f64 v[84:85], v[84:85], v[96:97], v[84:85]
	s_delay_alu instid0(VALU_DEP_1) | instskip(NEXT) | instid1(VALU_DEP_1)
	v_fma_f64 v[96:97], -v[30:31], v[84:85], 1.0
	v_fma_f64 v[84:85], v[84:85], v[96:97], v[84:85]
	v_div_scale_f64 v[96:97], vcc_lo, v[28:29], v[17:18], v[28:29]
	s_delay_alu instid0(VALU_DEP_1) | instskip(NEXT) | instid1(VALU_DEP_1)
	v_mul_f64_e32 v[98:99], v[96:97], v[84:85]
	v_fma_f64 v[30:31], -v[30:31], v[98:99], v[96:97]
	s_wait_alu 0xfffd
	s_delay_alu instid0(VALU_DEP_1) | instskip(NEXT) | instid1(VALU_DEP_1)
	v_div_fmas_f64 v[30:31], v[30:31], v[84:85], v[98:99]
	v_div_fixup_f64 v[28:29], v[30:31], v[17:18], v[28:29]
	s_wait_loadcnt 0x1
	ds_load_b32 v51, v51
	s_wait_loadcnt 0x0
	ds_load_b32 v30, v86
	s_and_saveexec_b32 s4, s2
	s_cbranch_execz .LBB32_31
; %bb.30:                               ;   in Loop: Header=BB32_8 Depth=1
	s_wait_dscnt 0x0
	v_ashrrev_i32_e32 v31, 31, v30
	s_delay_alu instid0(VALU_DEP_1) | instskip(NEXT) | instid1(VALU_DEP_1)
	v_lshlrev_b64_e32 v[84:85], 3, v[30:31]
	v_add_co_u32 v84, vcc_lo, v23, v84
	s_wait_alu 0xfffd
	s_delay_alu instid0(VALU_DEP_2)
	v_add_co_ci_u32_e64 v85, null, v4, v85, vcc_lo
	flat_load_b64 v[96:97], v[84:85]
	s_wait_loadcnt_dscnt 0x0
	v_mul_f64_e32 v[96:97], v[28:29], v[96:97]
	flat_store_b64 v[84:85], v[96:97]
.LBB32_31:                              ;   in Loop: Header=BB32_8 Depth=1
	s_wait_alu 0xfffe
	s_or_b32 exec_lo, exec_lo, s4
	s_wait_dscnt 0x1
	v_add_nc_u32_e32 v84, v51, v0
	s_wait_dscnt 0x0
	s_delay_alu instid0(VALU_DEP_1)
	v_cmp_lt_i32_e32 vcc_lo, v84, v30
	s_and_b32 exec_lo, exec_lo, vcc_lo
	s_cbranch_execz .LBB32_34
; %bb.32:                               ;   in Loop: Header=BB32_8 Depth=1
	v_ashrrev_i32_e32 v85, 31, v84
	s_mov_b32 s12, 0
	s_delay_alu instid0(VALU_DEP_1)
	v_lshlrev_b64_e32 v[85:86], 3, v[84:85]
.LBB32_33:                              ;   Parent Loop BB32_8 Depth=1
                                        ; =>  This Inner Loop Header: Depth=2
	s_delay_alu instid0(VALU_DEP_1) | instskip(SKIP_1) | instid1(VALU_DEP_2)
	v_add_co_u32 v96, vcc_lo, v23, v85
	s_wait_alu 0xfffd
	v_add_co_ci_u32_e64 v97, null, v4, v86, vcc_lo
	v_add_co_u32 v100, vcc_lo, v5, v85
	s_wait_alu 0xfffd
	v_add_co_ci_u32_e64 v101, null, v6, v86, vcc_lo
	flat_load_b64 v[98:99], v[96:97]
	v_add_nc_u32_e32 v84, v84, v26
	v_add_co_u32 v85, s4, v85, v38
	s_wait_alu 0xf1ff
	v_add_co_ci_u32_e64 v86, null, v86, v39, s4
	s_delay_alu instid0(VALU_DEP_3)
	v_cmp_ge_i32_e32 vcc_lo, v84, v30
	s_wait_alu 0xfffe
	s_or_b32 s12, vcc_lo, s12
	s_wait_loadcnt_dscnt 0x0
	v_mul_f64_e32 v[98:99], v[28:29], v[98:99]
	flat_store_b64 v[96:97], v[98:99]
	flat_load_b64 v[96:97], v[100:101]
	s_wait_loadcnt_dscnt 0x0
	v_mul_f64_e32 v[96:97], v[28:29], v[96:97]
	flat_store_b64 v[100:101], v[96:97]
	s_wait_alu 0xfffe
	s_and_not1_b32 exec_lo, exec_lo, s12
	s_cbranch_execnz .LBB32_33
.LBB32_34:                              ;   in Loop: Header=BB32_8 Depth=1
	s_wait_alu 0xfffe
	s_or_b32 exec_lo, exec_lo, s6
                                        ; implicit-def: $vgpr28_vgpr29
.LBB32_35:                              ;   in Loop: Header=BB32_8 Depth=1
	s_wait_alu 0xfffe
	s_and_not1_saveexec_b32 s5, s5
	s_cbranch_execz .LBB32_42
; %bb.36:                               ;   in Loop: Header=BB32_8 Depth=1
	v_div_scale_f64 v[30:31], null, v[19:20], v[19:20], v[28:29]
	s_clause 0x1
	global_load_b32 v51, v[21:22], off offset:16
	global_load_b32 v86, v[21:22], off offset:32
	v_rcp_f64_e32 v[84:85], v[30:31]
	s_delay_alu instid0(TRANS32_DEP_1) | instskip(NEXT) | instid1(VALU_DEP_1)
	v_fma_f64 v[96:97], -v[30:31], v[84:85], 1.0
	v_fma_f64 v[84:85], v[84:85], v[96:97], v[84:85]
	s_delay_alu instid0(VALU_DEP_1) | instskip(NEXT) | instid1(VALU_DEP_1)
	v_fma_f64 v[96:97], -v[30:31], v[84:85], 1.0
	v_fma_f64 v[84:85], v[84:85], v[96:97], v[84:85]
	v_div_scale_f64 v[96:97], vcc_lo, v[28:29], v[19:20], v[28:29]
	s_delay_alu instid0(VALU_DEP_1) | instskip(NEXT) | instid1(VALU_DEP_1)
	v_mul_f64_e32 v[98:99], v[96:97], v[84:85]
	v_fma_f64 v[30:31], -v[30:31], v[98:99], v[96:97]
	s_wait_alu 0xfffd
	s_delay_alu instid0(VALU_DEP_1) | instskip(NEXT) | instid1(VALU_DEP_1)
	v_div_fmas_f64 v[30:31], v[30:31], v[84:85], v[98:99]
	v_div_fixup_f64 v[28:29], v[30:31], v[19:20], v[28:29]
	s_wait_loadcnt 0x1
	ds_load_b32 v51, v51
	s_wait_loadcnt 0x0
	ds_load_b32 v30, v86
	s_and_saveexec_b32 s4, s2
	s_cbranch_execz .LBB32_38
; %bb.37:                               ;   in Loop: Header=BB32_8 Depth=1
	s_wait_dscnt 0x0
	v_ashrrev_i32_e32 v31, 31, v30
	s_delay_alu instid0(VALU_DEP_1) | instskip(NEXT) | instid1(VALU_DEP_1)
	v_lshlrev_b64_e32 v[84:85], 3, v[30:31]
	v_add_co_u32 v84, vcc_lo, v23, v84
	s_wait_alu 0xfffd
	s_delay_alu instid0(VALU_DEP_2)
	v_add_co_ci_u32_e64 v85, null, v4, v85, vcc_lo
	flat_load_b64 v[96:97], v[84:85]
	s_wait_loadcnt_dscnt 0x0
	v_mul_f64_e32 v[96:97], v[28:29], v[96:97]
	flat_store_b64 v[84:85], v[96:97]
.LBB32_38:                              ;   in Loop: Header=BB32_8 Depth=1
	s_wait_alu 0xfffe
	s_or_b32 exec_lo, exec_lo, s4
	s_wait_dscnt 0x1
	v_add_nc_u32_e32 v84, v51, v0
	s_mov_b32 s6, exec_lo
	s_wait_dscnt 0x0
	s_delay_alu instid0(VALU_DEP_1)
	v_cmpx_lt_i32_e64 v84, v30
	s_cbranch_execz .LBB32_41
; %bb.39:                               ;   in Loop: Header=BB32_8 Depth=1
	v_ashrrev_i32_e32 v85, 31, v84
	s_mov_b32 s12, 0
	s_delay_alu instid0(VALU_DEP_1)
	v_lshlrev_b64_e32 v[85:86], 3, v[84:85]
.LBB32_40:                              ;   Parent Loop BB32_8 Depth=1
                                        ; =>  This Inner Loop Header: Depth=2
	s_delay_alu instid0(VALU_DEP_1) | instskip(SKIP_1) | instid1(VALU_DEP_2)
	v_add_co_u32 v96, vcc_lo, v23, v85
	s_wait_alu 0xfffd
	v_add_co_ci_u32_e64 v97, null, v4, v86, vcc_lo
	v_add_co_u32 v100, vcc_lo, v5, v85
	s_wait_alu 0xfffd
	v_add_co_ci_u32_e64 v101, null, v6, v86, vcc_lo
	flat_load_b64 v[98:99], v[96:97]
	v_add_nc_u32_e32 v84, v84, v26
	v_add_co_u32 v85, s4, v85, v38
	s_wait_alu 0xf1ff
	v_add_co_ci_u32_e64 v86, null, v86, v39, s4
	s_delay_alu instid0(VALU_DEP_3)
	v_cmp_ge_i32_e32 vcc_lo, v84, v30
	s_wait_alu 0xfffe
	s_or_b32 s12, vcc_lo, s12
	s_wait_loadcnt_dscnt 0x0
	v_mul_f64_e32 v[98:99], v[28:29], v[98:99]
	flat_store_b64 v[96:97], v[98:99]
	flat_load_b64 v[96:97], v[100:101]
	s_wait_loadcnt_dscnt 0x0
	v_mul_f64_e32 v[96:97], v[28:29], v[96:97]
	flat_store_b64 v[100:101], v[96:97]
	s_wait_alu 0xfffe
	s_and_not1_b32 exec_lo, exec_lo, s12
	s_cbranch_execnz .LBB32_40
.LBB32_41:                              ;   in Loop: Header=BB32_8 Depth=1
	s_wait_alu 0xfffe
	s_or_b32 exec_lo, exec_lo, s6
.LBB32_42:                              ;   in Loop: Header=BB32_8 Depth=1
	s_wait_alu 0xfffe
	s_or_b32 exec_lo, exec_lo, s5
	s_wait_storecnt 0x0
	s_wait_loadcnt_dscnt 0x0
	s_barrier_signal -1
	s_barrier_wait -1
	global_inv scope:SCOPE_SE
	ds_load_b32 v51, v82
	ds_load_b32 v84, v33
	;; [unrolled: 1-line block ×3, first 2 shown]
	s_mov_b32 s5, exec_lo
	s_wait_dscnt 0x0
	v_cmp_lt_i32_e64 s4, v98, v14
	v_cmpx_ge_i32_e64 v51, v84
	s_wait_alu 0xfffe
	s_xor_b32 s12, exec_lo, s5
	s_cbranch_execz .LBB32_141
; %bb.43:                               ;   in Loop: Header=BB32_8 Depth=1
	s_and_saveexec_b32 s13, s4
	s_cbranch_execz .LBB32_140
; %bb.44:                               ;   in Loop: Header=BB32_8 Depth=1
	s_mov_b32 s14, 0
	s_branch .LBB32_47
.LBB32_45:                              ;   in Loop: Header=BB32_47 Depth=2
	s_wait_alu 0xfffe
	s_or_b32 exec_lo, exec_lo, s16
	s_wait_storecnt 0x0
	s_wait_loadcnt_dscnt 0x0
	s_barrier_signal -1
	s_barrier_wait -1
	global_inv scope:SCOPE_SE
	ds_load_b32 v84, v33
.LBB32_46:                              ;   in Loop: Header=BB32_47 Depth=2
	s_wait_alu 0xfffe
	s_or_b32 exec_lo, exec_lo, s15
	ds_load_b32 v51, v82
	ds_load_b32 v98, v167
	s_wait_dscnt 0x1
	v_cmp_gt_i32_e32 vcc_lo, v84, v51
	s_wait_dscnt 0x0
	v_cmp_ge_i32_e64 s5, v98, v14
	s_or_b32 s5, vcc_lo, s5
	s_wait_alu 0xfffe
	s_and_b32 s5, exec_lo, s5
	s_wait_alu 0xfffe
	s_or_b32 s14, s5, s14
	s_wait_alu 0xfffe
	s_and_not1_b32 exec_lo, exec_lo, s14
	s_cbranch_execz .LBB32_139
.LBB32_47:                              ;   Parent Loop BB32_8 Depth=1
                                        ; =>  This Loop Header: Depth=2
                                        ;       Child Loop BB32_84 Depth 3
                                        ;       Child Loop BB32_69 Depth 3
	;; [unrolled: 1-line block ×3, first 2 shown]
                                        ;         Child Loop BB32_128 Depth 4
                                        ; implicit-def: $vgpr178
	s_and_saveexec_b32 s5, s0
	s_wait_alu 0xfffe
	s_xor_b32 s5, exec_lo, s5
	s_cbranch_execz .LBB32_49
; %bb.48:                               ;   in Loop: Header=BB32_47 Depth=2
	global_load_b32 v178, v[21:22], off offset:4
                                        ; implicit-def: $vgpr84
                                        ; implicit-def: $vgpr51
                                        ; implicit-def: $vgpr98
.LBB32_49:                              ;   in Loop: Header=BB32_47 Depth=2
	s_wait_alu 0xfffe
	s_and_not1_saveexec_b32 s6, s5
	s_cbranch_execz .LBB32_122
; %bb.50:                               ;   in Loop: Header=BB32_47 Depth=2
	v_ashrrev_i32_e32 v85, 31, v84
	s_mov_b32 s5, 0
	s_mov_b32 s15, 0
	s_mov_b32 s16, exec_lo
                                        ; implicit-def: $vgpr29_vgpr30
	v_cmpx_ge_i32_e64 v84, v51
	s_wait_alu 0xfffe
	s_xor_b32 s16, exec_lo, s16
	s_cbranch_execnz .LBB32_81
; %bb.51:                               ;   in Loop: Header=BB32_47 Depth=2
	s_wait_alu 0xfffe
	s_or_saveexec_b32 s16, s16
	v_mov_b32_e32 v28, v84
	s_wait_alu 0xfffe
	s_xor_b32 exec_lo, exec_lo, s16
	s_cbranch_execnz .LBB32_82
.LBB32_52:                              ;   in Loop: Header=BB32_47 Depth=2
	s_or_b32 exec_lo, exec_lo, s16
                                        ; implicit-def: $vgpr178
	s_and_saveexec_b32 s16, s15
	s_cbranch_execnz .LBB32_87
.LBB32_53:                              ;   in Loop: Header=BB32_47 Depth=2
	s_wait_alu 0xfffe
	s_or_b32 exec_lo, exec_lo, s16
	s_and_saveexec_b32 s15, s5
	s_cbranch_execz .LBB32_55
.LBB32_54:                              ;   in Loop: Header=BB32_47 Depth=2
	s_wait_loadcnt 0x0
	s_clause 0x1
	global_load_b32 v178, v[21:22], off offset:4
	global_load_b32 v31, v[21:22], off offset:16
	v_dual_mov_b32 v29, v64 :: v_dual_mov_b32 v28, v177
	v_dual_mov_b32 v51, v50 :: v_dual_mov_b32 v30, v65
	s_wait_loadcnt 0x1
	ds_store_b32 v178, v177
	s_wait_loadcnt 0x0
	ds_store_b32 v31, v84
	flat_store_b64 v[68:69], v[50:51]
.LBB32_55:                              ;   in Loop: Header=BB32_47 Depth=2
	s_wait_alu 0xfffe
	s_or_b32 exec_lo, exec_lo, s15
	v_lshlrev_b64_e32 v[96:97], 3, v[29:30]
	v_add_nc_u32_e32 v29, 1, v84
	s_mov_b32 s5, exec_lo
	s_delay_alu instid0(VALU_DEP_2) | instskip(SKIP_1) | instid1(VALU_DEP_3)
	v_add_co_u32 v85, vcc_lo, v23, v96
	s_wait_alu 0xfffd
	v_add_co_ci_u32_e64 v86, null, v4, v97, vcc_lo
	flat_load_b64 v[112:113], v[85:86]
	global_load_b32 v179, v[21:22], off offset:8
	s_wait_loadcnt_dscnt 0x0
	ds_store_b64 v179, v[112:113]
	v_cmpx_ne_u32_e64 v28, v84
	s_wait_alu 0xfffe
	s_xor_b32 s15, exec_lo, s5
	s_cbranch_execz .LBB32_119
; %bb.56:                               ;   in Loop: Header=BB32_47 Depth=2
	s_mov_b32 s5, exec_lo
	v_cmpx_ne_u32_e64 v28, v29
	s_wait_alu 0xfffe
	s_xor_b32 s16, exec_lo, s5
	s_cbranch_execz .LBB32_91
; %bb.57:                               ;   in Loop: Header=BB32_47 Depth=2
	v_add_co_u32 v30, vcc_lo, v5, v96
	s_wait_alu 0xfffd
	v_add_co_ci_u32_e64 v31, null, v6, v97, vcc_lo
	s_mov_b32 s17, exec_lo
	flat_load_b64 v[96:97], v[85:86] offset:8
	flat_load_b64 v[114:115], v[30:31]
	s_wait_loadcnt_dscnt 0x101
	v_add_f64_e64 v[96:97], v[96:97], -v[112:113]
	s_wait_loadcnt_dscnt 0x0
	v_add_f64_e32 v[99:100], v[114:115], v[114:115]
	s_delay_alu instid0(VALU_DEP_1) | instskip(SKIP_1) | instid1(VALU_DEP_2)
	v_div_scale_f64 v[101:102], null, v[99:100], v[99:100], v[96:97]
	v_div_scale_f64 v[128:129], vcc_lo, v[96:97], v[99:100], v[96:97]
	v_rcp_f64_e32 v[116:117], v[101:102]
	s_delay_alu instid0(TRANS32_DEP_1) | instskip(NEXT) | instid1(VALU_DEP_1)
	v_fma_f64 v[118:119], -v[101:102], v[116:117], 1.0
	v_fma_f64 v[116:117], v[116:117], v[118:119], v[116:117]
	s_delay_alu instid0(VALU_DEP_1) | instskip(NEXT) | instid1(VALU_DEP_1)
	v_fma_f64 v[118:119], -v[101:102], v[116:117], 1.0
	v_fma_f64 v[116:117], v[116:117], v[118:119], v[116:117]
	s_delay_alu instid0(VALU_DEP_1) | instskip(NEXT) | instid1(VALU_DEP_1)
	v_mul_f64_e32 v[118:119], v[128:129], v[116:117]
	v_fma_f64 v[101:102], -v[101:102], v[118:119], v[128:129]
	s_wait_alu 0xfffd
	s_delay_alu instid0(VALU_DEP_1) | instskip(NEXT) | instid1(VALU_DEP_1)
	v_div_fmas_f64 v[101:102], v[101:102], v[116:117], v[118:119]
	v_div_fixup_f64 v[96:97], v[101:102], v[99:100], v[96:97]
	s_delay_alu instid0(VALU_DEP_1) | instskip(NEXT) | instid1(VALU_DEP_1)
	v_fma_f64 v[99:100], v[96:97], v[96:97], 1.0
	v_cmp_gt_f64_e32 vcc_lo, 0x10000000, v[99:100]
	s_wait_alu 0xfffd
	v_cndmask_b32_e64 v29, 0, 0x100, vcc_lo
	s_delay_alu instid0(VALU_DEP_1) | instskip(SKIP_1) | instid1(VALU_DEP_2)
	v_ldexp_f64 v[99:100], v[99:100], v29
	v_cndmask_b32_e64 v29, 0, 0xffffff80, vcc_lo
	v_rsq_f64_e32 v[101:102], v[99:100]
	v_cmp_class_f64_e64 vcc_lo, v[99:100], 0x260
	s_delay_alu instid0(TRANS32_DEP_1) | instskip(SKIP_1) | instid1(VALU_DEP_1)
	v_mul_f64_e32 v[116:117], v[99:100], v[101:102]
	v_mul_f64_e32 v[101:102], 0.5, v[101:102]
	v_fma_f64 v[118:119], -v[101:102], v[116:117], 0.5
	s_delay_alu instid0(VALU_DEP_1) | instskip(SKIP_1) | instid1(VALU_DEP_2)
	v_fma_f64 v[116:117], v[116:117], v[118:119], v[116:117]
	v_fma_f64 v[101:102], v[101:102], v[118:119], v[101:102]
	v_fma_f64 v[118:119], -v[116:117], v[116:117], v[99:100]
	s_delay_alu instid0(VALU_DEP_1) | instskip(NEXT) | instid1(VALU_DEP_1)
	v_fma_f64 v[116:117], v[118:119], v[101:102], v[116:117]
	v_fma_f64 v[118:119], -v[116:117], v[116:117], v[99:100]
	s_delay_alu instid0(VALU_DEP_1) | instskip(NEXT) | instid1(VALU_DEP_1)
	v_fma_f64 v[101:102], v[118:119], v[101:102], v[116:117]
	v_ldexp_f64 v[101:102], v[101:102], v29
	s_wait_alu 0xfffd
	s_delay_alu instid0(VALU_DEP_1) | instskip(NEXT) | instid1(VALU_DEP_1)
	v_cndmask_b32_e32 v29, v102, v100, vcc_lo
	v_and_b32_e32 v51, 0x7fffffff, v29
	v_or_b32_e32 v29, 0x80000000, v29
	s_delay_alu instid0(VALU_DEP_4) | instskip(SKIP_2) | instid1(VALU_DEP_3)
	v_cndmask_b32_e32 v99, v101, v99, vcc_lo
	v_cmp_nle_f64_e32 vcc_lo, 0, v[96:97]
	s_wait_alu 0xfffd
	v_cndmask_b32_e32 v100, v51, v29, vcc_lo
	v_ashrrev_i32_e32 v29, 31, v28
	v_mov_b32_e32 v51, v50
	s_delay_alu instid0(VALU_DEP_3) | instskip(NEXT) | instid1(VALU_DEP_3)
	v_add_f64_e32 v[96:97], v[96:97], v[99:100]
	v_lshlrev_b64_e32 v[102:103], 3, v[28:29]
	v_dual_mov_b32 v98, 0 :: v_dual_add_nc_u32 v29, 1, v98
	v_mov_b32_e32 v99, 0
	s_delay_alu instid0(VALU_DEP_3) | instskip(SKIP_1) | instid1(VALU_DEP_4)
	v_add_co_u32 v100, vcc_lo, v23, v102
	s_wait_alu 0xfffd
	v_add_co_ci_u32_e64 v101, null, v4, v103, vcc_lo
	flat_load_b64 v[118:119], v[100:101]
	ds_store_b32 v167, v29
	ds_store_b64 v179, v[50:51]
	v_div_scale_f64 v[116:117], null, v[96:97], v[96:97], v[114:115]
	s_delay_alu instid0(VALU_DEP_1) | instskip(NEXT) | instid1(TRANS32_DEP_1)
	v_rcp_f64_e32 v[128:129], v[116:117]
	v_fma_f64 v[130:131], -v[116:117], v[128:129], 1.0
	s_delay_alu instid0(VALU_DEP_1) | instskip(NEXT) | instid1(VALU_DEP_1)
	v_fma_f64 v[128:129], v[128:129], v[130:131], v[128:129]
	v_fma_f64 v[130:131], -v[116:117], v[128:129], 1.0
	s_delay_alu instid0(VALU_DEP_1) | instskip(SKIP_1) | instid1(VALU_DEP_1)
	v_fma_f64 v[128:129], v[128:129], v[130:131], v[128:129]
	v_div_scale_f64 v[130:131], vcc_lo, v[114:115], v[96:97], v[114:115]
	v_mul_f64_e32 v[132:133], v[130:131], v[128:129]
	s_delay_alu instid0(VALU_DEP_1) | instskip(SKIP_3) | instid1(VALU_DEP_2)
	v_fma_f64 v[116:117], -v[116:117], v[132:133], v[130:131]
	s_wait_loadcnt_dscnt 0x2
	v_add_f64_e64 v[112:113], v[118:119], -v[112:113]
	s_wait_alu 0xfffd
	v_div_fmas_f64 v[116:117], v[116:117], v[128:129], v[132:133]
	s_delay_alu instid0(VALU_DEP_1) | instskip(NEXT) | instid1(VALU_DEP_1)
	v_div_fixup_f64 v[96:97], v[116:117], v[96:97], v[114:115]
	v_add_f64_e32 v[96:97], v[112:113], v[96:97]
	v_cmpx_gt_i32_e64 v28, v84
	s_cbranch_execz .LBB32_90
; %bb.58:                               ;   in Loop: Header=BB32_47 Depth=2
	v_add_co_u32 v98, vcc_lo, v5, v102
	s_wait_alu 0xfffd
	v_add_co_ci_u32_e64 v99, null, v6, v103, vcc_lo
	v_mov_b32_e32 v118, 0
	v_mov_b32_e32 v119, 0
	s_mov_b32 s5, exec_lo
	flat_load_b64 v[112:113], v[98:99] offset:-8
	v_mov_b32_e32 v98, 0
	v_mov_b32_e32 v99, 0x3ff00000
	s_wait_loadcnt_dscnt 0x0
	v_cmpx_neq_f64_e32 0, v[112:113]
	s_cbranch_execz .LBB32_66
; %bb.59:                               ;   in Loop: Header=BB32_47 Depth=2
	v_mov_b32_e32 v98, 0
	v_dual_mov_b32 v99, 0 :: v_dual_mov_b32 v118, 0
	v_mov_b32_e32 v119, 0x3ff00000
	s_mov_b32 s18, exec_lo
	v_cmpx_neq_f64_e32 0, v[96:97]
	s_cbranch_execz .LBB32_65
; %bb.60:                               ;   in Loop: Header=BB32_47 Depth=2
	v_cmp_ngt_f64_e64 s19, |v[112:113]|, |v[96:97]|
                                        ; implicit-def: $vgpr118_vgpr119
                                        ; implicit-def: $vgpr98_vgpr99
	s_and_saveexec_b32 s20, s19
	s_wait_alu 0xfffe
	s_xor_b32 s19, exec_lo, s20
	s_cbranch_execz .LBB32_62
; %bb.61:                               ;   in Loop: Header=BB32_47 Depth=2
	v_div_scale_f64 v[98:99], null, v[96:97], v[96:97], -v[112:113]
	v_div_scale_f64 v[118:119], vcc_lo, -v[112:113], v[96:97], -v[112:113]
	s_delay_alu instid0(VALU_DEP_2) | instskip(NEXT) | instid1(TRANS32_DEP_1)
	v_rcp_f64_e32 v[114:115], v[98:99]
	v_fma_f64 v[116:117], -v[98:99], v[114:115], 1.0
	s_delay_alu instid0(VALU_DEP_1) | instskip(NEXT) | instid1(VALU_DEP_1)
	v_fma_f64 v[114:115], v[114:115], v[116:117], v[114:115]
	v_fma_f64 v[116:117], -v[98:99], v[114:115], 1.0
	s_delay_alu instid0(VALU_DEP_1) | instskip(NEXT) | instid1(VALU_DEP_1)
	v_fma_f64 v[114:115], v[114:115], v[116:117], v[114:115]
	v_mul_f64_e32 v[116:117], v[118:119], v[114:115]
	s_delay_alu instid0(VALU_DEP_1) | instskip(SKIP_1) | instid1(VALU_DEP_1)
	v_fma_f64 v[98:99], -v[98:99], v[116:117], v[118:119]
	s_wait_alu 0xfffd
	v_div_fmas_f64 v[98:99], v[98:99], v[114:115], v[116:117]
	s_delay_alu instid0(VALU_DEP_1) | instskip(NEXT) | instid1(VALU_DEP_1)
	v_div_fixup_f64 v[96:97], v[98:99], v[96:97], -v[112:113]
	v_fma_f64 v[98:99], v[96:97], v[96:97], 1.0
	s_delay_alu instid0(VALU_DEP_1) | instskip(SKIP_2) | instid1(VALU_DEP_1)
	v_cmp_gt_f64_e32 vcc_lo, 0x10000000, v[98:99]
	s_wait_alu 0xfffd
	v_cndmask_b32_e64 v29, 0, 0x100, vcc_lo
	v_ldexp_f64 v[98:99], v[98:99], v29
	v_cndmask_b32_e64 v29, 0, 0xffffff80, vcc_lo
	s_delay_alu instid0(VALU_DEP_2) | instskip(SKIP_1) | instid1(TRANS32_DEP_1)
	v_rsq_f64_e32 v[114:115], v[98:99]
	v_cmp_class_f64_e64 vcc_lo, v[98:99], 0x260
	v_mul_f64_e32 v[116:117], v[98:99], v[114:115]
	v_mul_f64_e32 v[114:115], 0.5, v[114:115]
	s_delay_alu instid0(VALU_DEP_1) | instskip(NEXT) | instid1(VALU_DEP_1)
	v_fma_f64 v[118:119], -v[114:115], v[116:117], 0.5
	v_fma_f64 v[116:117], v[116:117], v[118:119], v[116:117]
	v_fma_f64 v[114:115], v[114:115], v[118:119], v[114:115]
	s_delay_alu instid0(VALU_DEP_2) | instskip(NEXT) | instid1(VALU_DEP_1)
	v_fma_f64 v[118:119], -v[116:117], v[116:117], v[98:99]
	v_fma_f64 v[116:117], v[118:119], v[114:115], v[116:117]
	s_delay_alu instid0(VALU_DEP_1) | instskip(NEXT) | instid1(VALU_DEP_1)
	v_fma_f64 v[118:119], -v[116:117], v[116:117], v[98:99]
	v_fma_f64 v[114:115], v[118:119], v[114:115], v[116:117]
	s_delay_alu instid0(VALU_DEP_1) | instskip(SKIP_1) | instid1(VALU_DEP_1)
	v_ldexp_f64 v[114:115], v[114:115], v29
	s_wait_alu 0xfffd
	v_dual_cndmask_b32 v99, v115, v99 :: v_dual_cndmask_b32 v98, v114, v98
	s_delay_alu instid0(VALU_DEP_1) | instskip(NEXT) | instid1(VALU_DEP_1)
	v_div_scale_f64 v[114:115], null, v[98:99], v[98:99], 1.0
	v_rcp_f64_e32 v[116:117], v[114:115]
	s_delay_alu instid0(TRANS32_DEP_1) | instskip(NEXT) | instid1(VALU_DEP_1)
	v_fma_f64 v[118:119], -v[114:115], v[116:117], 1.0
	v_fma_f64 v[116:117], v[116:117], v[118:119], v[116:117]
	s_delay_alu instid0(VALU_DEP_1) | instskip(NEXT) | instid1(VALU_DEP_1)
	v_fma_f64 v[118:119], -v[114:115], v[116:117], 1.0
	v_fma_f64 v[116:117], v[116:117], v[118:119], v[116:117]
	v_div_scale_f64 v[118:119], vcc_lo, 1.0, v[98:99], 1.0
	s_delay_alu instid0(VALU_DEP_1) | instskip(NEXT) | instid1(VALU_DEP_1)
	v_mul_f64_e32 v[128:129], v[118:119], v[116:117]
	v_fma_f64 v[114:115], -v[114:115], v[128:129], v[118:119]
	s_wait_alu 0xfffd
	s_delay_alu instid0(VALU_DEP_1) | instskip(NEXT) | instid1(VALU_DEP_1)
	v_div_fmas_f64 v[114:115], v[114:115], v[116:117], v[128:129]
	v_div_fixup_f64 v[98:99], v[114:115], v[98:99], 1.0
	s_delay_alu instid0(VALU_DEP_1)
	v_mul_f64_e32 v[118:119], v[96:97], v[98:99]
                                        ; implicit-def: $vgpr96_vgpr97
.LBB32_62:                              ;   in Loop: Header=BB32_47 Depth=2
	s_wait_alu 0xfffe
	s_and_not1_saveexec_b32 s19, s19
	s_cbranch_execz .LBB32_64
; %bb.63:                               ;   in Loop: Header=BB32_47 Depth=2
	v_div_scale_f64 v[98:99], null, v[112:113], v[112:113], -v[96:97]
	v_div_scale_f64 v[118:119], vcc_lo, -v[96:97], v[112:113], -v[96:97]
	s_delay_alu instid0(VALU_DEP_2) | instskip(NEXT) | instid1(TRANS32_DEP_1)
	v_rcp_f64_e32 v[114:115], v[98:99]
	v_fma_f64 v[116:117], -v[98:99], v[114:115], 1.0
	s_delay_alu instid0(VALU_DEP_1) | instskip(NEXT) | instid1(VALU_DEP_1)
	v_fma_f64 v[114:115], v[114:115], v[116:117], v[114:115]
	v_fma_f64 v[116:117], -v[98:99], v[114:115], 1.0
	s_delay_alu instid0(VALU_DEP_1) | instskip(NEXT) | instid1(VALU_DEP_1)
	v_fma_f64 v[114:115], v[114:115], v[116:117], v[114:115]
	v_mul_f64_e32 v[116:117], v[118:119], v[114:115]
	s_delay_alu instid0(VALU_DEP_1) | instskip(SKIP_1) | instid1(VALU_DEP_1)
	v_fma_f64 v[98:99], -v[98:99], v[116:117], v[118:119]
	s_wait_alu 0xfffd
	v_div_fmas_f64 v[98:99], v[98:99], v[114:115], v[116:117]
	s_delay_alu instid0(VALU_DEP_1) | instskip(NEXT) | instid1(VALU_DEP_1)
	v_div_fixup_f64 v[96:97], v[98:99], v[112:113], -v[96:97]
	v_fma_f64 v[98:99], v[96:97], v[96:97], 1.0
	s_delay_alu instid0(VALU_DEP_1) | instskip(SKIP_2) | instid1(VALU_DEP_1)
	v_cmp_gt_f64_e32 vcc_lo, 0x10000000, v[98:99]
	s_wait_alu 0xfffd
	v_cndmask_b32_e64 v29, 0, 0x100, vcc_lo
	v_ldexp_f64 v[98:99], v[98:99], v29
	v_cndmask_b32_e64 v29, 0, 0xffffff80, vcc_lo
	s_delay_alu instid0(VALU_DEP_2) | instskip(SKIP_1) | instid1(TRANS32_DEP_1)
	v_rsq_f64_e32 v[114:115], v[98:99]
	v_cmp_class_f64_e64 vcc_lo, v[98:99], 0x260
	v_mul_f64_e32 v[116:117], v[98:99], v[114:115]
	v_mul_f64_e32 v[114:115], 0.5, v[114:115]
	s_delay_alu instid0(VALU_DEP_1) | instskip(NEXT) | instid1(VALU_DEP_1)
	v_fma_f64 v[118:119], -v[114:115], v[116:117], 0.5
	v_fma_f64 v[116:117], v[116:117], v[118:119], v[116:117]
	v_fma_f64 v[114:115], v[114:115], v[118:119], v[114:115]
	s_delay_alu instid0(VALU_DEP_2) | instskip(NEXT) | instid1(VALU_DEP_1)
	v_fma_f64 v[118:119], -v[116:117], v[116:117], v[98:99]
	v_fma_f64 v[116:117], v[118:119], v[114:115], v[116:117]
	s_delay_alu instid0(VALU_DEP_1) | instskip(NEXT) | instid1(VALU_DEP_1)
	v_fma_f64 v[118:119], -v[116:117], v[116:117], v[98:99]
	v_fma_f64 v[114:115], v[118:119], v[114:115], v[116:117]
	s_delay_alu instid0(VALU_DEP_1) | instskip(SKIP_1) | instid1(VALU_DEP_1)
	v_ldexp_f64 v[114:115], v[114:115], v29
	s_wait_alu 0xfffd
	v_dual_cndmask_b32 v99, v115, v99 :: v_dual_cndmask_b32 v98, v114, v98
	s_delay_alu instid0(VALU_DEP_1) | instskip(NEXT) | instid1(VALU_DEP_1)
	v_div_scale_f64 v[114:115], null, v[98:99], v[98:99], 1.0
	v_rcp_f64_e32 v[116:117], v[114:115]
	s_delay_alu instid0(TRANS32_DEP_1) | instskip(NEXT) | instid1(VALU_DEP_1)
	v_fma_f64 v[118:119], -v[114:115], v[116:117], 1.0
	v_fma_f64 v[116:117], v[116:117], v[118:119], v[116:117]
	s_delay_alu instid0(VALU_DEP_1) | instskip(NEXT) | instid1(VALU_DEP_1)
	v_fma_f64 v[118:119], -v[114:115], v[116:117], 1.0
	v_fma_f64 v[116:117], v[116:117], v[118:119], v[116:117]
	v_div_scale_f64 v[118:119], vcc_lo, 1.0, v[98:99], 1.0
	s_delay_alu instid0(VALU_DEP_1) | instskip(NEXT) | instid1(VALU_DEP_1)
	v_mul_f64_e32 v[128:129], v[118:119], v[116:117]
	v_fma_f64 v[114:115], -v[114:115], v[128:129], v[118:119]
	s_wait_alu 0xfffd
	s_delay_alu instid0(VALU_DEP_1) | instskip(NEXT) | instid1(VALU_DEP_1)
	v_div_fmas_f64 v[114:115], v[114:115], v[116:117], v[128:129]
	v_div_fixup_f64 v[118:119], v[114:115], v[98:99], 1.0
	s_delay_alu instid0(VALU_DEP_1)
	v_mul_f64_e32 v[98:99], v[96:97], v[118:119]
.LBB32_64:                              ;   in Loop: Header=BB32_47 Depth=2
	s_wait_alu 0xfffe
	s_or_b32 exec_lo, exec_lo, s19
.LBB32_65:                              ;   in Loop: Header=BB32_47 Depth=2
	s_wait_alu 0xfffe
	s_or_b32 exec_lo, exec_lo, s18
.LBB32_66:                              ;   in Loop: Header=BB32_47 Depth=2
	s_wait_alu 0xfffe
	s_or_b32 exec_lo, exec_lo, s5
	flat_load_b128 v[114:117], v[100:101] offset:-8
	v_add_nc_u32_e32 v128, -1, v28
	v_add_co_u32 v102, vcc_lo, v12, v102
	s_wait_alu 0xfffd
	v_add_co_ci_u32_e64 v103, null, v13, v103, vcc_lo
	s_delay_alu instid0(VALU_DEP_3) | instskip(SKIP_4) | instid1(VALU_DEP_2)
	v_ashrrev_i32_e32 v129, 31, v128
	s_mov_b32 s18, exec_lo
	s_wait_loadcnt_dscnt 0x0
	v_add_f64_e64 v[96:97], v[114:115], -v[116:117]
	v_add_f64_e32 v[114:115], v[98:99], v[98:99]
	v_mul_f64_e32 v[96:97], v[118:119], v[96:97]
	s_delay_alu instid0(VALU_DEP_1) | instskip(NEXT) | instid1(VALU_DEP_1)
	v_fma_f64 v[96:97], v[112:113], v[114:115], -v[96:97]
	v_mul_f64_e64 v[114:115], v[96:97], -v[118:119]
	v_fma_f64 v[116:117], v[96:97], -v[118:119], v[116:117]
	v_fma_f64 v[96:97], v[98:99], v[96:97], -v[112:113]
	v_lshlrev_b64_e32 v[112:113], 3, v[128:129]
	s_delay_alu instid0(VALU_DEP_1) | instskip(SKIP_1) | instid1(VALU_DEP_2)
	v_add_co_u32 v129, vcc_lo, v3, v112
	s_wait_alu 0xfffd
	v_add_co_ci_u32_e64 v130, null, v11, v113, vcc_lo
	ds_store_b64 v179, v[114:115]
	flat_store_b64 v[100:101], v[116:117]
	s_clause 0x1
	flat_store_b64 v[102:103], v[98:99] offset:-8
	flat_store_b64 v[129:130], v[118:119] offset:-8
	v_cmpx_gt_i32_e64 v128, v84
	s_cbranch_execz .LBB32_89
; %bb.67:                               ;   in Loop: Header=BB32_47 Depth=2
	v_add_nc_u32_e32 v114, -2, v28
	v_add_co_u32 v100, vcc_lo, v145, v112
	s_wait_alu 0xfffd
	v_add_co_ci_u32_e64 v101, null, v146, v113, vcc_lo
	s_delay_alu instid0(VALU_DEP_3) | instskip(SKIP_3) | instid1(VALU_DEP_3)
	v_ashrrev_i32_e32 v115, 31, v114
	v_add_co_u32 v102, vcc_lo, v147, v112
	s_wait_alu 0xfffd
	v_add_co_ci_u32_e64 v103, null, v148, v113, vcc_lo
	v_lshlrev_b64_e32 v[114:115], 3, v[114:115]
	v_add_co_u32 v112, vcc_lo, v149, v112
	s_wait_alu 0xfffd
	v_add_co_ci_u32_e64 v113, null, v150, v113, vcc_lo
	v_xor_b32_e32 v119, 0x80000000, v119
	s_delay_alu instid0(VALU_DEP_4)
	v_add_co_u32 v114, vcc_lo, v161, v114
	s_wait_alu 0xfffd
	v_add_co_ci_u32_e64 v115, null, v162, v115, vcc_lo
	s_mov_b32 s20, -1
	s_mov_b32 s19, 0
	s_branch .LBB32_69
.LBB32_68:                              ;   in Loop: Header=BB32_69 Depth=3
	flat_load_b128 v[180:183], v[102:103]
	ds_load_b64 v[96:97], v179
	v_mul_f64_e32 v[98:99], v[98:99], v[116:117]
	v_add_f64_e32 v[116:117], v[128:129], v[128:129]
	s_add_co_i32 s20, s20, -1
	v_add_co_u32 v112, vcc_lo, v112, -8
	s_wait_alu 0xfffd
	v_add_co_ci_u32_e64 v113, null, -1, v113, vcc_lo
	s_wait_alu 0xfffe
	v_add_nc_u32_e32 v29, s20, v28
	s_delay_alu instid0(VALU_DEP_1) | instskip(SKIP_3) | instid1(VALU_DEP_1)
	v_cmp_le_i32_e32 vcc_lo, v29, v84
	s_or_b32 s19, vcc_lo, s19
	s_wait_loadcnt_dscnt 0x0
	v_add_f64_e64 v[96:97], v[182:183], -v[96:97]
	v_add_f64_e64 v[118:119], v[180:181], -v[96:97]
	s_delay_alu instid0(VALU_DEP_1) | instskip(NEXT) | instid1(VALU_DEP_1)
	v_mul_f64_e32 v[118:119], v[130:131], v[118:119]
	v_fma_f64 v[116:117], v[98:99], v[116:117], -v[118:119]
	v_mov_b32_e32 v118, v130
	v_xor_b32_e32 v119, 0x80000000, v131
	s_delay_alu instid0(VALU_DEP_3)
	v_mul_f64_e64 v[132:133], v[116:117], -v[130:131]
	v_fma_f64 v[180:181], v[116:117], -v[130:131], v[96:97]
	v_fma_f64 v[96:97], v[128:129], v[116:117], -v[98:99]
	v_dual_mov_b32 v98, v128 :: v_dual_mov_b32 v99, v129
	ds_store_b64 v179, v[132:133]
	flat_store_b64 v[102:103], v[180:181] offset:8
	flat_store_b64 v[100:101], v[128:129]
	flat_store_b64 v[114:115], v[130:131]
	v_add_co_u32 v100, s5, v100, -8
	s_wait_alu 0xf1ff
	v_add_co_ci_u32_e64 v101, null, -1, v101, s5
	v_add_co_u32 v102, s5, v102, -8
	s_wait_alu 0xf1ff
	v_add_co_ci_u32_e64 v103, null, -1, v103, s5
	;; [unrolled: 3-line block ×3, first 2 shown]
	s_wait_alu 0xfffe
	s_and_not1_b32 exec_lo, exec_lo, s19
	s_cbranch_execz .LBB32_88
.LBB32_69:                              ;   Parent Loop BB32_8 Depth=1
                                        ;     Parent Loop BB32_47 Depth=2
                                        ; =>    This Inner Loop Header: Depth=3
	flat_load_b64 v[116:117], v[112:113]
	v_mov_b32_e32 v130, 0
	v_dual_mov_b32 v131, 0 :: v_dual_mov_b32 v128, 0
	v_mov_b32_e32 v129, 0x3ff00000
	s_mov_b32 s5, exec_lo
	s_wait_loadcnt_dscnt 0x0
	v_mul_f64_e32 v[118:119], v[118:119], v[116:117]
	s_delay_alu instid0(VALU_DEP_1)
	v_cmpx_neq_f64_e32 0, v[118:119]
	s_cbranch_execz .LBB32_79
; %bb.70:                               ;   in Loop: Header=BB32_69 Depth=3
	v_xor_b32_e32 v133, 0x80000000, v119
	v_mov_b32_e32 v132, v118
	s_mov_b32 s21, exec_lo
                                        ; implicit-def: $vgpr130_vgpr131
                                        ; implicit-def: $vgpr128_vgpr129
	v_cmpx_neq_f64_e32 0, v[96:97]
	s_wait_alu 0xfffe
	s_xor_b32 s21, exec_lo, s21
	s_cbranch_execz .LBB32_76
; %bb.71:                               ;   in Loop: Header=BB32_69 Depth=3
	v_cmp_ngt_f64_e64 s22, |v[118:119]|, |v[96:97]|
                                        ; implicit-def: $vgpr130_vgpr131
                                        ; implicit-def: $vgpr128_vgpr129
	s_and_saveexec_b32 s23, s22
	s_wait_alu 0xfffe
	s_xor_b32 s22, exec_lo, s23
	s_cbranch_execz .LBB32_73
; %bb.72:                               ;   in Loop: Header=BB32_69 Depth=3
	v_div_scale_f64 v[128:129], null, v[96:97], v[96:97], -v[118:119]
	v_div_scale_f64 v[180:181], vcc_lo, -v[118:119], v[96:97], -v[118:119]
	s_delay_alu instid0(VALU_DEP_2) | instskip(NEXT) | instid1(TRANS32_DEP_1)
	v_rcp_f64_e32 v[130:131], v[128:129]
	v_fma_f64 v[132:133], -v[128:129], v[130:131], 1.0
	s_delay_alu instid0(VALU_DEP_1) | instskip(NEXT) | instid1(VALU_DEP_1)
	v_fma_f64 v[130:131], v[130:131], v[132:133], v[130:131]
	v_fma_f64 v[132:133], -v[128:129], v[130:131], 1.0
	s_delay_alu instid0(VALU_DEP_1) | instskip(NEXT) | instid1(VALU_DEP_1)
	v_fma_f64 v[130:131], v[130:131], v[132:133], v[130:131]
	v_mul_f64_e32 v[132:133], v[180:181], v[130:131]
	s_delay_alu instid0(VALU_DEP_1) | instskip(SKIP_1) | instid1(VALU_DEP_1)
	v_fma_f64 v[128:129], -v[128:129], v[132:133], v[180:181]
	s_wait_alu 0xfffd
	v_div_fmas_f64 v[128:129], v[128:129], v[130:131], v[132:133]
	s_delay_alu instid0(VALU_DEP_1) | instskip(NEXT) | instid1(VALU_DEP_1)
	v_div_fixup_f64 v[130:131], v[128:129], v[96:97], -v[118:119]
	v_fma_f64 v[128:129], v[130:131], v[130:131], 1.0
	s_delay_alu instid0(VALU_DEP_1) | instskip(SKIP_2) | instid1(VALU_DEP_1)
	v_cmp_gt_f64_e32 vcc_lo, 0x10000000, v[128:129]
	s_wait_alu 0xfffd
	v_cndmask_b32_e64 v29, 0, 0x100, vcc_lo
	v_ldexp_f64 v[128:129], v[128:129], v29
	v_cndmask_b32_e64 v29, 0, 0xffffff80, vcc_lo
	s_delay_alu instid0(VALU_DEP_2) | instskip(SKIP_1) | instid1(TRANS32_DEP_1)
	v_rsq_f64_e32 v[132:133], v[128:129]
	v_cmp_class_f64_e64 vcc_lo, v[128:129], 0x260
	v_mul_f64_e32 v[180:181], v[128:129], v[132:133]
	v_mul_f64_e32 v[132:133], 0.5, v[132:133]
	s_delay_alu instid0(VALU_DEP_1) | instskip(NEXT) | instid1(VALU_DEP_1)
	v_fma_f64 v[182:183], -v[132:133], v[180:181], 0.5
	v_fma_f64 v[180:181], v[180:181], v[182:183], v[180:181]
	v_fma_f64 v[132:133], v[132:133], v[182:183], v[132:133]
	s_delay_alu instid0(VALU_DEP_2) | instskip(NEXT) | instid1(VALU_DEP_1)
	v_fma_f64 v[182:183], -v[180:181], v[180:181], v[128:129]
	v_fma_f64 v[180:181], v[182:183], v[132:133], v[180:181]
	s_delay_alu instid0(VALU_DEP_1) | instskip(NEXT) | instid1(VALU_DEP_1)
	v_fma_f64 v[182:183], -v[180:181], v[180:181], v[128:129]
	v_fma_f64 v[132:133], v[182:183], v[132:133], v[180:181]
	s_delay_alu instid0(VALU_DEP_1) | instskip(SKIP_1) | instid1(VALU_DEP_1)
	v_ldexp_f64 v[132:133], v[132:133], v29
	s_wait_alu 0xfffd
	v_dual_cndmask_b32 v129, v133, v129 :: v_dual_cndmask_b32 v128, v132, v128
	s_delay_alu instid0(VALU_DEP_1) | instskip(NEXT) | instid1(VALU_DEP_1)
	v_div_scale_f64 v[132:133], null, v[128:129], v[128:129], 1.0
	v_rcp_f64_e32 v[180:181], v[132:133]
	s_delay_alu instid0(TRANS32_DEP_1) | instskip(NEXT) | instid1(VALU_DEP_1)
	v_fma_f64 v[182:183], -v[132:133], v[180:181], 1.0
	v_fma_f64 v[180:181], v[180:181], v[182:183], v[180:181]
	s_delay_alu instid0(VALU_DEP_1) | instskip(NEXT) | instid1(VALU_DEP_1)
	v_fma_f64 v[182:183], -v[132:133], v[180:181], 1.0
	v_fma_f64 v[180:181], v[180:181], v[182:183], v[180:181]
	v_div_scale_f64 v[182:183], vcc_lo, 1.0, v[128:129], 1.0
	s_delay_alu instid0(VALU_DEP_1) | instskip(NEXT) | instid1(VALU_DEP_1)
	v_mul_f64_e32 v[40:41], v[182:183], v[180:181]
	v_fma_f64 v[132:133], -v[132:133], v[40:41], v[182:183]
	s_wait_alu 0xfffd
	s_delay_alu instid0(VALU_DEP_1) | instskip(NEXT) | instid1(VALU_DEP_1)
	v_div_fmas_f64 v[132:133], v[132:133], v[180:181], v[40:41]
	v_div_fixup_f64 v[128:129], v[132:133], v[128:129], 1.0
	s_delay_alu instid0(VALU_DEP_1)
	v_mul_f64_e32 v[130:131], v[130:131], v[128:129]
.LBB32_73:                              ;   in Loop: Header=BB32_69 Depth=3
	s_wait_alu 0xfffe
	s_and_not1_saveexec_b32 s22, s22
	s_cbranch_execz .LBB32_75
; %bb.74:                               ;   in Loop: Header=BB32_69 Depth=3
	v_div_scale_f64 v[128:129], null, v[118:119], v[118:119], -v[96:97]
	v_div_scale_f64 v[180:181], vcc_lo, -v[96:97], v[118:119], -v[96:97]
	s_delay_alu instid0(VALU_DEP_2) | instskip(NEXT) | instid1(TRANS32_DEP_1)
	v_rcp_f64_e32 v[130:131], v[128:129]
	v_fma_f64 v[132:133], -v[128:129], v[130:131], 1.0
	s_delay_alu instid0(VALU_DEP_1) | instskip(NEXT) | instid1(VALU_DEP_1)
	v_fma_f64 v[130:131], v[130:131], v[132:133], v[130:131]
	v_fma_f64 v[132:133], -v[128:129], v[130:131], 1.0
	s_delay_alu instid0(VALU_DEP_1) | instskip(NEXT) | instid1(VALU_DEP_1)
	v_fma_f64 v[130:131], v[130:131], v[132:133], v[130:131]
	v_mul_f64_e32 v[132:133], v[180:181], v[130:131]
	s_delay_alu instid0(VALU_DEP_1) | instskip(SKIP_1) | instid1(VALU_DEP_1)
	v_fma_f64 v[128:129], -v[128:129], v[132:133], v[180:181]
	s_wait_alu 0xfffd
	v_div_fmas_f64 v[128:129], v[128:129], v[130:131], v[132:133]
	s_delay_alu instid0(VALU_DEP_1) | instskip(NEXT) | instid1(VALU_DEP_1)
	v_div_fixup_f64 v[128:129], v[128:129], v[118:119], -v[96:97]
	v_fma_f64 v[130:131], v[128:129], v[128:129], 1.0
	s_delay_alu instid0(VALU_DEP_1) | instskip(SKIP_2) | instid1(VALU_DEP_1)
	v_cmp_gt_f64_e32 vcc_lo, 0x10000000, v[130:131]
	s_wait_alu 0xfffd
	v_cndmask_b32_e64 v29, 0, 0x100, vcc_lo
	v_ldexp_f64 v[130:131], v[130:131], v29
	v_cndmask_b32_e64 v29, 0, 0xffffff80, vcc_lo
	s_delay_alu instid0(VALU_DEP_2) | instskip(SKIP_1) | instid1(TRANS32_DEP_1)
	v_rsq_f64_e32 v[132:133], v[130:131]
	v_cmp_class_f64_e64 vcc_lo, v[130:131], 0x260
	v_mul_f64_e32 v[180:181], v[130:131], v[132:133]
	v_mul_f64_e32 v[132:133], 0.5, v[132:133]
	s_delay_alu instid0(VALU_DEP_1) | instskip(NEXT) | instid1(VALU_DEP_1)
	v_fma_f64 v[182:183], -v[132:133], v[180:181], 0.5
	v_fma_f64 v[180:181], v[180:181], v[182:183], v[180:181]
	v_fma_f64 v[132:133], v[132:133], v[182:183], v[132:133]
	s_delay_alu instid0(VALU_DEP_2) | instskip(NEXT) | instid1(VALU_DEP_1)
	v_fma_f64 v[182:183], -v[180:181], v[180:181], v[130:131]
	v_fma_f64 v[180:181], v[182:183], v[132:133], v[180:181]
	s_delay_alu instid0(VALU_DEP_1) | instskip(NEXT) | instid1(VALU_DEP_1)
	v_fma_f64 v[182:183], -v[180:181], v[180:181], v[130:131]
	v_fma_f64 v[132:133], v[182:183], v[132:133], v[180:181]
	s_delay_alu instid0(VALU_DEP_1) | instskip(SKIP_1) | instid1(VALU_DEP_1)
	v_ldexp_f64 v[132:133], v[132:133], v29
	s_wait_alu 0xfffd
	v_dual_cndmask_b32 v131, v133, v131 :: v_dual_cndmask_b32 v130, v132, v130
	s_delay_alu instid0(VALU_DEP_1) | instskip(NEXT) | instid1(VALU_DEP_1)
	v_div_scale_f64 v[132:133], null, v[130:131], v[130:131], 1.0
	v_rcp_f64_e32 v[180:181], v[132:133]
	s_delay_alu instid0(TRANS32_DEP_1) | instskip(NEXT) | instid1(VALU_DEP_1)
	v_fma_f64 v[182:183], -v[132:133], v[180:181], 1.0
	v_fma_f64 v[180:181], v[180:181], v[182:183], v[180:181]
	s_delay_alu instid0(VALU_DEP_1) | instskip(NEXT) | instid1(VALU_DEP_1)
	v_fma_f64 v[182:183], -v[132:133], v[180:181], 1.0
	v_fma_f64 v[180:181], v[180:181], v[182:183], v[180:181]
	v_div_scale_f64 v[182:183], vcc_lo, 1.0, v[130:131], 1.0
	s_delay_alu instid0(VALU_DEP_1) | instskip(NEXT) | instid1(VALU_DEP_1)
	v_mul_f64_e32 v[40:41], v[182:183], v[180:181]
	v_fma_f64 v[132:133], -v[132:133], v[40:41], v[182:183]
	s_wait_alu 0xfffd
	s_delay_alu instid0(VALU_DEP_1) | instskip(NEXT) | instid1(VALU_DEP_1)
	v_div_fmas_f64 v[132:133], v[132:133], v[180:181], v[40:41]
	v_div_fixup_f64 v[130:131], v[132:133], v[130:131], 1.0
	s_delay_alu instid0(VALU_DEP_1)
	v_mul_f64_e32 v[128:129], v[128:129], v[130:131]
.LBB32_75:                              ;   in Loop: Header=BB32_69 Depth=3
	s_wait_alu 0xfffe
	s_or_b32 exec_lo, exec_lo, s22
	s_delay_alu instid0(VALU_DEP_1) | instskip(NEXT) | instid1(VALU_DEP_1)
	v_mul_f64_e32 v[118:119], v[118:119], v[130:131]
	v_fma_f64 v[132:133], v[96:97], v[128:129], -v[118:119]
.LBB32_76:                              ;   in Loop: Header=BB32_69 Depth=3
	s_wait_alu 0xfffe
	s_and_not1_saveexec_b32 s21, s21
; %bb.77:                               ;   in Loop: Header=BB32_69 Depth=3
	v_mov_b32_e32 v128, 0
	v_dual_mov_b32 v129, 0 :: v_dual_mov_b32 v130, 0
	v_mov_b32_e32 v131, 0x3ff00000
; %bb.78:                               ;   in Loop: Header=BB32_69 Depth=3
	s_wait_alu 0xfffe
	s_or_b32 exec_lo, exec_lo, s21
	s_delay_alu instid0(VALU_DEP_4)
	v_dual_mov_b32 v96, v132 :: v_dual_mov_b32 v97, v133
.LBB32_79:                              ;   in Loop: Header=BB32_69 Depth=3
	s_wait_alu 0xfffe
	s_or_b32 exec_lo, exec_lo, s5
	s_cmp_eq_u32 s20, 0
	s_cbranch_scc1 .LBB32_68
; %bb.80:                               ;   in Loop: Header=BB32_69 Depth=3
	flat_store_b64 v[112:113], v[96:97] offset:8
	s_branch .LBB32_68
.LBB32_81:                              ;   in Loop: Header=BB32_47 Depth=2
	v_dual_mov_b32 v29, v84 :: v_dual_mov_b32 v30, v85
	s_mov_b32 s15, exec_lo
                                        ; implicit-def: $vgpr51
	s_wait_alu 0xfffe
	s_or_saveexec_b32 s16, s16
	v_mov_b32_e32 v28, v84
	s_wait_alu 0xfffe
	s_xor_b32 exec_lo, exec_lo, s16
	s_cbranch_execz .LBB32_52
.LBB32_82:                              ;   in Loop: Header=BB32_47 Depth=2
	v_lshlrev_b64_e32 v[30:31], 3, v[84:85]
	v_dual_mov_b32 v64, v84 :: v_dual_mov_b32 v65, v85
	v_mov_b32_e32 v85, v84
	s_mov_b32 s18, 0
                                        ; implicit-def: $sgpr17
                                        ; implicit-def: $sgpr20
                                        ; implicit-def: $sgpr19
	s_delay_alu instid0(VALU_DEP_3)
	v_add_co_u32 v28, vcc_lo, v23, v30
	s_wait_alu 0xfffd
	v_add_co_ci_u32_e64 v29, null, v4, v31, vcc_lo
	v_add_co_u32 v30, vcc_lo, v5, v30
	s_wait_alu 0xfffd
	v_add_co_ci_u32_e64 v31, null, v6, v31, vcc_lo
	s_branch .LBB32_84
.LBB32_83:                              ;   in Loop: Header=BB32_84 Depth=3
	s_wait_alu 0xfffe
	s_or_b32 exec_lo, exec_lo, s21
	s_xor_b32 s5, s19, -1
	s_and_b32 s21, exec_lo, s20
	s_wait_alu 0xfffe
	s_or_b32 s18, s21, s18
	s_and_not1_b32 s17, s17, exec_lo
	s_and_b32 s5, s5, exec_lo
	s_wait_alu 0xfffe
	s_or_b32 s17, s17, s5
	s_and_not1_b32 exec_lo, exec_lo, s18
	s_cbranch_execz .LBB32_86
.LBB32_84:                              ;   Parent Loop BB32_8 Depth=1
                                        ;     Parent Loop BB32_47 Depth=2
                                        ; =>    This Inner Loop Header: Depth=3
	flat_load_b128 v[99:102], v[28:29]
	v_dual_mov_b32 v69, v31 :: v_dual_mov_b32 v68, v30
	flat_load_b64 v[30:31], v[30:31]
	v_mov_b32_e32 v177, v85
	s_or_b32 s19, s19, exec_lo
	s_or_b32 s20, s20, exec_lo
                                        ; implicit-def: $vgpr85
	s_wait_loadcnt_dscnt 0x101
	v_mul_f64_e32 v[96:97], v[99:100], v[101:102]
	s_wait_loadcnt_dscnt 0x0
	v_mul_f64_e32 v[30:31], v[30:31], v[30:31]
	s_delay_alu instid0(VALU_DEP_2) | instskip(NEXT) | instid1(VALU_DEP_1)
	v_mul_f64_e64 v[96:97], v[36:37], |v[96:97]|
	v_cmp_nle_f64_e64 s5, |v[30:31]|, v[96:97]
                                        ; implicit-def: $vgpr30_vgpr31
	s_and_saveexec_b32 s21, s5
	s_cbranch_execz .LBB32_83
; %bb.85:                               ;   in Loop: Header=BB32_84 Depth=3
	v_add_nc_u32_e32 v85, 1, v177
	v_add_co_u32 v28, vcc_lo, v28, 8
	s_wait_alu 0xfffd
	v_add_co_ci_u32_e64 v29, null, 0, v29, vcc_lo
	s_delay_alu instid0(VALU_DEP_3)
	v_cmp_ge_i32_e32 vcc_lo, v85, v51
	v_add_co_u32 v30, s5, v68, 8
	s_wait_alu 0xf1ff
	v_add_co_ci_u32_e64 v31, null, 0, v69, s5
	s_wait_alu 0xfffe
	s_and_not1_b32 s5, s20, exec_lo
	s_and_b32 s20, vcc_lo, exec_lo
	s_and_not1_b32 s19, s19, exec_lo
	s_wait_alu 0xfffe
	s_or_b32 s20, s5, s20
	s_branch .LBB32_83
.LBB32_86:                              ;   in Loop: Header=BB32_47 Depth=2
	s_or_b32 exec_lo, exec_lo, s18
	v_dual_mov_b32 v28, v51 :: v_dual_mov_b32 v29, v64
	v_mov_b32_e32 v30, v65
	s_and_not1_b32 s15, s15, exec_lo
	s_wait_alu 0xfffe
	s_and_b32 s17, s17, exec_lo
	s_mov_b32 s5, exec_lo
	s_wait_alu 0xfffe
	s_or_b32 s15, s15, s17
	s_or_b32 exec_lo, exec_lo, s16
                                        ; implicit-def: $vgpr178
	s_wait_alu 0xfffe
	s_and_saveexec_b32 s16, s15
	s_cbranch_execz .LBB32_53
.LBB32_87:                              ;   in Loop: Header=BB32_47 Depth=2
	s_wait_loadcnt 0x0
	s_clause 0x1
	global_load_b32 v178, v[21:22], off offset:4
	global_load_b32 v31, v[21:22], off offset:16
	s_and_not1_b32 s5, s5, exec_lo
	s_wait_loadcnt 0x1
	ds_store_b32 v178, v28
	s_wait_loadcnt 0x0
	ds_store_b32 v31, v84
	s_wait_alu 0xfffe
	s_or_b32 exec_lo, exec_lo, s16
	s_and_saveexec_b32 s15, s5
	s_cbranch_execnz .LBB32_54
	s_branch .LBB32_55
.LBB32_88:                              ;   in Loop: Header=BB32_47 Depth=2
	s_or_b32 exec_lo, exec_lo, s19
.LBB32_89:                              ;   in Loop: Header=BB32_47 Depth=2
	s_wait_alu 0xfffe
	s_or_b32 exec_lo, exec_lo, s18
	ds_load_b64 v[98:99], v179
.LBB32_90:                              ;   in Loop: Header=BB32_47 Depth=2
	s_wait_alu 0xfffe
	s_or_b32 exec_lo, exec_lo, s17
	flat_load_b64 v[28:29], v[85:86]
                                        ; implicit-def: $vgpr84
                                        ; implicit-def: $vgpr112_vgpr113
	s_wait_loadcnt_dscnt 0x0
	v_add_f64_e64 v[28:29], v[28:29], -v[98:99]
	flat_store_b64 v[85:86], v[28:29]
	flat_store_b64 v[30:31], v[96:97]
                                        ; implicit-def: $vgpr96_vgpr97
                                        ; implicit-def: $vgpr85_vgpr86
.LBB32_91:                              ;   in Loop: Header=BB32_47 Depth=2
	s_wait_alu 0xfffe
	s_and_not1_saveexec_b32 s16, s16
	s_cbranch_execz .LBB32_130
; %bb.92:                               ;   in Loop: Header=BB32_47 Depth=2
	v_add_co_u32 v98, vcc_lo, v5, v96
	s_wait_alu 0xfffd
	v_add_co_ci_u32_e64 v99, null, v6, v97, vcc_lo
                                        ; implicit-def: $vgpr116_vgpr117
	flat_load_b64 v[28:29], v[85:86] offset:8
	flat_load_b64 v[114:115], v[98:99]
	s_wait_loadcnt_dscnt 0x101
	v_add_f64_e64 v[102:103], v[112:113], -v[28:29]
	s_wait_loadcnt_dscnt 0x0
	v_add_f64_e32 v[100:101], v[114:115], v[114:115]
	s_delay_alu instid0(VALU_DEP_1)
	v_cmp_ngt_f64_e64 s5, |v[102:103]|, |v[100:101]|
	s_and_saveexec_b32 s17, s5
	s_wait_alu 0xfffe
	s_xor_b32 s5, exec_lo, s17
	s_cbranch_execz .LBB32_98
; %bb.93:                               ;   in Loop: Header=BB32_47 Depth=2
	v_cmp_nlt_f64_e64 s17, |v[102:103]|, |v[100:101]|
                                        ; implicit-def: $vgpr116_vgpr117
	s_and_saveexec_b32 s18, s17
	s_wait_alu 0xfffe
	s_xor_b32 s17, exec_lo, s18
	s_cbranch_execz .LBB32_95
; %bb.94:                               ;   in Loop: Header=BB32_47 Depth=2
	v_mul_f64_e64 v[116:117], |v[100:101]|, s[8:9]
.LBB32_95:                              ;   in Loop: Header=BB32_47 Depth=2
	s_wait_alu 0xfffe
	s_and_not1_saveexec_b32 s17, s17
	s_cbranch_execz .LBB32_97
; %bb.96:                               ;   in Loop: Header=BB32_47 Depth=2
	v_dual_mov_b32 v30, v102 :: v_dual_and_b32 v31, 0x7fffffff, v103
	v_dual_mov_b32 v116, v100 :: v_dual_and_b32 v117, 0x7fffffff, v101
	s_delay_alu instid0(VALU_DEP_1) | instskip(SKIP_1) | instid1(VALU_DEP_2)
	v_div_scale_f64 v[118:119], null, v[116:117], v[116:117], v[30:31]
	v_div_scale_f64 v[30:31], vcc_lo, v[30:31], v[116:117], v[30:31]
	v_rcp_f64_e32 v[128:129], v[118:119]
	s_delay_alu instid0(TRANS32_DEP_1) | instskip(NEXT) | instid1(VALU_DEP_1)
	v_fma_f64 v[130:131], -v[118:119], v[128:129], 1.0
	v_fma_f64 v[128:129], v[128:129], v[130:131], v[128:129]
	s_delay_alu instid0(VALU_DEP_1) | instskip(NEXT) | instid1(VALU_DEP_1)
	v_fma_f64 v[130:131], -v[118:119], v[128:129], 1.0
	v_fma_f64 v[116:117], v[128:129], v[130:131], v[128:129]
	s_delay_alu instid0(VALU_DEP_1) | instskip(NEXT) | instid1(VALU_DEP_1)
	v_mul_f64_e32 v[128:129], v[30:31], v[116:117]
	v_fma_f64 v[30:31], -v[118:119], v[128:129], v[30:31]
	s_wait_alu 0xfffd
	s_delay_alu instid0(VALU_DEP_1) | instskip(NEXT) | instid1(VALU_DEP_1)
	v_div_fmas_f64 v[30:31], v[30:31], v[116:117], v[128:129]
	v_div_fixup_f64 v[30:31], v[30:31], |v[100:101]|, |v[102:103]|
	s_delay_alu instid0(VALU_DEP_1) | instskip(NEXT) | instid1(VALU_DEP_1)
	v_fma_f64 v[30:31], v[30:31], v[30:31], 1.0
	v_cmp_gt_f64_e32 vcc_lo, 0x10000000, v[30:31]
	s_wait_alu 0xfffd
	v_cndmask_b32_e64 v51, 0, 0x100, vcc_lo
	s_delay_alu instid0(VALU_DEP_1) | instskip(SKIP_1) | instid1(VALU_DEP_2)
	v_ldexp_f64 v[30:31], v[30:31], v51
	v_cndmask_b32_e64 v51, 0, 0xffffff80, vcc_lo
	v_rsq_f64_e32 v[116:117], v[30:31]
	v_cmp_class_f64_e64 vcc_lo, v[30:31], 0x260
	s_delay_alu instid0(TRANS32_DEP_1) | instskip(SKIP_1) | instid1(VALU_DEP_1)
	v_mul_f64_e32 v[118:119], v[30:31], v[116:117]
	v_mul_f64_e32 v[116:117], 0.5, v[116:117]
	v_fma_f64 v[128:129], -v[116:117], v[118:119], 0.5
	s_delay_alu instid0(VALU_DEP_1) | instskip(SKIP_1) | instid1(VALU_DEP_2)
	v_fma_f64 v[118:119], v[118:119], v[128:129], v[118:119]
	v_fma_f64 v[116:117], v[116:117], v[128:129], v[116:117]
	v_fma_f64 v[128:129], -v[118:119], v[118:119], v[30:31]
	s_delay_alu instid0(VALU_DEP_1) | instskip(NEXT) | instid1(VALU_DEP_1)
	v_fma_f64 v[118:119], v[128:129], v[116:117], v[118:119]
	v_fma_f64 v[128:129], -v[118:119], v[118:119], v[30:31]
	s_delay_alu instid0(VALU_DEP_1) | instskip(NEXT) | instid1(VALU_DEP_1)
	v_fma_f64 v[116:117], v[128:129], v[116:117], v[118:119]
	v_ldexp_f64 v[116:117], v[116:117], v51
	s_wait_alu 0xfffd
	s_delay_alu instid0(VALU_DEP_1) | instskip(NEXT) | instid1(VALU_DEP_1)
	v_dual_cndmask_b32 v31, v117, v31 :: v_dual_cndmask_b32 v30, v116, v30
	v_mul_f64_e64 v[116:117], |v[100:101]|, v[30:31]
.LBB32_97:                              ;   in Loop: Header=BB32_47 Depth=2
	s_wait_alu 0xfffe
	s_or_b32 exec_lo, exec_lo, s17
.LBB32_98:                              ;   in Loop: Header=BB32_47 Depth=2
	s_wait_alu 0xfffe
	s_and_not1_saveexec_b32 s5, s5
	s_cbranch_execz .LBB32_100
; %bb.99:                               ;   in Loop: Header=BB32_47 Depth=2
	v_dual_mov_b32 v30, v100 :: v_dual_and_b32 v31, 0x7fffffff, v101
	v_dual_mov_b32 v116, v102 :: v_dual_and_b32 v117, 0x7fffffff, v103
	s_delay_alu instid0(VALU_DEP_1) | instskip(SKIP_1) | instid1(VALU_DEP_2)
	v_div_scale_f64 v[118:119], null, v[116:117], v[116:117], v[30:31]
	v_div_scale_f64 v[30:31], vcc_lo, v[30:31], v[116:117], v[30:31]
	v_rcp_f64_e32 v[128:129], v[118:119]
	s_delay_alu instid0(TRANS32_DEP_1) | instskip(NEXT) | instid1(VALU_DEP_1)
	v_fma_f64 v[130:131], -v[118:119], v[128:129], 1.0
	v_fma_f64 v[128:129], v[128:129], v[130:131], v[128:129]
	s_delay_alu instid0(VALU_DEP_1) | instskip(NEXT) | instid1(VALU_DEP_1)
	v_fma_f64 v[130:131], -v[118:119], v[128:129], 1.0
	v_fma_f64 v[116:117], v[128:129], v[130:131], v[128:129]
	s_delay_alu instid0(VALU_DEP_1) | instskip(NEXT) | instid1(VALU_DEP_1)
	v_mul_f64_e32 v[128:129], v[30:31], v[116:117]
	v_fma_f64 v[30:31], -v[118:119], v[128:129], v[30:31]
	s_wait_alu 0xfffd
	s_delay_alu instid0(VALU_DEP_1) | instskip(NEXT) | instid1(VALU_DEP_1)
	v_div_fmas_f64 v[30:31], v[30:31], v[116:117], v[128:129]
	v_div_fixup_f64 v[30:31], v[30:31], |v[102:103]|, |v[100:101]|
	s_delay_alu instid0(VALU_DEP_1) | instskip(NEXT) | instid1(VALU_DEP_1)
	v_fma_f64 v[30:31], v[30:31], v[30:31], 1.0
	v_cmp_gt_f64_e32 vcc_lo, 0x10000000, v[30:31]
	s_wait_alu 0xfffd
	v_cndmask_b32_e64 v51, 0, 0x100, vcc_lo
	s_delay_alu instid0(VALU_DEP_1) | instskip(SKIP_1) | instid1(VALU_DEP_2)
	v_ldexp_f64 v[30:31], v[30:31], v51
	v_cndmask_b32_e64 v51, 0, 0xffffff80, vcc_lo
	v_rsq_f64_e32 v[116:117], v[30:31]
	v_cmp_class_f64_e64 vcc_lo, v[30:31], 0x260
	s_delay_alu instid0(TRANS32_DEP_1) | instskip(SKIP_1) | instid1(VALU_DEP_1)
	v_mul_f64_e32 v[118:119], v[30:31], v[116:117]
	v_mul_f64_e32 v[116:117], 0.5, v[116:117]
	v_fma_f64 v[128:129], -v[116:117], v[118:119], 0.5
	s_delay_alu instid0(VALU_DEP_1) | instskip(SKIP_1) | instid1(VALU_DEP_2)
	v_fma_f64 v[118:119], v[118:119], v[128:129], v[118:119]
	v_fma_f64 v[116:117], v[116:117], v[128:129], v[116:117]
	v_fma_f64 v[128:129], -v[118:119], v[118:119], v[30:31]
	s_delay_alu instid0(VALU_DEP_1) | instskip(NEXT) | instid1(VALU_DEP_1)
	v_fma_f64 v[118:119], v[128:129], v[116:117], v[118:119]
	v_fma_f64 v[128:129], -v[118:119], v[118:119], v[30:31]
	s_delay_alu instid0(VALU_DEP_1) | instskip(NEXT) | instid1(VALU_DEP_1)
	v_fma_f64 v[116:117], v[128:129], v[116:117], v[118:119]
	v_ldexp_f64 v[116:117], v[116:117], v51
	s_wait_alu 0xfffd
	s_delay_alu instid0(VALU_DEP_1) | instskip(NEXT) | instid1(VALU_DEP_1)
	v_dual_cndmask_b32 v31, v117, v31 :: v_dual_cndmask_b32 v30, v116, v30
	v_mul_f64_e64 v[116:117], |v[102:103]|, v[30:31]
.LBB32_100:                             ;   in Loop: Header=BB32_47 Depth=2
	s_wait_alu 0xfffe
	s_or_b32 exec_lo, exec_lo, s5
	v_cmp_gt_f64_e64 vcc_lo, |v[112:113]|, |v[28:29]|
	v_add_f64_e32 v[128:129], v[112:113], v[28:29]
	s_mov_b32 s17, exec_lo
	s_wait_alu 0xfffd
	v_dual_cndmask_b32 v119, v113, v29 :: v_dual_cndmask_b32 v118, v112, v28
	v_dual_cndmask_b32 v113, v29, v113 :: v_dual_cndmask_b32 v112, v28, v112
                                        ; implicit-def: $vgpr30_vgpr31
	s_delay_alu instid0(VALU_DEP_3)
	v_cmpx_ngt_f64_e32 0, v[128:129]
	s_wait_alu 0xfffe
	s_xor_b32 s17, exec_lo, s17
	s_cbranch_execz .LBB32_106
; %bb.101:                              ;   in Loop: Header=BB32_47 Depth=2
	s_mov_b32 s5, exec_lo
                                        ; implicit-def: $vgpr30_vgpr31
	v_cmpx_nlt_f64_e32 0, v[128:129]
	s_wait_alu 0xfffe
	s_xor_b32 s5, exec_lo, s5
	s_cbranch_execz .LBB32_103
; %bb.102:                              ;   in Loop: Header=BB32_47 Depth=2
	v_mul_f64_e32 v[28:29], 0.5, v[116:117]
	v_mul_f64_e32 v[30:31], -0.5, v[116:117]
                                        ; implicit-def: $vgpr128_vgpr129
                                        ; implicit-def: $vgpr112_vgpr113
                                        ; implicit-def: $vgpr114_vgpr115
                                        ; implicit-def: $vgpr118_vgpr119
.LBB32_103:                             ;   in Loop: Header=BB32_47 Depth=2
	s_wait_alu 0xfffe
	s_and_not1_saveexec_b32 s18, s5
	s_cbranch_execz .LBB32_105
; %bb.104:                              ;   in Loop: Header=BB32_47 Depth=2
	v_add_f64_e32 v[28:29], v[128:129], v[116:117]
	s_delay_alu instid0(VALU_DEP_1) | instskip(NEXT) | instid1(VALU_DEP_1)
	v_mul_f64_e32 v[28:29], 0.5, v[28:29]
	v_div_scale_f64 v[30:31], null, v[28:29], v[28:29], v[112:113]
	v_div_scale_f64 v[128:129], null, v[28:29], v[28:29], v[114:115]
	v_div_scale_f64 v[40:41], vcc_lo, v[112:113], v[28:29], v[112:113]
	s_delay_alu instid0(VALU_DEP_3) | instskip(NEXT) | instid1(VALU_DEP_2)
	v_rcp_f64_e32 v[130:131], v[30:31]
	v_rcp_f64_e32 v[132:133], v[128:129]
	s_delay_alu instid0(TRANS32_DEP_2) | instskip(NEXT) | instid1(TRANS32_DEP_1)
	v_fma_f64 v[179:180], -v[30:31], v[130:131], 1.0
	v_fma_f64 v[181:182], -v[128:129], v[132:133], 1.0
	s_delay_alu instid0(VALU_DEP_2) | instskip(NEXT) | instid1(VALU_DEP_2)
	v_fma_f64 v[130:131], v[130:131], v[179:180], v[130:131]
	v_fma_f64 v[132:133], v[132:133], v[181:182], v[132:133]
	s_delay_alu instid0(VALU_DEP_2) | instskip(NEXT) | instid1(VALU_DEP_2)
	v_fma_f64 v[179:180], -v[30:31], v[130:131], 1.0
	v_fma_f64 v[181:182], -v[128:129], v[132:133], 1.0
	s_delay_alu instid0(VALU_DEP_2) | instskip(SKIP_1) | instid1(VALU_DEP_3)
	v_fma_f64 v[130:131], v[130:131], v[179:180], v[130:131]
	v_div_scale_f64 v[179:180], s5, v[114:115], v[28:29], v[114:115]
	v_fma_f64 v[132:133], v[132:133], v[181:182], v[132:133]
	s_delay_alu instid0(VALU_DEP_3) | instskip(NEXT) | instid1(VALU_DEP_2)
	v_mul_f64_e32 v[181:182], v[40:41], v[130:131]
	v_mul_f64_e32 v[42:43], v[179:180], v[132:133]
	s_delay_alu instid0(VALU_DEP_2) | instskip(NEXT) | instid1(VALU_DEP_2)
	v_fma_f64 v[30:31], -v[30:31], v[181:182], v[40:41]
	v_fma_f64 v[128:129], -v[128:129], v[42:43], v[179:180]
	s_wait_alu 0xfffd
	s_delay_alu instid0(VALU_DEP_2) | instskip(SKIP_2) | instid1(VALU_DEP_2)
	v_div_fmas_f64 v[30:31], v[30:31], v[130:131], v[181:182]
	s_mov_b32 vcc_lo, s5
	s_wait_alu 0xfffe
	v_div_fmas_f64 v[128:129], v[128:129], v[132:133], v[42:43]
	s_delay_alu instid0(VALU_DEP_2) | instskip(NEXT) | instid1(VALU_DEP_2)
	v_div_fixup_f64 v[30:31], v[30:31], v[28:29], v[112:113]
	v_div_fixup_f64 v[128:129], v[128:129], v[28:29], v[114:115]
	s_delay_alu instid0(VALU_DEP_1) | instskip(NEXT) | instid1(VALU_DEP_1)
	v_mul_f64_e32 v[112:113], v[114:115], v[128:129]
	v_fma_f64 v[30:31], v[118:119], v[30:31], -v[112:113]
.LBB32_105:                             ;   in Loop: Header=BB32_47 Depth=2
	s_wait_alu 0xfffe
	s_or_b32 exec_lo, exec_lo, s18
                                        ; implicit-def: $vgpr128_vgpr129
                                        ; implicit-def: $vgpr112_vgpr113
                                        ; implicit-def: $vgpr114_vgpr115
                                        ; implicit-def: $vgpr118_vgpr119
.LBB32_106:                             ;   in Loop: Header=BB32_47 Depth=2
	s_wait_alu 0xfffe
	s_or_saveexec_b32 s17, s17
	v_mov_b32_e32 v51, 1
	s_wait_alu 0xfffe
	s_xor_b32 exec_lo, exec_lo, s17
	s_cbranch_execz .LBB32_108
; %bb.107:                              ;   in Loop: Header=BB32_47 Depth=2
	v_add_f64_e64 v[28:29], v[128:129], -v[116:117]
	v_mov_b32_e32 v51, -1
	s_delay_alu instid0(VALU_DEP_2) | instskip(NEXT) | instid1(VALU_DEP_1)
	v_mul_f64_e32 v[28:29], 0.5, v[28:29]
	v_div_scale_f64 v[30:31], null, v[28:29], v[28:29], v[112:113]
	v_div_scale_f64 v[128:129], null, v[28:29], v[28:29], v[114:115]
	v_div_scale_f64 v[40:41], vcc_lo, v[112:113], v[28:29], v[112:113]
	s_delay_alu instid0(VALU_DEP_3) | instskip(NEXT) | instid1(VALU_DEP_2)
	v_rcp_f64_e32 v[130:131], v[30:31]
	v_rcp_f64_e32 v[132:133], v[128:129]
	s_delay_alu instid0(TRANS32_DEP_2) | instskip(NEXT) | instid1(TRANS32_DEP_1)
	v_fma_f64 v[179:180], -v[30:31], v[130:131], 1.0
	v_fma_f64 v[181:182], -v[128:129], v[132:133], 1.0
	s_delay_alu instid0(VALU_DEP_2) | instskip(NEXT) | instid1(VALU_DEP_2)
	v_fma_f64 v[130:131], v[130:131], v[179:180], v[130:131]
	v_fma_f64 v[132:133], v[132:133], v[181:182], v[132:133]
	s_delay_alu instid0(VALU_DEP_2) | instskip(NEXT) | instid1(VALU_DEP_2)
	v_fma_f64 v[179:180], -v[30:31], v[130:131], 1.0
	v_fma_f64 v[181:182], -v[128:129], v[132:133], 1.0
	s_delay_alu instid0(VALU_DEP_2) | instskip(SKIP_1) | instid1(VALU_DEP_3)
	v_fma_f64 v[130:131], v[130:131], v[179:180], v[130:131]
	v_div_scale_f64 v[179:180], s5, v[114:115], v[28:29], v[114:115]
	v_fma_f64 v[132:133], v[132:133], v[181:182], v[132:133]
	s_delay_alu instid0(VALU_DEP_3) | instskip(NEXT) | instid1(VALU_DEP_2)
	v_mul_f64_e32 v[181:182], v[40:41], v[130:131]
	v_mul_f64_e32 v[42:43], v[179:180], v[132:133]
	s_delay_alu instid0(VALU_DEP_2) | instskip(NEXT) | instid1(VALU_DEP_2)
	v_fma_f64 v[30:31], -v[30:31], v[181:182], v[40:41]
	v_fma_f64 v[128:129], -v[128:129], v[42:43], v[179:180]
	s_wait_alu 0xfffd
	s_delay_alu instid0(VALU_DEP_2) | instskip(SKIP_2) | instid1(VALU_DEP_2)
	v_div_fmas_f64 v[30:31], v[30:31], v[130:131], v[181:182]
	s_mov_b32 vcc_lo, s5
	s_wait_alu 0xfffe
	v_div_fmas_f64 v[128:129], v[128:129], v[132:133], v[42:43]
	s_delay_alu instid0(VALU_DEP_2) | instskip(NEXT) | instid1(VALU_DEP_2)
	v_div_fixup_f64 v[30:31], v[30:31], v[28:29], v[112:113]
	v_div_fixup_f64 v[128:129], v[128:129], v[28:29], v[114:115]
	s_delay_alu instid0(VALU_DEP_1) | instskip(NEXT) | instid1(VALU_DEP_1)
	v_mul_f64_e32 v[112:113], v[114:115], v[128:129]
	v_fma_f64 v[30:31], v[118:119], v[30:31], -v[112:113]
.LBB32_108:                             ;   in Loop: Header=BB32_47 Depth=2
	s_or_b32 exec_lo, exec_lo, s17
	s_delay_alu instid0(SALU_CYCLE_1)
	s_mov_b32 s5, exec_lo
                                        ; implicit-def: $vgpr112_vgpr113
	v_cmpx_le_f64_e32 0, v[102:103]
	s_wait_alu 0xfffe
	s_xor_b32 s5, exec_lo, s5
	s_cbranch_execz .LBB32_110
; %bb.109:                              ;   in Loop: Header=BB32_47 Depth=2
	v_add_f64_e32 v[112:113], v[102:103], v[116:117]
                                        ; implicit-def: $vgpr116_vgpr117
                                        ; implicit-def: $vgpr102_vgpr103
.LBB32_110:                             ;   in Loop: Header=BB32_47 Depth=2
	s_wait_alu 0xfffe
	s_or_saveexec_b32 s5, s5
	v_mov_b32_e32 v118, 1
	s_wait_alu 0xfffe
	s_xor_b32 exec_lo, exec_lo, s5
	s_cbranch_execz .LBB32_112
; %bb.111:                              ;   in Loop: Header=BB32_47 Depth=2
	v_add_f64_e64 v[112:113], v[102:103], -v[116:117]
	v_mov_b32_e32 v118, -1
.LBB32_112:                             ;   in Loop: Header=BB32_47 Depth=2
	s_or_b32 exec_lo, exec_lo, s5
	s_delay_alu instid0(VALU_DEP_2)
	v_cmp_ngt_f64_e64 s5, |v[112:113]|, |v[100:101]|
                                        ; implicit-def: $vgpr114_vgpr115
                                        ; implicit-def: $vgpr102_vgpr103
	s_and_saveexec_b32 s17, s5
	s_wait_alu 0xfffe
	s_xor_b32 s5, exec_lo, s17
	s_cbranch_execz .LBB32_116
; %bb.113:                              ;   in Loop: Header=BB32_47 Depth=2
	v_mov_b32_e32 v102, 0
	v_dual_mov_b32 v103, 0 :: v_dual_mov_b32 v114, 0
	v_mov_b32_e32 v115, 0x3ff00000
	s_mov_b32 s17, exec_lo
	v_cmpx_neq_f64_e32 0, v[100:101]
	s_cbranch_execz .LBB32_115
; %bb.114:                              ;   in Loop: Header=BB32_47 Depth=2
	v_div_scale_f64 v[102:103], null, v[100:101], v[100:101], -v[112:113]
	v_div_scale_f64 v[128:129], vcc_lo, -v[112:113], v[100:101], -v[112:113]
	s_delay_alu instid0(VALU_DEP_2) | instskip(NEXT) | instid1(TRANS32_DEP_1)
	v_rcp_f64_e32 v[114:115], v[102:103]
	v_fma_f64 v[116:117], -v[102:103], v[114:115], 1.0
	s_delay_alu instid0(VALU_DEP_1) | instskip(NEXT) | instid1(VALU_DEP_1)
	v_fma_f64 v[114:115], v[114:115], v[116:117], v[114:115]
	v_fma_f64 v[116:117], -v[102:103], v[114:115], 1.0
	s_delay_alu instid0(VALU_DEP_1) | instskip(NEXT) | instid1(VALU_DEP_1)
	v_fma_f64 v[114:115], v[114:115], v[116:117], v[114:115]
	v_mul_f64_e32 v[116:117], v[128:129], v[114:115]
	s_delay_alu instid0(VALU_DEP_1) | instskip(SKIP_1) | instid1(VALU_DEP_1)
	v_fma_f64 v[102:103], -v[102:103], v[116:117], v[128:129]
	s_wait_alu 0xfffd
	v_div_fmas_f64 v[102:103], v[102:103], v[114:115], v[116:117]
	s_delay_alu instid0(VALU_DEP_1) | instskip(NEXT) | instid1(VALU_DEP_1)
	v_div_fixup_f64 v[100:101], v[102:103], v[100:101], -v[112:113]
	v_fma_f64 v[102:103], v[100:101], v[100:101], 1.0
	s_delay_alu instid0(VALU_DEP_1) | instskip(SKIP_2) | instid1(VALU_DEP_1)
	v_cmp_gt_f64_e32 vcc_lo, 0x10000000, v[102:103]
	s_wait_alu 0xfffd
	v_cndmask_b32_e64 v112, 0, 0x100, vcc_lo
	v_ldexp_f64 v[102:103], v[102:103], v112
	s_delay_alu instid0(VALU_DEP_1) | instskip(NEXT) | instid1(TRANS32_DEP_1)
	v_rsq_f64_e32 v[112:113], v[102:103]
	v_mul_f64_e32 v[114:115], v[102:103], v[112:113]
	v_mul_f64_e32 v[112:113], 0.5, v[112:113]
	s_delay_alu instid0(VALU_DEP_1) | instskip(NEXT) | instid1(VALU_DEP_1)
	v_fma_f64 v[116:117], -v[112:113], v[114:115], 0.5
	v_fma_f64 v[114:115], v[114:115], v[116:117], v[114:115]
	v_fma_f64 v[112:113], v[112:113], v[116:117], v[112:113]
	s_delay_alu instid0(VALU_DEP_2) | instskip(NEXT) | instid1(VALU_DEP_1)
	v_fma_f64 v[116:117], -v[114:115], v[114:115], v[102:103]
	v_fma_f64 v[114:115], v[116:117], v[112:113], v[114:115]
	s_delay_alu instid0(VALU_DEP_1) | instskip(NEXT) | instid1(VALU_DEP_1)
	v_fma_f64 v[116:117], -v[114:115], v[114:115], v[102:103]
	v_fma_f64 v[112:113], v[116:117], v[112:113], v[114:115]
	v_cndmask_b32_e64 v114, 0, 0xffffff80, vcc_lo
	v_cmp_class_f64_e64 vcc_lo, v[102:103], 0x260
	s_delay_alu instid0(VALU_DEP_2) | instskip(SKIP_1) | instid1(VALU_DEP_1)
	v_ldexp_f64 v[112:113], v[112:113], v114
	s_wait_alu 0xfffd
	v_dual_cndmask_b32 v103, v113, v103 :: v_dual_cndmask_b32 v102, v112, v102
	s_delay_alu instid0(VALU_DEP_1) | instskip(NEXT) | instid1(VALU_DEP_1)
	v_div_scale_f64 v[112:113], null, v[102:103], v[102:103], 1.0
	v_rcp_f64_e32 v[114:115], v[112:113]
	s_delay_alu instid0(TRANS32_DEP_1) | instskip(NEXT) | instid1(VALU_DEP_1)
	v_fma_f64 v[116:117], -v[112:113], v[114:115], 1.0
	v_fma_f64 v[114:115], v[114:115], v[116:117], v[114:115]
	s_delay_alu instid0(VALU_DEP_1) | instskip(NEXT) | instid1(VALU_DEP_1)
	v_fma_f64 v[116:117], -v[112:113], v[114:115], 1.0
	v_fma_f64 v[114:115], v[114:115], v[116:117], v[114:115]
	v_div_scale_f64 v[116:117], vcc_lo, 1.0, v[102:103], 1.0
	s_delay_alu instid0(VALU_DEP_1) | instskip(NEXT) | instid1(VALU_DEP_1)
	v_mul_f64_e32 v[128:129], v[116:117], v[114:115]
	v_fma_f64 v[112:113], -v[112:113], v[128:129], v[116:117]
	s_wait_alu 0xfffd
	s_delay_alu instid0(VALU_DEP_1) | instskip(NEXT) | instid1(VALU_DEP_1)
	v_div_fmas_f64 v[112:113], v[112:113], v[114:115], v[128:129]
	v_div_fixup_f64 v[114:115], v[112:113], v[102:103], 1.0
	s_delay_alu instid0(VALU_DEP_1)
	v_mul_f64_e32 v[102:103], v[100:101], v[114:115]
.LBB32_115:                             ;   in Loop: Header=BB32_47 Depth=2
	s_wait_alu 0xfffe
	s_or_b32 exec_lo, exec_lo, s17
                                        ; implicit-def: $vgpr112_vgpr113
                                        ; implicit-def: $vgpr100_vgpr101
.LBB32_116:                             ;   in Loop: Header=BB32_47 Depth=2
	s_wait_alu 0xfffe
	s_and_not1_saveexec_b32 s5, s5
	s_cbranch_execz .LBB32_118
; %bb.117:                              ;   in Loop: Header=BB32_47 Depth=2
	v_div_scale_f64 v[102:103], null, v[112:113], v[112:113], -v[100:101]
	v_div_scale_f64 v[128:129], vcc_lo, -v[100:101], v[112:113], -v[100:101]
	s_delay_alu instid0(VALU_DEP_2) | instskip(NEXT) | instid1(TRANS32_DEP_1)
	v_rcp_f64_e32 v[114:115], v[102:103]
	v_fma_f64 v[116:117], -v[102:103], v[114:115], 1.0
	s_delay_alu instid0(VALU_DEP_1) | instskip(NEXT) | instid1(VALU_DEP_1)
	v_fma_f64 v[114:115], v[114:115], v[116:117], v[114:115]
	v_fma_f64 v[116:117], -v[102:103], v[114:115], 1.0
	s_delay_alu instid0(VALU_DEP_1) | instskip(NEXT) | instid1(VALU_DEP_1)
	v_fma_f64 v[114:115], v[114:115], v[116:117], v[114:115]
	v_mul_f64_e32 v[116:117], v[128:129], v[114:115]
	s_delay_alu instid0(VALU_DEP_1) | instskip(SKIP_1) | instid1(VALU_DEP_1)
	v_fma_f64 v[102:103], -v[102:103], v[116:117], v[128:129]
	s_wait_alu 0xfffd
	v_div_fmas_f64 v[102:103], v[102:103], v[114:115], v[116:117]
	s_delay_alu instid0(VALU_DEP_1) | instskip(NEXT) | instid1(VALU_DEP_1)
	v_div_fixup_f64 v[100:101], v[102:103], v[112:113], -v[100:101]
	v_fma_f64 v[102:103], v[100:101], v[100:101], 1.0
	s_delay_alu instid0(VALU_DEP_1) | instskip(SKIP_2) | instid1(VALU_DEP_1)
	v_cmp_gt_f64_e32 vcc_lo, 0x10000000, v[102:103]
	s_wait_alu 0xfffd
	v_cndmask_b32_e64 v112, 0, 0x100, vcc_lo
	v_ldexp_f64 v[102:103], v[102:103], v112
	s_delay_alu instid0(VALU_DEP_1) | instskip(NEXT) | instid1(TRANS32_DEP_1)
	v_rsq_f64_e32 v[112:113], v[102:103]
	v_mul_f64_e32 v[114:115], v[102:103], v[112:113]
	v_mul_f64_e32 v[112:113], 0.5, v[112:113]
	s_delay_alu instid0(VALU_DEP_1) | instskip(NEXT) | instid1(VALU_DEP_1)
	v_fma_f64 v[116:117], -v[112:113], v[114:115], 0.5
	v_fma_f64 v[114:115], v[114:115], v[116:117], v[114:115]
	v_fma_f64 v[112:113], v[112:113], v[116:117], v[112:113]
	s_delay_alu instid0(VALU_DEP_2) | instskip(NEXT) | instid1(VALU_DEP_1)
	v_fma_f64 v[116:117], -v[114:115], v[114:115], v[102:103]
	v_fma_f64 v[114:115], v[116:117], v[112:113], v[114:115]
	s_delay_alu instid0(VALU_DEP_1) | instskip(NEXT) | instid1(VALU_DEP_1)
	v_fma_f64 v[116:117], -v[114:115], v[114:115], v[102:103]
	v_fma_f64 v[112:113], v[116:117], v[112:113], v[114:115]
	v_cndmask_b32_e64 v114, 0, 0xffffff80, vcc_lo
	v_cmp_class_f64_e64 vcc_lo, v[102:103], 0x260
	s_delay_alu instid0(VALU_DEP_2) | instskip(SKIP_1) | instid1(VALU_DEP_1)
	v_ldexp_f64 v[112:113], v[112:113], v114
	s_wait_alu 0xfffd
	v_dual_cndmask_b32 v103, v113, v103 :: v_dual_cndmask_b32 v102, v112, v102
	s_delay_alu instid0(VALU_DEP_1) | instskip(NEXT) | instid1(VALU_DEP_1)
	v_div_scale_f64 v[112:113], null, v[102:103], v[102:103], 1.0
	v_rcp_f64_e32 v[114:115], v[112:113]
	s_delay_alu instid0(TRANS32_DEP_1) | instskip(NEXT) | instid1(VALU_DEP_1)
	v_fma_f64 v[116:117], -v[112:113], v[114:115], 1.0
	v_fma_f64 v[114:115], v[114:115], v[116:117], v[114:115]
	s_delay_alu instid0(VALU_DEP_1) | instskip(NEXT) | instid1(VALU_DEP_1)
	v_fma_f64 v[116:117], -v[112:113], v[114:115], 1.0
	v_fma_f64 v[114:115], v[114:115], v[116:117], v[114:115]
	v_div_scale_f64 v[116:117], vcc_lo, 1.0, v[102:103], 1.0
	s_delay_alu instid0(VALU_DEP_1) | instskip(NEXT) | instid1(VALU_DEP_1)
	v_mul_f64_e32 v[128:129], v[116:117], v[114:115]
	v_fma_f64 v[112:113], -v[112:113], v[128:129], v[116:117]
	s_wait_alu 0xfffd
	s_delay_alu instid0(VALU_DEP_1) | instskip(NEXT) | instid1(VALU_DEP_1)
	v_div_fmas_f64 v[112:113], v[112:113], v[114:115], v[128:129]
	v_div_fixup_f64 v[102:103], v[112:113], v[102:103], 1.0
	s_delay_alu instid0(VALU_DEP_1)
	v_mul_f64_e32 v[114:115], v[100:101], v[102:103]
.LBB32_118:                             ;   in Loop: Header=BB32_47 Depth=2
	s_wait_alu 0xfffe
	s_or_b32 exec_lo, exec_lo, s5
	v_cmp_eq_u32_e32 vcc_lo, v51, v118
	s_delay_alu instid0(VALU_DEP_2)
	v_xor_b32_e32 v51, 0x80000000, v103
	v_add_co_u32 v96, s5, v12, v96
	s_wait_alu 0xf1ff
	v_add_co_ci_u32_e64 v97, null, v13, v97, s5
	s_wait_alu 0xfffd
	v_dual_cndmask_b32 v101, v103, v115 :: v_dual_cndmask_b32 v100, v102, v114
	v_dual_cndmask_b32 v103, v115, v51 :: v_dual_cndmask_b32 v102, v114, v102
	v_add_co_u32 v112, vcc_lo, v96, v34
	s_wait_alu 0xfffd
	v_add_co_ci_u32_e64 v113, null, v97, v35, vcc_lo
	v_dual_mov_b32 v51, v50 :: v_dual_add_nc_u32 v84, 2, v84
	s_clause 0x1
	flat_store_b64 v[96:97], v[102:103]
	flat_store_b64 v[112:113], v[100:101] offset:-8
	flat_store_b128 v[85:86], v[28:31]
	flat_store_b64 v[98:99], v[50:51]
	ds_store_b32 v33, v84
	s_or_b32 exec_lo, exec_lo, s16
                                        ; implicit-def: $vgpr85_vgpr86
                                        ; implicit-def: $vgpr112_vgpr113
                                        ; implicit-def: $vgpr29
.LBB32_119:                             ;   in Loop: Header=BB32_47 Depth=2
	s_wait_alu 0xfffe
	s_and_not1_saveexec_b32 s5, s15
	s_cbranch_execz .LBB32_121
.LBB32_120:                             ;   in Loop: Header=BB32_47 Depth=2
	flat_store_b64 v[85:86], v[112:113]
	ds_store_b32 v33, v29
.LBB32_121:                             ;   in Loop: Header=BB32_47 Depth=2
	s_wait_alu 0xfffe
	s_or_b32 exec_lo, exec_lo, s5
.LBB32_122:                             ;   in Loop: Header=BB32_47 Depth=2
	s_wait_alu 0xfffe
	s_or_b32 exec_lo, exec_lo, s6
	s_wait_storecnt 0x0
	s_wait_loadcnt_dscnt 0x0
	s_barrier_signal -1
	s_barrier_wait -1
	global_inv scope:SCOPE_SE
	ds_load_b32 v84, v178
	ds_load_b32 v28, v33
	s_mov_b32 s15, exec_lo
	s_wait_dscnt 0x0
	v_cmpx_ne_u32_e64 v84, v28
	s_cbranch_execz .LBB32_46
; %bb.123:                              ;   in Loop: Header=BB32_47 Depth=2
	s_and_saveexec_b32 s16, s3
	s_cbranch_execz .LBB32_45
; %bb.124:                              ;   in Loop: Header=BB32_47 Depth=2
	global_load_b32 v28, v[21:22], off offset:16
	s_mov_b32 s17, 0
	s_wait_loadcnt 0x0
	ds_load_b32 v28, v28
	s_wait_dscnt 0x0
	v_mul_lo_u32 v30, v28, v9
	v_sub_nc_u32_e32 v51, v84, v28
	v_mov_b32_e32 v85, v50
	v_ashrrev_i32_e32 v29, 31, v28
	s_delay_alu instid0(VALU_DEP_3) | instskip(SKIP_2) | instid1(VALU_DEP_4)
	v_add_nc_u32_e32 v84, -1, v51
	v_mad_co_i64_i32 v[96:97], null, v51, v9, 0
	v_ashrrev_i32_e32 v31, 31, v30
	v_lshlrev_b64_e32 v[28:29], 3, v[28:29]
	s_delay_alu instid0(VALU_DEP_4) | instskip(SKIP_1) | instid1(VALU_DEP_4)
	v_lshlrev_b64_e32 v[85:86], 3, v[84:85]
	v_cmp_lt_i32_e32 vcc_lo, 0, v51
	v_lshlrev_b64_e32 v[30:31], 3, v[30:31]
	v_lshlrev_b64_e32 v[96:97], 3, v[96:97]
	s_delay_alu instid0(VALU_DEP_4) | instskip(SKIP_2) | instid1(VALU_DEP_4)
	v_add_co_u32 v28, s5, v28, v85
	s_wait_alu 0xf1ff
	v_add_co_ci_u32_e64 v29, null, v29, v86, s5
	v_mad_co_u64_u32 v[98:99], null, v48, v84, v[30:31]
	v_add_co_u32 v102, s5, v7, v30
	s_wait_alu 0xf1ff
	v_add_co_ci_u32_e64 v103, null, v8, v31, s5
	v_add_co_u32 v28, s5, v12, v28
	s_delay_alu instid0(VALU_DEP_4) | instskip(SKIP_3) | instid1(VALU_DEP_3)
	v_mov_b32_e32 v30, v99
	s_wait_alu 0xf1ff
	v_add_co_ci_u32_e64 v29, null, v13, v29, s5
	v_add_co_u32 v112, s5, v102, v96
	v_mad_co_u64_u32 v[84:85], null, v49, v84, v[30:31]
	s_wait_alu 0xf1ff
	v_add_co_ci_u32_e64 v113, null, v103, v97, s5
	v_add_co_u32 v30, s5, v163, v98
	s_wait_alu 0xf1ff
	s_delay_alu instid0(VALU_DEP_3)
	v_add_co_ci_u32_e64 v31, null, v164, v84, s5
	v_mov_b32_e32 v84, v0
	s_branch .LBB32_126
.LBB32_125:                             ;   in Loop: Header=BB32_126 Depth=3
	s_wait_alu 0xfffe
	s_or_b32 exec_lo, exec_lo, s18
	v_add_nc_u32_e32 v84, v84, v26
	v_add_co_u32 v30, s6, v30, v38
	s_wait_alu 0xf1ff
	v_add_co_ci_u32_e64 v31, null, v31, v39, s6
	s_delay_alu instid0(VALU_DEP_3)
	v_cmp_ge_i32_e64 s5, v84, v2
	s_wait_loadcnt_dscnt 0x0
	flat_store_b64 v[96:97], v[85:86]
	s_or_b32 s17, s5, s17
	s_wait_alu 0xfffe
	s_and_not1_b32 exec_lo, exec_lo, s17
	s_cbranch_execz .LBB32_45
.LBB32_126:                             ;   Parent Loop BB32_8 Depth=1
                                        ;     Parent Loop BB32_47 Depth=2
                                        ; =>    This Loop Header: Depth=3
                                        ;         Child Loop BB32_128 Depth 4
	s_delay_alu instid0(VALU_DEP_1) | instskip(NEXT) | instid1(VALU_DEP_1)
	v_ashrrev_i32_e32 v85, 31, v84
	v_lshlrev_b64_e32 v[96:97], 3, v[84:85]
	s_delay_alu instid0(VALU_DEP_1) | instskip(SKIP_1) | instid1(VALU_DEP_2)
	v_add_co_u32 v85, s5, v112, v96
	s_wait_alu 0xf1ff
	v_add_co_ci_u32_e64 v86, null, v113, v97, s5
	v_add_co_u32 v96, s5, v102, v96
	s_wait_alu 0xf1ff
	v_add_co_ci_u32_e64 v97, null, v103, v97, s5
	flat_load_b64 v[85:86], v[85:86]
	s_and_saveexec_b32 s18, vcc_lo
	s_cbranch_execz .LBB32_125
; %bb.127:                              ;   in Loop: Header=BB32_126 Depth=3
	v_dual_mov_b32 v99, v31 :: v_dual_mov_b32 v98, v30
	v_dual_mov_b32 v101, v29 :: v_dual_mov_b32 v100, v28
	v_mov_b32_e32 v114, v51
	s_mov_b32 s19, 0
.LBB32_128:                             ;   Parent Loop BB32_8 Depth=1
                                        ;     Parent Loop BB32_47 Depth=2
                                        ;       Parent Loop BB32_126 Depth=3
                                        ; =>      This Inner Loop Header: Depth=4
	s_delay_alu instid0(VALU_DEP_2)
	v_add_co_u32 v115, s5, v100, v151
	s_wait_alu 0xf1ff
	v_add_co_ci_u32_e64 v116, null, v101, v160, s5
	v_mad_co_u64_u32 v[132:133], null, v114, v9, 0
	flat_load_b64 v[117:118], v[98:99]
	s_clause 0x1
	flat_load_b64 v[115:116], v[115:116]
	flat_load_b64 v[128:129], v[100:101]
	v_add_co_u32 v100, s5, v100, -8
	s_wait_alu 0xf1ff
	v_add_co_ci_u32_e64 v101, null, -1, v101, s5
	v_add_co_u32 v98, s5, v98, v165
	s_wait_alu 0xf1ff
	v_add_co_ci_u32_e64 v99, null, v99, v166, s5
	s_wait_loadcnt_dscnt 0x101
	v_mul_f64_e32 v[130:131], v[115:116], v[117:118]
	s_wait_loadcnt_dscnt 0x0
	v_mul_f64_e32 v[117:118], v[128:129], v[117:118]
	s_delay_alu instid0(VALU_DEP_2) | instskip(NEXT) | instid1(VALU_DEP_2)
	v_fma_f64 v[128:129], v[85:86], v[128:129], -v[130:131]
	v_fma_f64 v[85:86], v[85:86], v[115:116], v[117:118]
	v_dual_mov_b32 v115, v133 :: v_dual_add_nc_u32 v118, -1, v114
	s_delay_alu instid0(VALU_DEP_1) | instskip(NEXT) | instid1(VALU_DEP_2)
	v_mad_co_u64_u32 v[115:116], null, v114, v10, v[115:116]
	v_cmp_eq_u32_e64 s5, 0, v118
	s_wait_alu 0xfffe
	s_or_b32 s19, s5, s19
	v_mov_b32_e32 v133, v115
	s_delay_alu instid0(VALU_DEP_1) | instskip(NEXT) | instid1(VALU_DEP_1)
	v_lshlrev_b64_e32 v[114:115], 3, v[132:133]
	v_add_co_u32 v116, s6, v96, v114
	s_wait_alu 0xf1ff
	s_delay_alu instid0(VALU_DEP_2)
	v_add_co_ci_u32_e64 v117, null, v97, v115, s6
	v_mov_b32_e32 v114, v118
	flat_store_b64 v[116:117], v[128:129]
	s_wait_alu 0xfffe
	s_and_not1_b32 exec_lo, exec_lo, s19
	s_cbranch_execnz .LBB32_128
; %bb.129:                              ;   in Loop: Header=BB32_126 Depth=3
	s_or_b32 exec_lo, exec_lo, s19
	s_branch .LBB32_125
.LBB32_130:                             ;   in Loop: Header=BB32_47 Depth=2
	s_wait_alu 0xfffe
	s_or_b32 exec_lo, exec_lo, s16
                                        ; implicit-def: $vgpr85_vgpr86
                                        ; implicit-def: $vgpr112_vgpr113
                                        ; implicit-def: $vgpr29
	s_and_not1_saveexec_b32 s5, s15
	s_cbranch_execnz .LBB32_120
	s_branch .LBB32_121
.LBB32_131:                             ;   in Loop: Header=BB32_8 Depth=1
	v_lshlrev_b64_e32 v[70:71], 3, v[28:29]
	v_dual_mov_b32 v53, v29 :: v_dual_mov_b32 v52, v28
	s_mov_b32 s13, 0
                                        ; implicit-def: $sgpr12
                                        ; implicit-def: $sgpr15
                                        ; implicit-def: $sgpr14
	s_delay_alu instid0(VALU_DEP_1) | instskip(NEXT) | instid1(VALU_DEP_3)
	v_dual_mov_b32 v83, v53 :: v_dual_mov_b32 v82, v52
	v_add_co_u32 v29, vcc_lo, v135, v70
	s_wait_alu 0xfffd
	v_add_co_ci_u32_e64 v30, null, v144, v71, vcc_lo
	v_add_co_u32 v84, vcc_lo, v5, v70
	s_wait_alu 0xfffd
	v_add_co_ci_u32_e64 v85, null, v6, v71, vcc_lo
	s_branch .LBB32_133
.LBB32_132:                             ;   in Loop: Header=BB32_133 Depth=2
	s_wait_alu 0xfffe
	s_or_b32 exec_lo, exec_lo, s16
	s_xor_b32 s4, s14, -1
	s_and_b32 s16, exec_lo, s15
	s_wait_alu 0xfffe
	s_or_b32 s13, s16, s13
	s_and_not1_b32 s12, s12, exec_lo
	s_and_b32 s4, s4, exec_lo
	s_wait_alu 0xfffe
	s_or_b32 s12, s12, s4
	s_and_not1_b32 exec_lo, exec_lo, s13
	s_cbranch_execz .LBB32_135
.LBB32_133:                             ;   Parent Loop BB32_8 Depth=1
                                        ; =>  This Inner Loop Header: Depth=2
	flat_load_b128 v[96:99], v[29:30] offset:-8
	s_or_b32 s14, s14, exec_lo
	s_or_b32 s15, s15, exec_lo
	s_wait_loadcnt_dscnt 0x0
	v_cmp_gt_f64_e64 s4, 0x10000000, |v[96:97]|
	v_cmp_gt_f64_e64 s16, 0x10000000, |v[98:99]|
	s_wait_alu 0xf1ff
	s_delay_alu instid0(VALU_DEP_2) | instskip(NEXT) | instid1(VALU_DEP_2)
	v_cndmask_b32_e64 v31, 0, 0x100, s4
	v_cndmask_b32_e64 v33, 0, 0x100, s16
	s_delay_alu instid0(VALU_DEP_2) | instskip(NEXT) | instid1(VALU_DEP_2)
	v_ldexp_f64 v[80:81], |v[96:97]|, v31
	v_ldexp_f64 v[96:97], |v[98:99]|, v33
	v_cndmask_b32_e64 v31, 0, 0xffffff80, s4
	v_cndmask_b32_e64 v33, 0, 0xffffff80, s16
	s_delay_alu instid0(VALU_DEP_4) | instskip(NEXT) | instid1(VALU_DEP_3)
	v_rsq_f64_e32 v[70:71], v[80:81]
	v_rsq_f64_e32 v[98:99], v[96:97]
	v_cmp_class_f64_e64 vcc_lo, v[80:81], 0x260
	v_cmp_class_f64_e64 s4, v[96:97], 0x260
	s_delay_alu instid0(TRANS32_DEP_2) | instskip(SKIP_1) | instid1(TRANS32_DEP_1)
	v_mul_f64_e32 v[100:101], v[80:81], v[70:71]
	v_mul_f64_e32 v[102:103], 0.5, v[70:71]
	v_mul_f64_e32 v[112:113], v[96:97], v[98:99]
	v_mul_f64_e32 v[98:99], 0.5, v[98:99]
	v_dual_mov_b32 v70, v84 :: v_dual_mov_b32 v71, v85
	flat_load_b64 v[84:85], v[84:85]
	v_fma_f64 v[114:115], -v[102:103], v[100:101], 0.5
	v_fma_f64 v[116:117], -v[98:99], v[112:113], 0.5
	s_delay_alu instid0(VALU_DEP_2) | instskip(SKIP_1) | instid1(VALU_DEP_3)
	v_fma_f64 v[100:101], v[100:101], v[114:115], v[100:101]
	v_fma_f64 v[102:103], v[102:103], v[114:115], v[102:103]
	;; [unrolled: 1-line block ×4, first 2 shown]
	s_delay_alu instid0(VALU_DEP_4) | instskip(NEXT) | instid1(VALU_DEP_3)
	v_fma_f64 v[114:115], -v[100:101], v[100:101], v[80:81]
	v_fma_f64 v[116:117], -v[112:113], v[112:113], v[96:97]
	s_delay_alu instid0(VALU_DEP_2) | instskip(NEXT) | instid1(VALU_DEP_2)
	v_fma_f64 v[100:101], v[114:115], v[102:103], v[100:101]
	v_fma_f64 v[112:113], v[116:117], v[98:99], v[112:113]
	s_delay_alu instid0(VALU_DEP_2) | instskip(NEXT) | instid1(VALU_DEP_2)
	v_fma_f64 v[114:115], -v[100:101], v[100:101], v[80:81]
	v_fma_f64 v[116:117], -v[112:113], v[112:113], v[96:97]
	s_delay_alu instid0(VALU_DEP_2) | instskip(NEXT) | instid1(VALU_DEP_2)
	v_fma_f64 v[100:101], v[114:115], v[102:103], v[100:101]
	v_fma_f64 v[98:99], v[116:117], v[98:99], v[112:113]
	s_delay_alu instid0(VALU_DEP_2) | instskip(NEXT) | instid1(VALU_DEP_2)
	v_ldexp_f64 v[100:101], v[100:101], v31
	v_ldexp_f64 v[98:99], v[98:99], v33
	s_wait_alu 0xfffd
	s_delay_alu instid0(VALU_DEP_2) | instskip(SKIP_1) | instid1(VALU_DEP_2)
	v_dual_cndmask_b32 v81, v101, v81 :: v_dual_cndmask_b32 v80, v100, v80
	s_wait_alu 0xf1ff
	v_cndmask_b32_e64 v97, v99, v97, s4
	s_delay_alu instid0(VALU_DEP_3) | instskip(NEXT) | instid1(VALU_DEP_1)
	v_cndmask_b32_e64 v96, v98, v96, s4
	v_mul_f64_e32 v[80:81], v[80:81], v[96:97]
	s_delay_alu instid0(VALU_DEP_1) | instskip(SKIP_1) | instid1(VALU_DEP_1)
	v_mul_f64_e32 v[80:81], v[15:16], v[80:81]
	s_wait_loadcnt_dscnt 0x0
	v_cmp_nle_f64_e64 s4, |v[84:85]|, v[80:81]
	v_dual_mov_b32 v80, v82 :: v_dual_mov_b32 v81, v83
                                        ; implicit-def: $vgpr82_vgpr83
                                        ; implicit-def: $vgpr84_vgpr85
	s_and_saveexec_b32 s16, s4
	s_cbranch_execz .LBB32_132
; %bb.134:                              ;   in Loop: Header=BB32_133 Depth=2
	s_delay_alu instid0(VALU_DEP_1)
	v_add_co_u32 v82, vcc_lo, v80, 1
	s_wait_alu 0xfffd
	v_add_co_ci_u32_e64 v83, null, 0, v81, vcc_lo
	v_add_co_u32 v29, vcc_lo, v29, 8
	s_wait_alu 0xfffd
	v_add_co_ci_u32_e64 v30, null, 0, v30, vcc_lo
	v_cmp_ge_i32_e32 vcc_lo, v82, v32
	v_add_co_u32 v84, s4, v70, 8
	s_wait_alu 0xf1ff
	v_add_co_ci_u32_e64 v85, null, 0, v71, s4
	s_wait_alu 0xfffe
	s_and_not1_b32 s4, s15, exec_lo
	s_and_b32 s15, vcc_lo, exec_lo
	s_and_not1_b32 s14, s14, exec_lo
	s_wait_alu 0xfffe
	s_or_b32 s15, s4, s15
	s_branch .LBB32_132
.LBB32_135:                             ;   in Loop: Header=BB32_8 Depth=1
	s_or_b32 exec_lo, exec_lo, s13
	s_mov_b32 s4, -1
	s_mov_b32 s13, s6
                                        ; implicit-def: $vgpr82_vgpr83
	s_wait_alu 0xfffe
	s_and_saveexec_b32 s14, s12
	s_wait_alu 0xfffe
	s_xor_b32 s12, exec_lo, s14
; %bb.136:                              ;   in Loop: Header=BB32_8 Depth=1
	v_ashrrev_i32_e32 v33, 31, v32
	s_xor_b32 s4, exec_lo, -1
	s_or_b32 s13, s6, exec_lo
	s_delay_alu instid0(VALU_DEP_1)
	v_dual_mov_b32 v83, v33 :: v_dual_mov_b32 v82, v32
; %bb.137:                              ;   in Loop: Header=BB32_8 Depth=1
	s_wait_alu 0xfffe
	s_or_b32 exec_lo, exec_lo, s12
	v_mov_b32_e32 v30, v52
	v_dual_mov_b32 v98, v32 :: v_dual_mov_b32 v31, v53
	s_and_not1_b32 s6, s6, exec_lo
	s_and_b32 s12, s13, exec_lo
	s_and_b32 s4, s4, exec_lo
	s_wait_alu 0xfffe
	s_or_b32 s6, s6, s12
	s_or_b32 exec_lo, exec_lo, s11
	s_wait_alu 0xfffe
	s_and_saveexec_b32 s11, s6
	s_cbranch_execz .LBB32_17
.LBB32_138:                             ;   in Loop: Header=BB32_8 Depth=1
	global_load_b32 v29, v[21:22], off offset:4
	s_wait_loadcnt 0x0
	ds_store_b32 v29, v98
	s_wait_alu 0xfffe
	s_or_b32 exec_lo, exec_lo, s11
	s_and_saveexec_b32 s6, s4
	s_cbranch_execnz .LBB32_18
	s_branch .LBB32_19
.LBB32_139:                             ;   in Loop: Header=BB32_8 Depth=1
	s_or_b32 exec_lo, exec_lo, s14
.LBB32_140:                             ;   in Loop: Header=BB32_8 Depth=1
	s_wait_alu 0xfffe
	s_or_b32 exec_lo, exec_lo, s13
                                        ; implicit-def: $vgpr33
                                        ; implicit-def: $vgpr51
                                        ; implicit-def: $vgpr84
                                        ; implicit-def: $vgpr98
.LBB32_141:                             ;   in Loop: Header=BB32_8 Depth=1
	s_wait_alu 0xfffe
	s_and_not1_saveexec_b32 s6, s12
	s_cbranch_execz .LBB32_232
; %bb.142:                              ;   in Loop: Header=BB32_8 Depth=1
	s_and_saveexec_b32 s12, s4
	s_cbranch_execz .LBB32_231
; %bb.143:                              ;   in Loop: Header=BB32_8 Depth=1
	s_mov_b32 s13, 0
	s_branch .LBB32_146
.LBB32_144:                             ;   in Loop: Header=BB32_146 Depth=2
	s_wait_alu 0xfffe
	s_or_b32 exec_lo, exec_lo, s15
	s_wait_storecnt 0x0
	s_wait_loadcnt_dscnt 0x0
	s_barrier_signal -1
	s_barrier_wait -1
	global_inv scope:SCOPE_SE
	ds_load_b32 v84, v33
.LBB32_145:                             ;   in Loop: Header=BB32_146 Depth=2
	s_wait_alu 0xfffe
	s_or_b32 exec_lo, exec_lo, s14
	ds_load_b32 v51, v82
	ds_load_b32 v98, v167
	s_wait_dscnt 0x1
	v_cmp_lt_i32_e32 vcc_lo, v84, v51
	s_wait_dscnt 0x0
	v_cmp_ge_i32_e64 s4, v98, v14
	s_or_b32 s4, vcc_lo, s4
	s_wait_alu 0xfffe
	s_and_b32 s4, exec_lo, s4
	s_wait_alu 0xfffe
	s_or_b32 s13, s4, s13
	s_wait_alu 0xfffe
	s_and_not1_b32 exec_lo, exec_lo, s13
	s_cbranch_execz .LBB32_230
.LBB32_146:                             ;   Parent Loop BB32_8 Depth=1
                                        ; =>  This Loop Header: Depth=2
                                        ;       Child Loop BB32_183 Depth 3
                                        ;       Child Loop BB32_168 Depth 3
	;; [unrolled: 1-line block ×3, first 2 shown]
                                        ;         Child Loop BB32_227 Depth 4
                                        ; implicit-def: $vgpr132
	s_and_saveexec_b32 s4, s0
	s_wait_alu 0xfffe
	s_xor_b32 s4, exec_lo, s4
	s_cbranch_execz .LBB32_148
; %bb.147:                              ;   in Loop: Header=BB32_146 Depth=2
	global_load_b32 v132, v[21:22], off offset:4
                                        ; implicit-def: $vgpr84
                                        ; implicit-def: $vgpr51
                                        ; implicit-def: $vgpr98
.LBB32_148:                             ;   in Loop: Header=BB32_146 Depth=2
	s_wait_alu 0xfffe
	s_and_not1_saveexec_b32 s5, s4
	s_cbranch_execz .LBB32_221
; %bb.149:                              ;   in Loop: Header=BB32_146 Depth=2
	v_ashrrev_i32_e32 v85, 31, v84
	s_mov_b32 s4, 0
	s_mov_b32 s14, 0
	s_mov_b32 s15, exec_lo
                                        ; implicit-def: $vgpr29_vgpr30
	v_cmpx_le_i32_e64 v84, v51
	s_wait_alu 0xfffe
	s_xor_b32 s15, exec_lo, s15
	s_cbranch_execnz .LBB32_180
; %bb.150:                              ;   in Loop: Header=BB32_146 Depth=2
	s_wait_alu 0xfffe
	s_or_saveexec_b32 s15, s15
	v_mov_b32_e32 v28, v84
	s_wait_alu 0xfffe
	s_xor_b32 exec_lo, exec_lo, s15
	s_cbranch_execnz .LBB32_181
.LBB32_151:                             ;   in Loop: Header=BB32_146 Depth=2
	s_or_b32 exec_lo, exec_lo, s15
                                        ; implicit-def: $vgpr132
	s_and_saveexec_b32 s15, s14
	s_cbranch_execnz .LBB32_186
.LBB32_152:                             ;   in Loop: Header=BB32_146 Depth=2
	s_wait_alu 0xfffe
	s_or_b32 exec_lo, exec_lo, s15
	s_and_saveexec_b32 s14, s4
	s_cbranch_execz .LBB32_154
.LBB32_153:                             ;   in Loop: Header=BB32_146 Depth=2
	s_wait_loadcnt 0x0
	s_clause 0x1
	global_load_b32 v132, v[21:22], off offset:4
	global_load_b32 v31, v[21:22], off offset:16
	v_dual_mov_b32 v29, v54 :: v_dual_mov_b32 v28, v176
	v_dual_mov_b32 v51, v50 :: v_dual_mov_b32 v30, v55
	s_wait_loadcnt 0x1
	ds_store_b32 v132, v176
	s_wait_loadcnt 0x0
	ds_store_b32 v31, v84
	flat_store_b64 v[66:67], v[50:51]
.LBB32_154:                             ;   in Loop: Header=BB32_146 Depth=2
	s_wait_alu 0xfffe
	s_or_b32 exec_lo, exec_lo, s14
	v_lshlrev_b64_e32 v[96:97], 3, v[29:30]
	v_add_nc_u32_e32 v29, -1, v84
	s_mov_b32 s4, exec_lo
	s_delay_alu instid0(VALU_DEP_2) | instskip(SKIP_1) | instid1(VALU_DEP_3)
	v_add_co_u32 v85, vcc_lo, v23, v96
	s_wait_alu 0xfffd
	v_add_co_ci_u32_e64 v86, null, v4, v97, vcc_lo
	flat_load_b64 v[112:113], v[85:86]
	global_load_b32 v133, v[21:22], off offset:8
	s_wait_loadcnt_dscnt 0x0
	ds_store_b64 v133, v[112:113]
	v_cmpx_ne_u32_e64 v28, v84
	s_wait_alu 0xfffe
	s_xor_b32 s14, exec_lo, s4
	s_cbranch_execz .LBB32_218
; %bb.155:                              ;   in Loop: Header=BB32_146 Depth=2
	v_cmp_ne_u32_e32 vcc_lo, v28, v29
	v_ashrrev_i32_e32 v29, 31, v28
	s_and_saveexec_b32 s4, vcc_lo
	s_wait_alu 0xfffe
	s_xor_b32 s15, exec_lo, s4
	s_cbranch_execz .LBB32_190
; %bb.156:                              ;   in Loop: Header=BB32_146 Depth=2
	v_add_co_u32 v30, vcc_lo, v5, v96
	s_wait_alu 0xfffd
	v_add_co_ci_u32_e64 v31, null, v6, v97, vcc_lo
	s_mov_b32 s16, exec_lo
	flat_load_b64 v[96:97], v[85:86] offset:-8
	flat_load_b64 v[114:115], v[30:31] offset:-8
	s_wait_loadcnt_dscnt 0x101
	v_add_f64_e64 v[96:97], v[96:97], -v[112:113]
	s_wait_loadcnt_dscnt 0x0
	v_add_f64_e32 v[99:100], v[114:115], v[114:115]
	s_delay_alu instid0(VALU_DEP_1) | instskip(SKIP_1) | instid1(VALU_DEP_2)
	v_div_scale_f64 v[101:102], null, v[99:100], v[99:100], v[96:97]
	v_div_scale_f64 v[128:129], vcc_lo, v[96:97], v[99:100], v[96:97]
	v_rcp_f64_e32 v[116:117], v[101:102]
	s_delay_alu instid0(TRANS32_DEP_1) | instskip(NEXT) | instid1(VALU_DEP_1)
	v_fma_f64 v[118:119], -v[101:102], v[116:117], 1.0
	v_fma_f64 v[116:117], v[116:117], v[118:119], v[116:117]
	s_delay_alu instid0(VALU_DEP_1) | instskip(NEXT) | instid1(VALU_DEP_1)
	v_fma_f64 v[118:119], -v[101:102], v[116:117], 1.0
	v_fma_f64 v[116:117], v[116:117], v[118:119], v[116:117]
	s_delay_alu instid0(VALU_DEP_1) | instskip(NEXT) | instid1(VALU_DEP_1)
	v_mul_f64_e32 v[118:119], v[128:129], v[116:117]
	v_fma_f64 v[101:102], -v[101:102], v[118:119], v[128:129]
	s_wait_alu 0xfffd
	s_delay_alu instid0(VALU_DEP_1) | instskip(NEXT) | instid1(VALU_DEP_1)
	v_div_fmas_f64 v[101:102], v[101:102], v[116:117], v[118:119]
	v_div_fixup_f64 v[96:97], v[101:102], v[99:100], v[96:97]
	s_delay_alu instid0(VALU_DEP_1) | instskip(NEXT) | instid1(VALU_DEP_1)
	v_fma_f64 v[99:100], v[96:97], v[96:97], 1.0
	v_cmp_gt_f64_e32 vcc_lo, 0x10000000, v[99:100]
	s_wait_alu 0xfffd
	v_cndmask_b32_e64 v51, 0, 0x100, vcc_lo
	s_delay_alu instid0(VALU_DEP_1) | instskip(SKIP_1) | instid1(VALU_DEP_2)
	v_ldexp_f64 v[99:100], v[99:100], v51
	v_cndmask_b32_e64 v51, 0, 0xffffff80, vcc_lo
	v_rsq_f64_e32 v[101:102], v[99:100]
	v_cmp_class_f64_e64 vcc_lo, v[99:100], 0x260
	s_delay_alu instid0(TRANS32_DEP_1) | instskip(SKIP_1) | instid1(VALU_DEP_1)
	v_mul_f64_e32 v[116:117], v[99:100], v[101:102]
	v_mul_f64_e32 v[101:102], 0.5, v[101:102]
	v_fma_f64 v[118:119], -v[101:102], v[116:117], 0.5
	s_delay_alu instid0(VALU_DEP_1) | instskip(SKIP_1) | instid1(VALU_DEP_2)
	v_fma_f64 v[116:117], v[116:117], v[118:119], v[116:117]
	v_fma_f64 v[101:102], v[101:102], v[118:119], v[101:102]
	v_fma_f64 v[118:119], -v[116:117], v[116:117], v[99:100]
	s_delay_alu instid0(VALU_DEP_1) | instskip(NEXT) | instid1(VALU_DEP_1)
	v_fma_f64 v[116:117], v[118:119], v[101:102], v[116:117]
	v_fma_f64 v[118:119], -v[116:117], v[116:117], v[99:100]
	s_delay_alu instid0(VALU_DEP_1) | instskip(NEXT) | instid1(VALU_DEP_1)
	v_fma_f64 v[101:102], v[118:119], v[101:102], v[116:117]
	v_ldexp_f64 v[101:102], v[101:102], v51
	s_wait_alu 0xfffd
	s_delay_alu instid0(VALU_DEP_1) | instskip(NEXT) | instid1(VALU_DEP_2)
	v_cndmask_b32_e32 v51, v102, v100, vcc_lo
	v_cndmask_b32_e32 v99, v101, v99, vcc_lo
	v_cmp_nle_f64_e32 vcc_lo, 0, v[96:97]
	v_lshlrev_b64_e32 v[102:103], 3, v[28:29]
	v_add_nc_u32_e32 v29, 1, v98
	v_and_b32_e32 v100, 0x7fffffff, v51
	v_or_b32_e32 v51, 0x80000000, v51
	s_wait_alu 0xfffd
	s_delay_alu instid0(VALU_DEP_1) | instskip(NEXT) | instid1(VALU_DEP_1)
	v_dual_cndmask_b32 v100, v100, v51 :: v_dual_mov_b32 v51, v50
	v_add_f64_e32 v[96:97], v[96:97], v[99:100]
	v_add_co_u32 v100, vcc_lo, v23, v102
	s_wait_alu 0xfffd
	v_add_co_ci_u32_e64 v101, null, v4, v103, vcc_lo
	v_mov_b32_e32 v98, 0
	v_mov_b32_e32 v99, 0
	flat_load_b64 v[118:119], v[100:101]
	ds_store_b32 v167, v29
	ds_store_b64 v133, v[50:51]
	v_div_scale_f64 v[116:117], null, v[96:97], v[96:97], v[114:115]
	s_delay_alu instid0(VALU_DEP_1) | instskip(NEXT) | instid1(TRANS32_DEP_1)
	v_rcp_f64_e32 v[128:129], v[116:117]
	v_fma_f64 v[130:131], -v[116:117], v[128:129], 1.0
	s_delay_alu instid0(VALU_DEP_1) | instskip(NEXT) | instid1(VALU_DEP_1)
	v_fma_f64 v[128:129], v[128:129], v[130:131], v[128:129]
	v_fma_f64 v[130:131], -v[116:117], v[128:129], 1.0
	s_delay_alu instid0(VALU_DEP_1) | instskip(SKIP_1) | instid1(VALU_DEP_1)
	v_fma_f64 v[128:129], v[128:129], v[130:131], v[128:129]
	v_div_scale_f64 v[130:131], vcc_lo, v[114:115], v[96:97], v[114:115]
	v_mul_f64_e32 v[178:179], v[130:131], v[128:129]
	s_delay_alu instid0(VALU_DEP_1) | instskip(SKIP_3) | instid1(VALU_DEP_2)
	v_fma_f64 v[116:117], -v[116:117], v[178:179], v[130:131]
	s_wait_loadcnt_dscnt 0x2
	v_add_f64_e64 v[112:113], v[118:119], -v[112:113]
	s_wait_alu 0xfffd
	v_div_fmas_f64 v[116:117], v[116:117], v[128:129], v[178:179]
	s_delay_alu instid0(VALU_DEP_1) | instskip(NEXT) | instid1(VALU_DEP_1)
	v_div_fixup_f64 v[96:97], v[116:117], v[96:97], v[114:115]
	v_add_f64_e32 v[96:97], v[112:113], v[96:97]
	v_cmpx_lt_i32_e64 v28, v84
	s_cbranch_execz .LBB32_189
; %bb.157:                              ;   in Loop: Header=BB32_146 Depth=2
	v_add_co_u32 v98, vcc_lo, v5, v102
	s_wait_alu 0xfffd
	v_add_co_ci_u32_e64 v99, null, v6, v103, vcc_lo
	v_mov_b32_e32 v128, 0
	v_mov_b32_e32 v129, 0
	s_mov_b32 s4, exec_lo
	flat_load_b64 v[112:113], v[98:99]
	v_mov_b32_e32 v98, 0
	v_mov_b32_e32 v99, 0x3ff00000
	s_wait_loadcnt_dscnt 0x0
	v_cmpx_neq_f64_e32 0, v[112:113]
	s_cbranch_execz .LBB32_165
; %bb.158:                              ;   in Loop: Header=BB32_146 Depth=2
	v_mov_b32_e32 v98, 0
	v_dual_mov_b32 v99, 0 :: v_dual_mov_b32 v128, 0
	v_mov_b32_e32 v129, 0x3ff00000
	s_mov_b32 s17, exec_lo
	v_cmpx_neq_f64_e32 0, v[96:97]
	s_cbranch_execz .LBB32_164
; %bb.159:                              ;   in Loop: Header=BB32_146 Depth=2
	v_cmp_ngt_f64_e64 s18, |v[112:113]|, |v[96:97]|
                                        ; implicit-def: $vgpr128_vgpr129
                                        ; implicit-def: $vgpr98_vgpr99
	s_and_saveexec_b32 s19, s18
	s_wait_alu 0xfffe
	s_xor_b32 s18, exec_lo, s19
	s_cbranch_execz .LBB32_161
; %bb.160:                              ;   in Loop: Header=BB32_146 Depth=2
	v_div_scale_f64 v[98:99], null, v[96:97], v[96:97], -v[112:113]
	v_div_scale_f64 v[118:119], vcc_lo, -v[112:113], v[96:97], -v[112:113]
	s_delay_alu instid0(VALU_DEP_2) | instskip(NEXT) | instid1(TRANS32_DEP_1)
	v_rcp_f64_e32 v[114:115], v[98:99]
	v_fma_f64 v[116:117], -v[98:99], v[114:115], 1.0
	s_delay_alu instid0(VALU_DEP_1) | instskip(NEXT) | instid1(VALU_DEP_1)
	v_fma_f64 v[114:115], v[114:115], v[116:117], v[114:115]
	v_fma_f64 v[116:117], -v[98:99], v[114:115], 1.0
	s_delay_alu instid0(VALU_DEP_1) | instskip(NEXT) | instid1(VALU_DEP_1)
	v_fma_f64 v[114:115], v[114:115], v[116:117], v[114:115]
	v_mul_f64_e32 v[116:117], v[118:119], v[114:115]
	s_delay_alu instid0(VALU_DEP_1) | instskip(SKIP_1) | instid1(VALU_DEP_1)
	v_fma_f64 v[98:99], -v[98:99], v[116:117], v[118:119]
	s_wait_alu 0xfffd
	v_div_fmas_f64 v[98:99], v[98:99], v[114:115], v[116:117]
	s_delay_alu instid0(VALU_DEP_1) | instskip(NEXT) | instid1(VALU_DEP_1)
	v_div_fixup_f64 v[96:97], v[98:99], v[96:97], -v[112:113]
	v_fma_f64 v[98:99], v[96:97], v[96:97], 1.0
	s_delay_alu instid0(VALU_DEP_1) | instskip(SKIP_2) | instid1(VALU_DEP_1)
	v_cmp_gt_f64_e32 vcc_lo, 0x10000000, v[98:99]
	s_wait_alu 0xfffd
	v_cndmask_b32_e64 v29, 0, 0x100, vcc_lo
	v_ldexp_f64 v[98:99], v[98:99], v29
	v_cndmask_b32_e64 v29, 0, 0xffffff80, vcc_lo
	s_delay_alu instid0(VALU_DEP_2) | instskip(SKIP_1) | instid1(TRANS32_DEP_1)
	v_rsq_f64_e32 v[114:115], v[98:99]
	v_cmp_class_f64_e64 vcc_lo, v[98:99], 0x260
	v_mul_f64_e32 v[116:117], v[98:99], v[114:115]
	v_mul_f64_e32 v[114:115], 0.5, v[114:115]
	s_delay_alu instid0(VALU_DEP_1) | instskip(NEXT) | instid1(VALU_DEP_1)
	v_fma_f64 v[118:119], -v[114:115], v[116:117], 0.5
	v_fma_f64 v[116:117], v[116:117], v[118:119], v[116:117]
	v_fma_f64 v[114:115], v[114:115], v[118:119], v[114:115]
	s_delay_alu instid0(VALU_DEP_2) | instskip(NEXT) | instid1(VALU_DEP_1)
	v_fma_f64 v[118:119], -v[116:117], v[116:117], v[98:99]
	v_fma_f64 v[116:117], v[118:119], v[114:115], v[116:117]
	s_delay_alu instid0(VALU_DEP_1) | instskip(NEXT) | instid1(VALU_DEP_1)
	v_fma_f64 v[118:119], -v[116:117], v[116:117], v[98:99]
	v_fma_f64 v[114:115], v[118:119], v[114:115], v[116:117]
	s_delay_alu instid0(VALU_DEP_1) | instskip(SKIP_1) | instid1(VALU_DEP_1)
	v_ldexp_f64 v[114:115], v[114:115], v29
	s_wait_alu 0xfffd
	v_dual_cndmask_b32 v99, v115, v99 :: v_dual_cndmask_b32 v98, v114, v98
	s_delay_alu instid0(VALU_DEP_1) | instskip(NEXT) | instid1(VALU_DEP_1)
	v_div_scale_f64 v[114:115], null, v[98:99], v[98:99], 1.0
	v_rcp_f64_e32 v[116:117], v[114:115]
	s_delay_alu instid0(TRANS32_DEP_1) | instskip(NEXT) | instid1(VALU_DEP_1)
	v_fma_f64 v[118:119], -v[114:115], v[116:117], 1.0
	v_fma_f64 v[116:117], v[116:117], v[118:119], v[116:117]
	s_delay_alu instid0(VALU_DEP_1) | instskip(NEXT) | instid1(VALU_DEP_1)
	v_fma_f64 v[118:119], -v[114:115], v[116:117], 1.0
	v_fma_f64 v[116:117], v[116:117], v[118:119], v[116:117]
	v_div_scale_f64 v[118:119], vcc_lo, 1.0, v[98:99], 1.0
	s_delay_alu instid0(VALU_DEP_1) | instskip(NEXT) | instid1(VALU_DEP_1)
	v_mul_f64_e32 v[128:129], v[118:119], v[116:117]
	v_fma_f64 v[114:115], -v[114:115], v[128:129], v[118:119]
	s_wait_alu 0xfffd
	s_delay_alu instid0(VALU_DEP_1) | instskip(NEXT) | instid1(VALU_DEP_1)
	v_div_fmas_f64 v[114:115], v[114:115], v[116:117], v[128:129]
	v_div_fixup_f64 v[98:99], v[114:115], v[98:99], 1.0
	s_delay_alu instid0(VALU_DEP_1)
	v_mul_f64_e32 v[128:129], v[96:97], v[98:99]
                                        ; implicit-def: $vgpr96_vgpr97
.LBB32_161:                             ;   in Loop: Header=BB32_146 Depth=2
	s_wait_alu 0xfffe
	s_and_not1_saveexec_b32 s18, s18
	s_cbranch_execz .LBB32_163
; %bb.162:                              ;   in Loop: Header=BB32_146 Depth=2
	v_div_scale_f64 v[98:99], null, v[112:113], v[112:113], -v[96:97]
	v_div_scale_f64 v[118:119], vcc_lo, -v[96:97], v[112:113], -v[96:97]
	s_delay_alu instid0(VALU_DEP_2) | instskip(NEXT) | instid1(TRANS32_DEP_1)
	v_rcp_f64_e32 v[114:115], v[98:99]
	v_fma_f64 v[116:117], -v[98:99], v[114:115], 1.0
	s_delay_alu instid0(VALU_DEP_1) | instskip(NEXT) | instid1(VALU_DEP_1)
	v_fma_f64 v[114:115], v[114:115], v[116:117], v[114:115]
	v_fma_f64 v[116:117], -v[98:99], v[114:115], 1.0
	s_delay_alu instid0(VALU_DEP_1) | instskip(NEXT) | instid1(VALU_DEP_1)
	v_fma_f64 v[114:115], v[114:115], v[116:117], v[114:115]
	v_mul_f64_e32 v[116:117], v[118:119], v[114:115]
	s_delay_alu instid0(VALU_DEP_1) | instskip(SKIP_1) | instid1(VALU_DEP_1)
	v_fma_f64 v[98:99], -v[98:99], v[116:117], v[118:119]
	s_wait_alu 0xfffd
	v_div_fmas_f64 v[98:99], v[98:99], v[114:115], v[116:117]
	s_delay_alu instid0(VALU_DEP_1) | instskip(NEXT) | instid1(VALU_DEP_1)
	v_div_fixup_f64 v[96:97], v[98:99], v[112:113], -v[96:97]
	v_fma_f64 v[98:99], v[96:97], v[96:97], 1.0
	s_delay_alu instid0(VALU_DEP_1) | instskip(SKIP_2) | instid1(VALU_DEP_1)
	v_cmp_gt_f64_e32 vcc_lo, 0x10000000, v[98:99]
	s_wait_alu 0xfffd
	v_cndmask_b32_e64 v29, 0, 0x100, vcc_lo
	v_ldexp_f64 v[98:99], v[98:99], v29
	v_cndmask_b32_e64 v29, 0, 0xffffff80, vcc_lo
	s_delay_alu instid0(VALU_DEP_2) | instskip(SKIP_1) | instid1(TRANS32_DEP_1)
	v_rsq_f64_e32 v[114:115], v[98:99]
	v_cmp_class_f64_e64 vcc_lo, v[98:99], 0x260
	v_mul_f64_e32 v[116:117], v[98:99], v[114:115]
	v_mul_f64_e32 v[114:115], 0.5, v[114:115]
	s_delay_alu instid0(VALU_DEP_1) | instskip(NEXT) | instid1(VALU_DEP_1)
	v_fma_f64 v[118:119], -v[114:115], v[116:117], 0.5
	v_fma_f64 v[116:117], v[116:117], v[118:119], v[116:117]
	v_fma_f64 v[114:115], v[114:115], v[118:119], v[114:115]
	s_delay_alu instid0(VALU_DEP_2) | instskip(NEXT) | instid1(VALU_DEP_1)
	v_fma_f64 v[118:119], -v[116:117], v[116:117], v[98:99]
	v_fma_f64 v[116:117], v[118:119], v[114:115], v[116:117]
	s_delay_alu instid0(VALU_DEP_1) | instskip(NEXT) | instid1(VALU_DEP_1)
	v_fma_f64 v[118:119], -v[116:117], v[116:117], v[98:99]
	v_fma_f64 v[114:115], v[118:119], v[114:115], v[116:117]
	s_delay_alu instid0(VALU_DEP_1) | instskip(SKIP_1) | instid1(VALU_DEP_1)
	v_ldexp_f64 v[114:115], v[114:115], v29
	s_wait_alu 0xfffd
	v_dual_cndmask_b32 v99, v115, v99 :: v_dual_cndmask_b32 v98, v114, v98
	s_delay_alu instid0(VALU_DEP_1) | instskip(NEXT) | instid1(VALU_DEP_1)
	v_div_scale_f64 v[114:115], null, v[98:99], v[98:99], 1.0
	v_rcp_f64_e32 v[116:117], v[114:115]
	s_delay_alu instid0(TRANS32_DEP_1) | instskip(NEXT) | instid1(VALU_DEP_1)
	v_fma_f64 v[118:119], -v[114:115], v[116:117], 1.0
	v_fma_f64 v[116:117], v[116:117], v[118:119], v[116:117]
	s_delay_alu instid0(VALU_DEP_1) | instskip(NEXT) | instid1(VALU_DEP_1)
	v_fma_f64 v[118:119], -v[114:115], v[116:117], 1.0
	v_fma_f64 v[116:117], v[116:117], v[118:119], v[116:117]
	v_div_scale_f64 v[118:119], vcc_lo, 1.0, v[98:99], 1.0
	s_delay_alu instid0(VALU_DEP_1) | instskip(NEXT) | instid1(VALU_DEP_1)
	v_mul_f64_e32 v[128:129], v[118:119], v[116:117]
	v_fma_f64 v[114:115], -v[114:115], v[128:129], v[118:119]
	s_wait_alu 0xfffd
	s_delay_alu instid0(VALU_DEP_1) | instskip(NEXT) | instid1(VALU_DEP_1)
	v_div_fmas_f64 v[114:115], v[114:115], v[116:117], v[128:129]
	v_div_fixup_f64 v[128:129], v[114:115], v[98:99], 1.0
	s_delay_alu instid0(VALU_DEP_1)
	v_mul_f64_e32 v[98:99], v[96:97], v[128:129]
.LBB32_163:                             ;   in Loop: Header=BB32_146 Depth=2
	s_wait_alu 0xfffe
	s_or_b32 exec_lo, exec_lo, s18
.LBB32_164:                             ;   in Loop: Header=BB32_146 Depth=2
	s_wait_alu 0xfffe
	s_or_b32 exec_lo, exec_lo, s17
.LBB32_165:                             ;   in Loop: Header=BB32_146 Depth=2
	s_wait_alu 0xfffe
	s_or_b32 exec_lo, exec_lo, s4
	flat_load_b128 v[114:117], v[100:101]
	s_mov_b32 s17, exec_lo
	s_wait_loadcnt_dscnt 0x0
	v_add_f64_e64 v[96:97], v[116:117], -v[114:115]
	v_add_f64_e32 v[116:117], v[98:99], v[98:99]
	s_delay_alu instid0(VALU_DEP_2) | instskip(NEXT) | instid1(VALU_DEP_1)
	v_mul_f64_e32 v[96:97], v[128:129], v[96:97]
	v_fma_f64 v[96:97], v[112:113], v[116:117], -v[96:97]
	s_delay_alu instid0(VALU_DEP_1)
	v_mul_f64_e64 v[116:117], v[96:97], -v[128:129]
	v_fma_f64 v[114:115], v[96:97], -v[128:129], v[114:115]
	v_fma_f64 v[96:97], v[98:99], v[96:97], -v[112:113]
	v_add_co_u32 v112, vcc_lo, v12, v102
	s_wait_alu 0xfffd
	v_add_co_ci_u32_e64 v113, null, v13, v103, vcc_lo
	v_xor_b32_e32 v129, 0x80000000, v129
	v_add_nc_u32_e32 v102, 1, v28
	v_add_co_u32 v118, vcc_lo, v112, v34
	s_wait_alu 0xfffd
	v_add_co_ci_u32_e64 v119, null, v113, v35, vcc_lo
	ds_store_b64 v133, v[116:117]
	flat_store_b64 v[100:101], v[114:115]
	s_clause 0x1
	flat_store_b64 v[112:113], v[98:99]
	flat_store_b64 v[118:119], v[128:129] offset:-8
	v_cmpx_lt_i32_e64 v102, v84
	s_cbranch_execz .LBB32_188
; %bb.166:                              ;   in Loop: Header=BB32_146 Depth=2
	v_ashrrev_i32_e32 v103, 31, v102
	s_mov_b32 s19, 1
	s_mov_b32 s18, 0
	s_delay_alu instid0(VALU_DEP_1) | instskip(NEXT) | instid1(VALU_DEP_1)
	v_lshlrev_b64_e32 v[112:113], 3, v[102:103]
	v_add_co_u32 v100, vcc_lo, v12, v112
	s_wait_alu 0xfffd
	s_delay_alu instid0(VALU_DEP_2)
	v_add_co_ci_u32_e64 v101, null, v13, v113, vcc_lo
	v_add_co_u32 v102, vcc_lo, v135, v112
	s_wait_alu 0xfffd
	v_add_co_ci_u32_e64 v103, null, v144, v113, vcc_lo
	v_add_co_u32 v112, vcc_lo, v149, v112
	s_wait_alu 0xfffd
	v_add_co_ci_u32_e64 v113, null, v150, v113, vcc_lo
	s_branch .LBB32_168
.LBB32_167:                             ;   in Loop: Header=BB32_168 Depth=3
	flat_load_b128 v[178:181], v[102:103] offset:-8
	ds_load_b64 v[96:97], v133
	v_mul_f64_e32 v[98:99], v[98:99], v[114:115]
	v_add_f64_e32 v[114:115], v[118:119], v[118:119]
	s_add_co_i32 s19, s19, 1
	v_add_co_u32 v112, vcc_lo, v112, 8
	s_wait_alu 0xfffe
	v_add_nc_u32_e32 v29, s19, v28
	s_wait_alu 0xfffd
	v_add_co_ci_u32_e64 v113, null, 0, v113, vcc_lo
	s_wait_loadcnt_dscnt 0x0
	v_add_f64_e64 v[96:97], v[178:179], -v[96:97]
	s_delay_alu instid0(VALU_DEP_1) | instskip(NEXT) | instid1(VALU_DEP_1)
	v_add_f64_e64 v[116:117], v[180:181], -v[96:97]
	v_mul_f64_e32 v[116:117], v[128:129], v[116:117]
	s_delay_alu instid0(VALU_DEP_1) | instskip(NEXT) | instid1(VALU_DEP_1)
	v_fma_f64 v[114:115], v[98:99], v[114:115], -v[116:117]
	v_mul_f64_e64 v[116:117], v[114:115], -v[128:129]
	v_fma_f64 v[130:131], v[114:115], -v[128:129], v[96:97]
	v_fma_f64 v[96:97], v[118:119], v[114:115], -v[98:99]
	v_add_co_u32 v114, vcc_lo, v100, v151
	s_wait_alu 0xfffd
	v_add_co_ci_u32_e64 v115, null, v101, v160, vcc_lo
	v_mov_b32_e32 v98, v118
	v_cmp_ge_i32_e32 vcc_lo, v29, v84
	v_xor_b32_e32 v129, 0x80000000, v129
	v_mov_b32_e32 v99, v119
	s_or_b32 s18, vcc_lo, s18
	ds_store_b64 v133, v[116:117]
	flat_store_b64 v[102:103], v[130:131] offset:-8
	flat_store_b64 v[100:101], v[118:119]
	v_add_co_u32 v100, s4, v100, 8
	s_wait_alu 0xf1ff
	v_add_co_ci_u32_e64 v101, null, 0, v101, s4
	v_add_co_u32 v102, s4, v102, 8
	s_wait_alu 0xf1ff
	v_add_co_ci_u32_e64 v103, null, 0, v103, s4
	flat_store_b64 v[114:115], v[128:129]
	s_wait_alu 0xfffe
	s_and_not1_b32 exec_lo, exec_lo, s18
	s_cbranch_execz .LBB32_187
.LBB32_168:                             ;   Parent Loop BB32_8 Depth=1
                                        ;     Parent Loop BB32_146 Depth=2
                                        ; =>    This Inner Loop Header: Depth=3
	flat_load_b64 v[114:115], v[112:113] offset:8
	s_mov_b32 s4, exec_lo
	v_mov_b32_e32 v118, 0
	v_mov_b32_e32 v119, 0x3ff00000
	s_wait_loadcnt_dscnt 0x0
	v_mul_f64_e32 v[116:117], v[128:129], v[114:115]
	v_mov_b32_e32 v128, 0
	v_mov_b32_e32 v129, 0
	s_delay_alu instid0(VALU_DEP_3)
	v_cmpx_neq_f64_e32 0, v[116:117]
	s_cbranch_execz .LBB32_178
; %bb.169:                              ;   in Loop: Header=BB32_168 Depth=3
	v_xor_b32_e32 v131, 0x80000000, v117
	v_mov_b32_e32 v130, v116
	s_mov_b32 s20, exec_lo
                                        ; implicit-def: $vgpr128_vgpr129
                                        ; implicit-def: $vgpr118_vgpr119
	v_cmpx_neq_f64_e32 0, v[96:97]
	s_wait_alu 0xfffe
	s_xor_b32 s20, exec_lo, s20
	s_cbranch_execz .LBB32_175
; %bb.170:                              ;   in Loop: Header=BB32_168 Depth=3
	v_cmp_ngt_f64_e64 s21, |v[116:117]|, |v[96:97]|
                                        ; implicit-def: $vgpr128_vgpr129
                                        ; implicit-def: $vgpr118_vgpr119
	s_and_saveexec_b32 s22, s21
	s_wait_alu 0xfffe
	s_xor_b32 s21, exec_lo, s22
	s_cbranch_execz .LBB32_172
; %bb.171:                              ;   in Loop: Header=BB32_168 Depth=3
	v_div_scale_f64 v[118:119], null, v[96:97], v[96:97], -v[116:117]
	v_div_scale_f64 v[178:179], vcc_lo, -v[116:117], v[96:97], -v[116:117]
	s_delay_alu instid0(VALU_DEP_2) | instskip(NEXT) | instid1(TRANS32_DEP_1)
	v_rcp_f64_e32 v[128:129], v[118:119]
	v_fma_f64 v[130:131], -v[118:119], v[128:129], 1.0
	s_delay_alu instid0(VALU_DEP_1) | instskip(NEXT) | instid1(VALU_DEP_1)
	v_fma_f64 v[128:129], v[128:129], v[130:131], v[128:129]
	v_fma_f64 v[130:131], -v[118:119], v[128:129], 1.0
	s_delay_alu instid0(VALU_DEP_1) | instskip(NEXT) | instid1(VALU_DEP_1)
	v_fma_f64 v[128:129], v[128:129], v[130:131], v[128:129]
	v_mul_f64_e32 v[130:131], v[178:179], v[128:129]
	s_delay_alu instid0(VALU_DEP_1) | instskip(SKIP_1) | instid1(VALU_DEP_1)
	v_fma_f64 v[118:119], -v[118:119], v[130:131], v[178:179]
	s_wait_alu 0xfffd
	v_div_fmas_f64 v[118:119], v[118:119], v[128:129], v[130:131]
	s_delay_alu instid0(VALU_DEP_1) | instskip(NEXT) | instid1(VALU_DEP_1)
	v_div_fixup_f64 v[128:129], v[118:119], v[96:97], -v[116:117]
	v_fma_f64 v[118:119], v[128:129], v[128:129], 1.0
	s_delay_alu instid0(VALU_DEP_1) | instskip(SKIP_2) | instid1(VALU_DEP_1)
	v_cmp_gt_f64_e32 vcc_lo, 0x10000000, v[118:119]
	s_wait_alu 0xfffd
	v_cndmask_b32_e64 v29, 0, 0x100, vcc_lo
	v_ldexp_f64 v[118:119], v[118:119], v29
	v_cndmask_b32_e64 v29, 0, 0xffffff80, vcc_lo
	s_delay_alu instid0(VALU_DEP_2) | instskip(SKIP_1) | instid1(TRANS32_DEP_1)
	v_rsq_f64_e32 v[130:131], v[118:119]
	v_cmp_class_f64_e64 vcc_lo, v[118:119], 0x260
	v_mul_f64_e32 v[178:179], v[118:119], v[130:131]
	v_mul_f64_e32 v[130:131], 0.5, v[130:131]
	s_delay_alu instid0(VALU_DEP_1) | instskip(NEXT) | instid1(VALU_DEP_1)
	v_fma_f64 v[180:181], -v[130:131], v[178:179], 0.5
	v_fma_f64 v[178:179], v[178:179], v[180:181], v[178:179]
	v_fma_f64 v[130:131], v[130:131], v[180:181], v[130:131]
	s_delay_alu instid0(VALU_DEP_2) | instskip(NEXT) | instid1(VALU_DEP_1)
	v_fma_f64 v[180:181], -v[178:179], v[178:179], v[118:119]
	v_fma_f64 v[178:179], v[180:181], v[130:131], v[178:179]
	s_delay_alu instid0(VALU_DEP_1) | instskip(NEXT) | instid1(VALU_DEP_1)
	v_fma_f64 v[180:181], -v[178:179], v[178:179], v[118:119]
	v_fma_f64 v[130:131], v[180:181], v[130:131], v[178:179]
	s_delay_alu instid0(VALU_DEP_1) | instskip(SKIP_1) | instid1(VALU_DEP_1)
	v_ldexp_f64 v[130:131], v[130:131], v29
	s_wait_alu 0xfffd
	v_dual_cndmask_b32 v119, v131, v119 :: v_dual_cndmask_b32 v118, v130, v118
	s_delay_alu instid0(VALU_DEP_1) | instskip(NEXT) | instid1(VALU_DEP_1)
	v_div_scale_f64 v[130:131], null, v[118:119], v[118:119], 1.0
	v_rcp_f64_e32 v[178:179], v[130:131]
	s_delay_alu instid0(TRANS32_DEP_1) | instskip(NEXT) | instid1(VALU_DEP_1)
	v_fma_f64 v[180:181], -v[130:131], v[178:179], 1.0
	v_fma_f64 v[178:179], v[178:179], v[180:181], v[178:179]
	s_delay_alu instid0(VALU_DEP_1) | instskip(NEXT) | instid1(VALU_DEP_1)
	v_fma_f64 v[180:181], -v[130:131], v[178:179], 1.0
	v_fma_f64 v[178:179], v[178:179], v[180:181], v[178:179]
	v_div_scale_f64 v[180:181], vcc_lo, 1.0, v[118:119], 1.0
	s_delay_alu instid0(VALU_DEP_1) | instskip(NEXT) | instid1(VALU_DEP_1)
	v_mul_f64_e32 v[182:183], v[180:181], v[178:179]
	v_fma_f64 v[130:131], -v[130:131], v[182:183], v[180:181]
	s_wait_alu 0xfffd
	s_delay_alu instid0(VALU_DEP_1) | instskip(NEXT) | instid1(VALU_DEP_1)
	v_div_fmas_f64 v[130:131], v[130:131], v[178:179], v[182:183]
	v_div_fixup_f64 v[118:119], v[130:131], v[118:119], 1.0
	s_delay_alu instid0(VALU_DEP_1)
	v_mul_f64_e32 v[128:129], v[128:129], v[118:119]
.LBB32_172:                             ;   in Loop: Header=BB32_168 Depth=3
	s_wait_alu 0xfffe
	s_and_not1_saveexec_b32 s21, s21
	s_cbranch_execz .LBB32_174
; %bb.173:                              ;   in Loop: Header=BB32_168 Depth=3
	v_div_scale_f64 v[118:119], null, v[116:117], v[116:117], -v[96:97]
	v_div_scale_f64 v[178:179], vcc_lo, -v[96:97], v[116:117], -v[96:97]
	s_delay_alu instid0(VALU_DEP_2) | instskip(NEXT) | instid1(TRANS32_DEP_1)
	v_rcp_f64_e32 v[128:129], v[118:119]
	v_fma_f64 v[130:131], -v[118:119], v[128:129], 1.0
	s_delay_alu instid0(VALU_DEP_1) | instskip(NEXT) | instid1(VALU_DEP_1)
	v_fma_f64 v[128:129], v[128:129], v[130:131], v[128:129]
	v_fma_f64 v[130:131], -v[118:119], v[128:129], 1.0
	s_delay_alu instid0(VALU_DEP_1) | instskip(NEXT) | instid1(VALU_DEP_1)
	v_fma_f64 v[128:129], v[128:129], v[130:131], v[128:129]
	v_mul_f64_e32 v[130:131], v[178:179], v[128:129]
	s_delay_alu instid0(VALU_DEP_1) | instskip(SKIP_1) | instid1(VALU_DEP_1)
	v_fma_f64 v[118:119], -v[118:119], v[130:131], v[178:179]
	s_wait_alu 0xfffd
	v_div_fmas_f64 v[118:119], v[118:119], v[128:129], v[130:131]
	s_delay_alu instid0(VALU_DEP_1) | instskip(NEXT) | instid1(VALU_DEP_1)
	v_div_fixup_f64 v[118:119], v[118:119], v[116:117], -v[96:97]
	v_fma_f64 v[128:129], v[118:119], v[118:119], 1.0
	s_delay_alu instid0(VALU_DEP_1) | instskip(SKIP_2) | instid1(VALU_DEP_1)
	v_cmp_gt_f64_e32 vcc_lo, 0x10000000, v[128:129]
	s_wait_alu 0xfffd
	v_cndmask_b32_e64 v29, 0, 0x100, vcc_lo
	v_ldexp_f64 v[128:129], v[128:129], v29
	v_cndmask_b32_e64 v29, 0, 0xffffff80, vcc_lo
	s_delay_alu instid0(VALU_DEP_2) | instskip(SKIP_1) | instid1(TRANS32_DEP_1)
	v_rsq_f64_e32 v[130:131], v[128:129]
	v_cmp_class_f64_e64 vcc_lo, v[128:129], 0x260
	v_mul_f64_e32 v[178:179], v[128:129], v[130:131]
	v_mul_f64_e32 v[130:131], 0.5, v[130:131]
	s_delay_alu instid0(VALU_DEP_1) | instskip(NEXT) | instid1(VALU_DEP_1)
	v_fma_f64 v[180:181], -v[130:131], v[178:179], 0.5
	v_fma_f64 v[178:179], v[178:179], v[180:181], v[178:179]
	v_fma_f64 v[130:131], v[130:131], v[180:181], v[130:131]
	s_delay_alu instid0(VALU_DEP_2) | instskip(NEXT) | instid1(VALU_DEP_1)
	v_fma_f64 v[180:181], -v[178:179], v[178:179], v[128:129]
	v_fma_f64 v[178:179], v[180:181], v[130:131], v[178:179]
	s_delay_alu instid0(VALU_DEP_1) | instskip(NEXT) | instid1(VALU_DEP_1)
	v_fma_f64 v[180:181], -v[178:179], v[178:179], v[128:129]
	v_fma_f64 v[130:131], v[180:181], v[130:131], v[178:179]
	s_delay_alu instid0(VALU_DEP_1) | instskip(SKIP_1) | instid1(VALU_DEP_1)
	v_ldexp_f64 v[130:131], v[130:131], v29
	s_wait_alu 0xfffd
	v_dual_cndmask_b32 v129, v131, v129 :: v_dual_cndmask_b32 v128, v130, v128
	s_delay_alu instid0(VALU_DEP_1) | instskip(NEXT) | instid1(VALU_DEP_1)
	v_div_scale_f64 v[130:131], null, v[128:129], v[128:129], 1.0
	v_rcp_f64_e32 v[178:179], v[130:131]
	s_delay_alu instid0(TRANS32_DEP_1) | instskip(NEXT) | instid1(VALU_DEP_1)
	v_fma_f64 v[180:181], -v[130:131], v[178:179], 1.0
	v_fma_f64 v[178:179], v[178:179], v[180:181], v[178:179]
	s_delay_alu instid0(VALU_DEP_1) | instskip(NEXT) | instid1(VALU_DEP_1)
	v_fma_f64 v[180:181], -v[130:131], v[178:179], 1.0
	v_fma_f64 v[178:179], v[178:179], v[180:181], v[178:179]
	v_div_scale_f64 v[180:181], vcc_lo, 1.0, v[128:129], 1.0
	s_delay_alu instid0(VALU_DEP_1) | instskip(NEXT) | instid1(VALU_DEP_1)
	v_mul_f64_e32 v[182:183], v[180:181], v[178:179]
	v_fma_f64 v[130:131], -v[130:131], v[182:183], v[180:181]
	s_wait_alu 0xfffd
	s_delay_alu instid0(VALU_DEP_1) | instskip(NEXT) | instid1(VALU_DEP_1)
	v_div_fmas_f64 v[130:131], v[130:131], v[178:179], v[182:183]
	v_div_fixup_f64 v[128:129], v[130:131], v[128:129], 1.0
	s_delay_alu instid0(VALU_DEP_1)
	v_mul_f64_e32 v[118:119], v[118:119], v[128:129]
.LBB32_174:                             ;   in Loop: Header=BB32_168 Depth=3
	s_wait_alu 0xfffe
	s_or_b32 exec_lo, exec_lo, s21
	s_delay_alu instid0(VALU_DEP_1) | instskip(NEXT) | instid1(VALU_DEP_1)
	v_mul_f64_e32 v[116:117], v[116:117], v[128:129]
	v_fma_f64 v[130:131], v[96:97], v[118:119], -v[116:117]
.LBB32_175:                             ;   in Loop: Header=BB32_168 Depth=3
	s_wait_alu 0xfffe
	s_and_not1_saveexec_b32 s20, s20
; %bb.176:                              ;   in Loop: Header=BB32_168 Depth=3
	v_mov_b32_e32 v118, 0
	v_dual_mov_b32 v119, 0 :: v_dual_mov_b32 v128, 0
	v_mov_b32_e32 v129, 0x3ff00000
; %bb.177:                              ;   in Loop: Header=BB32_168 Depth=3
	s_wait_alu 0xfffe
	s_or_b32 exec_lo, exec_lo, s20
	s_delay_alu instid0(VALU_DEP_4)
	v_dual_mov_b32 v96, v130 :: v_dual_mov_b32 v97, v131
.LBB32_178:                             ;   in Loop: Header=BB32_168 Depth=3
	s_wait_alu 0xfffe
	s_or_b32 exec_lo, exec_lo, s4
	s_cmp_eq_u32 s19, 0
	s_cbranch_scc1 .LBB32_167
; %bb.179:                              ;   in Loop: Header=BB32_168 Depth=3
	flat_store_b64 v[112:113], v[96:97]
	s_branch .LBB32_167
.LBB32_180:                             ;   in Loop: Header=BB32_146 Depth=2
	v_dual_mov_b32 v29, v84 :: v_dual_mov_b32 v30, v85
	s_mov_b32 s14, exec_lo
                                        ; implicit-def: $vgpr51
	s_wait_alu 0xfffe
	s_or_saveexec_b32 s15, s15
	v_mov_b32_e32 v28, v84
	s_wait_alu 0xfffe
	s_xor_b32 exec_lo, exec_lo, s15
	s_cbranch_execz .LBB32_151
.LBB32_181:                             ;   in Loop: Header=BB32_146 Depth=2
	v_lshlrev_b64_e32 v[30:31], 3, v[84:85]
	v_dual_mov_b32 v54, v84 :: v_dual_mov_b32 v55, v85
	s_mov_b32 s17, 0
                                        ; implicit-def: $sgpr16
                                        ; implicit-def: $sgpr19
                                        ; implicit-def: $sgpr18
	s_delay_alu instid0(VALU_DEP_2) | instskip(SKIP_1) | instid1(VALU_DEP_3)
	v_add_co_u32 v28, vcc_lo, v147, v30
	s_wait_alu 0xfffd
	v_add_co_ci_u32_e64 v29, null, v148, v31, vcc_lo
	v_add_co_u32 v66, vcc_lo, v5, v30
	s_wait_alu 0xfffd
	v_add_co_ci_u32_e64 v67, null, v6, v31, vcc_lo
	v_mov_b32_e32 v30, v84
	s_branch .LBB32_183
.LBB32_182:                             ;   in Loop: Header=BB32_183 Depth=3
	s_wait_alu 0xfffe
	s_or_b32 exec_lo, exec_lo, s20
	s_xor_b32 s4, s18, -1
	s_and_b32 s20, exec_lo, s19
	v_add_co_u32 v66, vcc_lo, v66, -8
	s_wait_alu 0xfffd
	v_add_co_ci_u32_e64 v67, null, -1, v67, vcc_lo
	s_wait_alu 0xfffe
	s_or_b32 s17, s20, s17
	s_and_not1_b32 s16, s16, exec_lo
	s_and_b32 s4, s4, exec_lo
	s_wait_alu 0xfffe
	s_or_b32 s16, s16, s4
	s_and_not1_b32 exec_lo, exec_lo, s17
	s_cbranch_execz .LBB32_185
.LBB32_183:                             ;   Parent Loop BB32_8 Depth=1
                                        ;     Parent Loop BB32_146 Depth=2
                                        ; =>    This Inner Loop Header: Depth=3
	flat_load_b128 v[99:102], v[28:29]
	flat_load_b64 v[85:86], v[66:67] offset:-8
	v_mov_b32_e32 v176, v30
	s_or_b32 s18, s18, exec_lo
	s_or_b32 s19, s19, exec_lo
	s_mov_b32 s20, exec_lo
                                        ; implicit-def: $vgpr30
	s_wait_loadcnt_dscnt 0x101
	v_mul_f64_e32 v[96:97], v[101:102], v[99:100]
	s_wait_loadcnt_dscnt 0x0
	v_mul_f64_e32 v[85:86], v[85:86], v[85:86]
	s_delay_alu instid0(VALU_DEP_2) | instskip(NEXT) | instid1(VALU_DEP_1)
	v_mul_f64_e64 v[96:97], v[36:37], |v[96:97]|
	v_cmpx_nle_f64_e64 |v[85:86]|, v[96:97]
	s_cbranch_execz .LBB32_182
; %bb.184:                              ;   in Loop: Header=BB32_183 Depth=3
	v_add_nc_u32_e32 v30, -1, v176
	v_add_co_u32 v28, s4, v28, -8
	s_wait_alu 0xf1ff
	v_add_co_ci_u32_e64 v29, null, -1, v29, s4
	s_delay_alu instid0(VALU_DEP_3)
	v_cmp_le_i32_e32 vcc_lo, v30, v51
	s_wait_alu 0xfffe
	s_and_not1_b32 s4, s19, exec_lo
	s_and_not1_b32 s18, s18, exec_lo
	s_and_b32 s19, vcc_lo, exec_lo
	s_wait_alu 0xfffe
	s_or_b32 s19, s4, s19
	s_branch .LBB32_182
.LBB32_185:                             ;   in Loop: Header=BB32_146 Depth=2
	s_or_b32 exec_lo, exec_lo, s17
	v_dual_mov_b32 v28, v51 :: v_dual_mov_b32 v29, v54
	v_mov_b32_e32 v30, v55
	s_and_not1_b32 s14, s14, exec_lo
	s_wait_alu 0xfffe
	s_and_b32 s16, s16, exec_lo
	s_mov_b32 s4, exec_lo
	s_wait_alu 0xfffe
	s_or_b32 s14, s14, s16
	s_or_b32 exec_lo, exec_lo, s15
                                        ; implicit-def: $vgpr132
	s_wait_alu 0xfffe
	s_and_saveexec_b32 s15, s14
	s_cbranch_execz .LBB32_152
.LBB32_186:                             ;   in Loop: Header=BB32_146 Depth=2
	s_wait_loadcnt 0x0
	s_clause 0x1
	global_load_b32 v132, v[21:22], off offset:4
	global_load_b32 v31, v[21:22], off offset:16
	s_and_not1_b32 s4, s4, exec_lo
	s_wait_loadcnt 0x1
	ds_store_b32 v132, v28
	s_wait_loadcnt 0x0
	ds_store_b32 v31, v84
	s_wait_alu 0xfffe
	s_or_b32 exec_lo, exec_lo, s15
	s_and_saveexec_b32 s14, s4
	s_cbranch_execnz .LBB32_153
	s_branch .LBB32_154
.LBB32_187:                             ;   in Loop: Header=BB32_146 Depth=2
	s_or_b32 exec_lo, exec_lo, s18
.LBB32_188:                             ;   in Loop: Header=BB32_146 Depth=2
	s_wait_alu 0xfffe
	s_or_b32 exec_lo, exec_lo, s17
	ds_load_b64 v[98:99], v133
.LBB32_189:                             ;   in Loop: Header=BB32_146 Depth=2
	s_wait_alu 0xfffe
	s_or_b32 exec_lo, exec_lo, s16
	flat_load_b64 v[28:29], v[85:86]
                                        ; implicit-def: $vgpr84
                                        ; implicit-def: $vgpr112_vgpr113
	s_wait_loadcnt_dscnt 0x0
	v_add_f64_e64 v[28:29], v[28:29], -v[98:99]
	flat_store_b64 v[85:86], v[28:29]
	flat_store_b64 v[30:31], v[96:97] offset:-8
                                        ; implicit-def: $vgpr85_vgpr86
                                        ; implicit-def: $vgpr96_vgpr97
                                        ; implicit-def: $vgpr28
.LBB32_190:                             ;   in Loop: Header=BB32_146 Depth=2
	s_wait_alu 0xfffe
	s_and_not1_saveexec_b32 s15, s15
	s_cbranch_execz .LBB32_229
; %bb.191:                              ;   in Loop: Header=BB32_146 Depth=2
	v_lshlrev_b64_e32 v[98:99], 3, v[28:29]
                                        ; implicit-def: $vgpr116_vgpr117
	s_delay_alu instid0(VALU_DEP_1) | instskip(SKIP_1) | instid1(VALU_DEP_2)
	v_add_co_u32 v28, vcc_lo, v23, v98
	s_wait_alu 0xfffd
	v_add_co_ci_u32_e64 v29, null, v4, v99, vcc_lo
	v_add_co_u32 v30, vcc_lo, v5, v98
	s_wait_alu 0xfffd
	v_add_co_ci_u32_e64 v31, null, v6, v99, vcc_lo
	flat_load_b64 v[28:29], v[28:29]
	flat_load_b64 v[114:115], v[30:31]
	s_wait_loadcnt_dscnt 0x101
	v_add_f64_e64 v[102:103], v[28:29], -v[112:113]
	s_wait_loadcnt_dscnt 0x0
	v_add_f64_e32 v[100:101], v[114:115], v[114:115]
	s_delay_alu instid0(VALU_DEP_1)
	v_cmp_ngt_f64_e64 s4, |v[102:103]|, |v[100:101]|
	s_and_saveexec_b32 s16, s4
	s_wait_alu 0xfffe
	s_xor_b32 s4, exec_lo, s16
	s_cbranch_execz .LBB32_197
; %bb.192:                              ;   in Loop: Header=BB32_146 Depth=2
	v_cmp_nlt_f64_e64 s16, |v[102:103]|, |v[100:101]|
                                        ; implicit-def: $vgpr116_vgpr117
	s_and_saveexec_b32 s17, s16
	s_wait_alu 0xfffe
	s_xor_b32 s16, exec_lo, s17
	s_cbranch_execz .LBB32_194
; %bb.193:                              ;   in Loop: Header=BB32_146 Depth=2
	v_mul_f64_e64 v[116:117], |v[100:101]|, s[8:9]
.LBB32_194:                             ;   in Loop: Header=BB32_146 Depth=2
	s_wait_alu 0xfffe
	s_and_not1_saveexec_b32 s16, s16
	s_cbranch_execz .LBB32_196
; %bb.195:                              ;   in Loop: Header=BB32_146 Depth=2
	v_dual_mov_b32 v30, v102 :: v_dual_and_b32 v31, 0x7fffffff, v103
	v_dual_mov_b32 v116, v100 :: v_dual_and_b32 v117, 0x7fffffff, v101
	s_delay_alu instid0(VALU_DEP_1) | instskip(SKIP_1) | instid1(VALU_DEP_2)
	v_div_scale_f64 v[118:119], null, v[116:117], v[116:117], v[30:31]
	v_div_scale_f64 v[30:31], vcc_lo, v[30:31], v[116:117], v[30:31]
	v_rcp_f64_e32 v[128:129], v[118:119]
	s_delay_alu instid0(TRANS32_DEP_1) | instskip(NEXT) | instid1(VALU_DEP_1)
	v_fma_f64 v[130:131], -v[118:119], v[128:129], 1.0
	v_fma_f64 v[128:129], v[128:129], v[130:131], v[128:129]
	s_delay_alu instid0(VALU_DEP_1) | instskip(NEXT) | instid1(VALU_DEP_1)
	v_fma_f64 v[130:131], -v[118:119], v[128:129], 1.0
	v_fma_f64 v[116:117], v[128:129], v[130:131], v[128:129]
	s_delay_alu instid0(VALU_DEP_1) | instskip(NEXT) | instid1(VALU_DEP_1)
	v_mul_f64_e32 v[128:129], v[30:31], v[116:117]
	v_fma_f64 v[30:31], -v[118:119], v[128:129], v[30:31]
	s_wait_alu 0xfffd
	s_delay_alu instid0(VALU_DEP_1) | instskip(NEXT) | instid1(VALU_DEP_1)
	v_div_fmas_f64 v[30:31], v[30:31], v[116:117], v[128:129]
	v_div_fixup_f64 v[30:31], v[30:31], |v[100:101]|, |v[102:103]|
	s_delay_alu instid0(VALU_DEP_1) | instskip(NEXT) | instid1(VALU_DEP_1)
	v_fma_f64 v[30:31], v[30:31], v[30:31], 1.0
	v_cmp_gt_f64_e32 vcc_lo, 0x10000000, v[30:31]
	s_wait_alu 0xfffd
	v_cndmask_b32_e64 v51, 0, 0x100, vcc_lo
	s_delay_alu instid0(VALU_DEP_1) | instskip(SKIP_1) | instid1(VALU_DEP_2)
	v_ldexp_f64 v[30:31], v[30:31], v51
	v_cndmask_b32_e64 v51, 0, 0xffffff80, vcc_lo
	v_rsq_f64_e32 v[116:117], v[30:31]
	v_cmp_class_f64_e64 vcc_lo, v[30:31], 0x260
	s_delay_alu instid0(TRANS32_DEP_1) | instskip(SKIP_1) | instid1(VALU_DEP_1)
	v_mul_f64_e32 v[118:119], v[30:31], v[116:117]
	v_mul_f64_e32 v[116:117], 0.5, v[116:117]
	v_fma_f64 v[128:129], -v[116:117], v[118:119], 0.5
	s_delay_alu instid0(VALU_DEP_1) | instskip(SKIP_1) | instid1(VALU_DEP_2)
	v_fma_f64 v[118:119], v[118:119], v[128:129], v[118:119]
	v_fma_f64 v[116:117], v[116:117], v[128:129], v[116:117]
	v_fma_f64 v[128:129], -v[118:119], v[118:119], v[30:31]
	s_delay_alu instid0(VALU_DEP_1) | instskip(NEXT) | instid1(VALU_DEP_1)
	v_fma_f64 v[118:119], v[128:129], v[116:117], v[118:119]
	v_fma_f64 v[128:129], -v[118:119], v[118:119], v[30:31]
	s_delay_alu instid0(VALU_DEP_1) | instskip(NEXT) | instid1(VALU_DEP_1)
	v_fma_f64 v[116:117], v[128:129], v[116:117], v[118:119]
	v_ldexp_f64 v[116:117], v[116:117], v51
	s_wait_alu 0xfffd
	s_delay_alu instid0(VALU_DEP_1) | instskip(NEXT) | instid1(VALU_DEP_1)
	v_dual_cndmask_b32 v31, v117, v31 :: v_dual_cndmask_b32 v30, v116, v30
	v_mul_f64_e64 v[116:117], |v[100:101]|, v[30:31]
.LBB32_196:                             ;   in Loop: Header=BB32_146 Depth=2
	s_wait_alu 0xfffe
	s_or_b32 exec_lo, exec_lo, s16
.LBB32_197:                             ;   in Loop: Header=BB32_146 Depth=2
	s_wait_alu 0xfffe
	s_and_not1_saveexec_b32 s4, s4
	s_cbranch_execz .LBB32_199
; %bb.198:                              ;   in Loop: Header=BB32_146 Depth=2
	v_dual_mov_b32 v30, v100 :: v_dual_and_b32 v31, 0x7fffffff, v101
	v_dual_mov_b32 v116, v102 :: v_dual_and_b32 v117, 0x7fffffff, v103
	s_delay_alu instid0(VALU_DEP_1) | instskip(SKIP_1) | instid1(VALU_DEP_2)
	v_div_scale_f64 v[118:119], null, v[116:117], v[116:117], v[30:31]
	v_div_scale_f64 v[30:31], vcc_lo, v[30:31], v[116:117], v[30:31]
	v_rcp_f64_e32 v[128:129], v[118:119]
	s_delay_alu instid0(TRANS32_DEP_1) | instskip(NEXT) | instid1(VALU_DEP_1)
	v_fma_f64 v[130:131], -v[118:119], v[128:129], 1.0
	v_fma_f64 v[128:129], v[128:129], v[130:131], v[128:129]
	s_delay_alu instid0(VALU_DEP_1) | instskip(NEXT) | instid1(VALU_DEP_1)
	v_fma_f64 v[130:131], -v[118:119], v[128:129], 1.0
	v_fma_f64 v[116:117], v[128:129], v[130:131], v[128:129]
	s_delay_alu instid0(VALU_DEP_1) | instskip(NEXT) | instid1(VALU_DEP_1)
	v_mul_f64_e32 v[128:129], v[30:31], v[116:117]
	v_fma_f64 v[30:31], -v[118:119], v[128:129], v[30:31]
	s_wait_alu 0xfffd
	s_delay_alu instid0(VALU_DEP_1) | instskip(NEXT) | instid1(VALU_DEP_1)
	v_div_fmas_f64 v[30:31], v[30:31], v[116:117], v[128:129]
	v_div_fixup_f64 v[30:31], v[30:31], |v[102:103]|, |v[100:101]|
	s_delay_alu instid0(VALU_DEP_1) | instskip(NEXT) | instid1(VALU_DEP_1)
	v_fma_f64 v[30:31], v[30:31], v[30:31], 1.0
	v_cmp_gt_f64_e32 vcc_lo, 0x10000000, v[30:31]
	s_wait_alu 0xfffd
	v_cndmask_b32_e64 v51, 0, 0x100, vcc_lo
	s_delay_alu instid0(VALU_DEP_1) | instskip(SKIP_1) | instid1(VALU_DEP_2)
	v_ldexp_f64 v[30:31], v[30:31], v51
	v_cndmask_b32_e64 v51, 0, 0xffffff80, vcc_lo
	v_rsq_f64_e32 v[116:117], v[30:31]
	v_cmp_class_f64_e64 vcc_lo, v[30:31], 0x260
	s_delay_alu instid0(TRANS32_DEP_1) | instskip(SKIP_1) | instid1(VALU_DEP_1)
	v_mul_f64_e32 v[118:119], v[30:31], v[116:117]
	v_mul_f64_e32 v[116:117], 0.5, v[116:117]
	v_fma_f64 v[128:129], -v[116:117], v[118:119], 0.5
	s_delay_alu instid0(VALU_DEP_1) | instskip(SKIP_1) | instid1(VALU_DEP_2)
	v_fma_f64 v[118:119], v[118:119], v[128:129], v[118:119]
	v_fma_f64 v[116:117], v[116:117], v[128:129], v[116:117]
	v_fma_f64 v[128:129], -v[118:119], v[118:119], v[30:31]
	s_delay_alu instid0(VALU_DEP_1) | instskip(NEXT) | instid1(VALU_DEP_1)
	v_fma_f64 v[118:119], v[128:129], v[116:117], v[118:119]
	v_fma_f64 v[128:129], -v[118:119], v[118:119], v[30:31]
	s_delay_alu instid0(VALU_DEP_1) | instskip(NEXT) | instid1(VALU_DEP_1)
	v_fma_f64 v[116:117], v[128:129], v[116:117], v[118:119]
	v_ldexp_f64 v[116:117], v[116:117], v51
	s_wait_alu 0xfffd
	s_delay_alu instid0(VALU_DEP_1) | instskip(NEXT) | instid1(VALU_DEP_1)
	v_dual_cndmask_b32 v31, v117, v31 :: v_dual_cndmask_b32 v30, v116, v30
	v_mul_f64_e64 v[116:117], |v[102:103]|, v[30:31]
.LBB32_199:                             ;   in Loop: Header=BB32_146 Depth=2
	s_wait_alu 0xfffe
	s_or_b32 exec_lo, exec_lo, s4
	v_cmp_gt_f64_e64 vcc_lo, |v[28:29]|, |v[112:113]|
	v_add_f64_e32 v[128:129], v[28:29], v[112:113]
	s_mov_b32 s16, exec_lo
	s_wait_alu 0xfffd
	v_dual_cndmask_b32 v119, v29, v113 :: v_dual_cndmask_b32 v118, v28, v112
	v_dual_cndmask_b32 v113, v113, v29 :: v_dual_cndmask_b32 v112, v112, v28
                                        ; implicit-def: $vgpr30_vgpr31
	s_delay_alu instid0(VALU_DEP_3)
	v_cmpx_ngt_f64_e32 0, v[128:129]
	s_wait_alu 0xfffe
	s_xor_b32 s16, exec_lo, s16
	s_cbranch_execz .LBB32_205
; %bb.200:                              ;   in Loop: Header=BB32_146 Depth=2
	s_mov_b32 s4, exec_lo
                                        ; implicit-def: $vgpr30_vgpr31
	v_cmpx_nlt_f64_e32 0, v[128:129]
	s_wait_alu 0xfffe
	s_xor_b32 s4, exec_lo, s4
	s_cbranch_execz .LBB32_202
; %bb.201:                              ;   in Loop: Header=BB32_146 Depth=2
	v_mul_f64_e32 v[28:29], 0.5, v[116:117]
	v_mul_f64_e32 v[30:31], -0.5, v[116:117]
                                        ; implicit-def: $vgpr128_vgpr129
                                        ; implicit-def: $vgpr112_vgpr113
                                        ; implicit-def: $vgpr114_vgpr115
                                        ; implicit-def: $vgpr118_vgpr119
.LBB32_202:                             ;   in Loop: Header=BB32_146 Depth=2
	s_wait_alu 0xfffe
	s_and_not1_saveexec_b32 s17, s4
	s_cbranch_execz .LBB32_204
; %bb.203:                              ;   in Loop: Header=BB32_146 Depth=2
	v_add_f64_e32 v[28:29], v[128:129], v[116:117]
	s_delay_alu instid0(VALU_DEP_1) | instskip(NEXT) | instid1(VALU_DEP_1)
	v_mul_f64_e32 v[28:29], 0.5, v[28:29]
	v_div_scale_f64 v[30:31], null, v[28:29], v[28:29], v[112:113]
	v_div_scale_f64 v[128:129], null, v[28:29], v[28:29], v[114:115]
	v_div_scale_f64 v[40:41], vcc_lo, v[112:113], v[28:29], v[112:113]
	s_delay_alu instid0(VALU_DEP_3) | instskip(NEXT) | instid1(VALU_DEP_2)
	v_rcp_f64_e32 v[130:131], v[30:31]
	v_rcp_f64_e32 v[178:179], v[128:129]
	s_delay_alu instid0(TRANS32_DEP_2) | instskip(NEXT) | instid1(TRANS32_DEP_1)
	v_fma_f64 v[180:181], -v[30:31], v[130:131], 1.0
	v_fma_f64 v[182:183], -v[128:129], v[178:179], 1.0
	s_delay_alu instid0(VALU_DEP_2) | instskip(NEXT) | instid1(VALU_DEP_2)
	v_fma_f64 v[130:131], v[130:131], v[180:181], v[130:131]
	v_fma_f64 v[178:179], v[178:179], v[182:183], v[178:179]
	s_delay_alu instid0(VALU_DEP_2) | instskip(NEXT) | instid1(VALU_DEP_2)
	v_fma_f64 v[180:181], -v[30:31], v[130:131], 1.0
	v_fma_f64 v[182:183], -v[128:129], v[178:179], 1.0
	s_delay_alu instid0(VALU_DEP_2) | instskip(SKIP_1) | instid1(VALU_DEP_3)
	v_fma_f64 v[130:131], v[130:131], v[180:181], v[130:131]
	v_div_scale_f64 v[180:181], s4, v[114:115], v[28:29], v[114:115]
	v_fma_f64 v[178:179], v[178:179], v[182:183], v[178:179]
	s_delay_alu instid0(VALU_DEP_3) | instskip(NEXT) | instid1(VALU_DEP_2)
	v_mul_f64_e32 v[182:183], v[40:41], v[130:131]
	v_mul_f64_e32 v[42:43], v[180:181], v[178:179]
	s_delay_alu instid0(VALU_DEP_2) | instskip(NEXT) | instid1(VALU_DEP_2)
	v_fma_f64 v[30:31], -v[30:31], v[182:183], v[40:41]
	v_fma_f64 v[128:129], -v[128:129], v[42:43], v[180:181]
	s_wait_alu 0xfffd
	s_delay_alu instid0(VALU_DEP_2) | instskip(SKIP_2) | instid1(VALU_DEP_2)
	v_div_fmas_f64 v[30:31], v[30:31], v[130:131], v[182:183]
	s_mov_b32 vcc_lo, s4
	s_wait_alu 0xfffe
	v_div_fmas_f64 v[128:129], v[128:129], v[178:179], v[42:43]
	s_delay_alu instid0(VALU_DEP_2) | instskip(NEXT) | instid1(VALU_DEP_2)
	v_div_fixup_f64 v[30:31], v[30:31], v[28:29], v[112:113]
	v_div_fixup_f64 v[128:129], v[128:129], v[28:29], v[114:115]
	s_delay_alu instid0(VALU_DEP_1) | instskip(NEXT) | instid1(VALU_DEP_1)
	v_mul_f64_e32 v[112:113], v[114:115], v[128:129]
	v_fma_f64 v[30:31], v[118:119], v[30:31], -v[112:113]
.LBB32_204:                             ;   in Loop: Header=BB32_146 Depth=2
	s_wait_alu 0xfffe
	s_or_b32 exec_lo, exec_lo, s17
                                        ; implicit-def: $vgpr128_vgpr129
                                        ; implicit-def: $vgpr112_vgpr113
                                        ; implicit-def: $vgpr114_vgpr115
                                        ; implicit-def: $vgpr118_vgpr119
.LBB32_205:                             ;   in Loop: Header=BB32_146 Depth=2
	s_wait_alu 0xfffe
	s_or_saveexec_b32 s16, s16
	v_mov_b32_e32 v51, 1
	s_wait_alu 0xfffe
	s_xor_b32 exec_lo, exec_lo, s16
	s_cbranch_execz .LBB32_207
; %bb.206:                              ;   in Loop: Header=BB32_146 Depth=2
	v_add_f64_e64 v[28:29], v[128:129], -v[116:117]
	v_mov_b32_e32 v51, -1
	s_delay_alu instid0(VALU_DEP_2) | instskip(NEXT) | instid1(VALU_DEP_1)
	v_mul_f64_e32 v[28:29], 0.5, v[28:29]
	v_div_scale_f64 v[30:31], null, v[28:29], v[28:29], v[112:113]
	v_div_scale_f64 v[128:129], null, v[28:29], v[28:29], v[114:115]
	v_div_scale_f64 v[40:41], vcc_lo, v[112:113], v[28:29], v[112:113]
	s_delay_alu instid0(VALU_DEP_3) | instskip(NEXT) | instid1(VALU_DEP_2)
	v_rcp_f64_e32 v[130:131], v[30:31]
	v_rcp_f64_e32 v[178:179], v[128:129]
	s_delay_alu instid0(TRANS32_DEP_2) | instskip(NEXT) | instid1(TRANS32_DEP_1)
	v_fma_f64 v[180:181], -v[30:31], v[130:131], 1.0
	v_fma_f64 v[182:183], -v[128:129], v[178:179], 1.0
	s_delay_alu instid0(VALU_DEP_2) | instskip(NEXT) | instid1(VALU_DEP_2)
	v_fma_f64 v[130:131], v[130:131], v[180:181], v[130:131]
	v_fma_f64 v[178:179], v[178:179], v[182:183], v[178:179]
	s_delay_alu instid0(VALU_DEP_2) | instskip(NEXT) | instid1(VALU_DEP_2)
	v_fma_f64 v[180:181], -v[30:31], v[130:131], 1.0
	v_fma_f64 v[182:183], -v[128:129], v[178:179], 1.0
	s_delay_alu instid0(VALU_DEP_2) | instskip(SKIP_1) | instid1(VALU_DEP_3)
	v_fma_f64 v[130:131], v[130:131], v[180:181], v[130:131]
	v_div_scale_f64 v[180:181], s4, v[114:115], v[28:29], v[114:115]
	v_fma_f64 v[178:179], v[178:179], v[182:183], v[178:179]
	s_delay_alu instid0(VALU_DEP_3) | instskip(NEXT) | instid1(VALU_DEP_2)
	v_mul_f64_e32 v[182:183], v[40:41], v[130:131]
	v_mul_f64_e32 v[42:43], v[180:181], v[178:179]
	s_delay_alu instid0(VALU_DEP_2) | instskip(NEXT) | instid1(VALU_DEP_2)
	v_fma_f64 v[30:31], -v[30:31], v[182:183], v[40:41]
	v_fma_f64 v[128:129], -v[128:129], v[42:43], v[180:181]
	s_wait_alu 0xfffd
	s_delay_alu instid0(VALU_DEP_2) | instskip(SKIP_2) | instid1(VALU_DEP_2)
	v_div_fmas_f64 v[30:31], v[30:31], v[130:131], v[182:183]
	s_mov_b32 vcc_lo, s4
	s_wait_alu 0xfffe
	v_div_fmas_f64 v[128:129], v[128:129], v[178:179], v[42:43]
	s_delay_alu instid0(VALU_DEP_2) | instskip(NEXT) | instid1(VALU_DEP_2)
	v_div_fixup_f64 v[30:31], v[30:31], v[28:29], v[112:113]
	v_div_fixup_f64 v[128:129], v[128:129], v[28:29], v[114:115]
	s_delay_alu instid0(VALU_DEP_1) | instskip(NEXT) | instid1(VALU_DEP_1)
	v_mul_f64_e32 v[112:113], v[114:115], v[128:129]
	v_fma_f64 v[30:31], v[118:119], v[30:31], -v[112:113]
.LBB32_207:                             ;   in Loop: Header=BB32_146 Depth=2
	s_or_b32 exec_lo, exec_lo, s16
	s_delay_alu instid0(SALU_CYCLE_1)
	s_mov_b32 s4, exec_lo
                                        ; implicit-def: $vgpr112_vgpr113
	v_cmpx_le_f64_e32 0, v[102:103]
	s_wait_alu 0xfffe
	s_xor_b32 s4, exec_lo, s4
	s_cbranch_execz .LBB32_209
; %bb.208:                              ;   in Loop: Header=BB32_146 Depth=2
	v_add_f64_e32 v[112:113], v[102:103], v[116:117]
                                        ; implicit-def: $vgpr116_vgpr117
                                        ; implicit-def: $vgpr102_vgpr103
.LBB32_209:                             ;   in Loop: Header=BB32_146 Depth=2
	s_wait_alu 0xfffe
	s_or_saveexec_b32 s4, s4
	v_mov_b32_e32 v118, 1
	s_wait_alu 0xfffe
	s_xor_b32 exec_lo, exec_lo, s4
	s_cbranch_execz .LBB32_211
; %bb.210:                              ;   in Loop: Header=BB32_146 Depth=2
	v_add_f64_e64 v[112:113], v[102:103], -v[116:117]
	v_mov_b32_e32 v118, -1
.LBB32_211:                             ;   in Loop: Header=BB32_146 Depth=2
	s_or_b32 exec_lo, exec_lo, s4
	s_delay_alu instid0(VALU_DEP_2)
	v_cmp_ngt_f64_e64 s4, |v[112:113]|, |v[100:101]|
                                        ; implicit-def: $vgpr102_vgpr103
                                        ; implicit-def: $vgpr114_vgpr115
	s_and_saveexec_b32 s16, s4
	s_wait_alu 0xfffe
	s_xor_b32 s4, exec_lo, s16
	s_cbranch_execz .LBB32_215
; %bb.212:                              ;   in Loop: Header=BB32_146 Depth=2
	v_mov_b32_e32 v102, 0
	v_dual_mov_b32 v103, 0 :: v_dual_mov_b32 v114, 0
	v_mov_b32_e32 v115, 0x3ff00000
	s_mov_b32 s16, exec_lo
	v_cmpx_neq_f64_e32 0, v[100:101]
	s_cbranch_execz .LBB32_214
; %bb.213:                              ;   in Loop: Header=BB32_146 Depth=2
	v_div_scale_f64 v[102:103], null, v[100:101], v[100:101], -v[112:113]
	v_div_scale_f64 v[128:129], vcc_lo, -v[112:113], v[100:101], -v[112:113]
	s_delay_alu instid0(VALU_DEP_2) | instskip(NEXT) | instid1(TRANS32_DEP_1)
	v_rcp_f64_e32 v[114:115], v[102:103]
	v_fma_f64 v[116:117], -v[102:103], v[114:115], 1.0
	s_delay_alu instid0(VALU_DEP_1) | instskip(NEXT) | instid1(VALU_DEP_1)
	v_fma_f64 v[114:115], v[114:115], v[116:117], v[114:115]
	v_fma_f64 v[116:117], -v[102:103], v[114:115], 1.0
	s_delay_alu instid0(VALU_DEP_1) | instskip(NEXT) | instid1(VALU_DEP_1)
	v_fma_f64 v[114:115], v[114:115], v[116:117], v[114:115]
	v_mul_f64_e32 v[116:117], v[128:129], v[114:115]
	s_delay_alu instid0(VALU_DEP_1) | instskip(SKIP_1) | instid1(VALU_DEP_1)
	v_fma_f64 v[102:103], -v[102:103], v[116:117], v[128:129]
	s_wait_alu 0xfffd
	v_div_fmas_f64 v[102:103], v[102:103], v[114:115], v[116:117]
	s_delay_alu instid0(VALU_DEP_1) | instskip(NEXT) | instid1(VALU_DEP_1)
	v_div_fixup_f64 v[100:101], v[102:103], v[100:101], -v[112:113]
	v_fma_f64 v[102:103], v[100:101], v[100:101], 1.0
	s_delay_alu instid0(VALU_DEP_1) | instskip(SKIP_2) | instid1(VALU_DEP_1)
	v_cmp_gt_f64_e32 vcc_lo, 0x10000000, v[102:103]
	s_wait_alu 0xfffd
	v_cndmask_b32_e64 v112, 0, 0x100, vcc_lo
	v_ldexp_f64 v[102:103], v[102:103], v112
	s_delay_alu instid0(VALU_DEP_1) | instskip(NEXT) | instid1(TRANS32_DEP_1)
	v_rsq_f64_e32 v[112:113], v[102:103]
	v_mul_f64_e32 v[114:115], v[102:103], v[112:113]
	v_mul_f64_e32 v[112:113], 0.5, v[112:113]
	s_delay_alu instid0(VALU_DEP_1) | instskip(NEXT) | instid1(VALU_DEP_1)
	v_fma_f64 v[116:117], -v[112:113], v[114:115], 0.5
	v_fma_f64 v[114:115], v[114:115], v[116:117], v[114:115]
	v_fma_f64 v[112:113], v[112:113], v[116:117], v[112:113]
	s_delay_alu instid0(VALU_DEP_2) | instskip(NEXT) | instid1(VALU_DEP_1)
	v_fma_f64 v[116:117], -v[114:115], v[114:115], v[102:103]
	v_fma_f64 v[114:115], v[116:117], v[112:113], v[114:115]
	s_delay_alu instid0(VALU_DEP_1) | instskip(NEXT) | instid1(VALU_DEP_1)
	v_fma_f64 v[116:117], -v[114:115], v[114:115], v[102:103]
	v_fma_f64 v[112:113], v[116:117], v[112:113], v[114:115]
	v_cndmask_b32_e64 v114, 0, 0xffffff80, vcc_lo
	v_cmp_class_f64_e64 vcc_lo, v[102:103], 0x260
	s_delay_alu instid0(VALU_DEP_2) | instskip(SKIP_1) | instid1(VALU_DEP_1)
	v_ldexp_f64 v[112:113], v[112:113], v114
	s_wait_alu 0xfffd
	v_dual_cndmask_b32 v103, v113, v103 :: v_dual_cndmask_b32 v102, v112, v102
	s_delay_alu instid0(VALU_DEP_1) | instskip(NEXT) | instid1(VALU_DEP_1)
	v_div_scale_f64 v[112:113], null, v[102:103], v[102:103], 1.0
	v_rcp_f64_e32 v[114:115], v[112:113]
	s_delay_alu instid0(TRANS32_DEP_1) | instskip(NEXT) | instid1(VALU_DEP_1)
	v_fma_f64 v[116:117], -v[112:113], v[114:115], 1.0
	v_fma_f64 v[114:115], v[114:115], v[116:117], v[114:115]
	s_delay_alu instid0(VALU_DEP_1) | instskip(NEXT) | instid1(VALU_DEP_1)
	v_fma_f64 v[116:117], -v[112:113], v[114:115], 1.0
	v_fma_f64 v[114:115], v[114:115], v[116:117], v[114:115]
	v_div_scale_f64 v[116:117], vcc_lo, 1.0, v[102:103], 1.0
	s_delay_alu instid0(VALU_DEP_1) | instskip(NEXT) | instid1(VALU_DEP_1)
	v_mul_f64_e32 v[128:129], v[116:117], v[114:115]
	v_fma_f64 v[112:113], -v[112:113], v[128:129], v[116:117]
	s_wait_alu 0xfffd
	s_delay_alu instid0(VALU_DEP_1) | instskip(NEXT) | instid1(VALU_DEP_1)
	v_div_fmas_f64 v[112:113], v[112:113], v[114:115], v[128:129]
	v_div_fixup_f64 v[114:115], v[112:113], v[102:103], 1.0
	s_delay_alu instid0(VALU_DEP_1)
	v_mul_f64_e32 v[102:103], v[100:101], v[114:115]
.LBB32_214:                             ;   in Loop: Header=BB32_146 Depth=2
	s_wait_alu 0xfffe
	s_or_b32 exec_lo, exec_lo, s16
                                        ; implicit-def: $vgpr112_vgpr113
                                        ; implicit-def: $vgpr100_vgpr101
.LBB32_215:                             ;   in Loop: Header=BB32_146 Depth=2
	s_wait_alu 0xfffe
	s_and_not1_saveexec_b32 s4, s4
	s_cbranch_execz .LBB32_217
; %bb.216:                              ;   in Loop: Header=BB32_146 Depth=2
	v_div_scale_f64 v[102:103], null, v[112:113], v[112:113], -v[100:101]
	v_div_scale_f64 v[128:129], vcc_lo, -v[100:101], v[112:113], -v[100:101]
	s_delay_alu instid0(VALU_DEP_2) | instskip(NEXT) | instid1(TRANS32_DEP_1)
	v_rcp_f64_e32 v[114:115], v[102:103]
	v_fma_f64 v[116:117], -v[102:103], v[114:115], 1.0
	s_delay_alu instid0(VALU_DEP_1) | instskip(NEXT) | instid1(VALU_DEP_1)
	v_fma_f64 v[114:115], v[114:115], v[116:117], v[114:115]
	v_fma_f64 v[116:117], -v[102:103], v[114:115], 1.0
	s_delay_alu instid0(VALU_DEP_1) | instskip(NEXT) | instid1(VALU_DEP_1)
	v_fma_f64 v[114:115], v[114:115], v[116:117], v[114:115]
	v_mul_f64_e32 v[116:117], v[128:129], v[114:115]
	s_delay_alu instid0(VALU_DEP_1) | instskip(SKIP_1) | instid1(VALU_DEP_1)
	v_fma_f64 v[102:103], -v[102:103], v[116:117], v[128:129]
	s_wait_alu 0xfffd
	v_div_fmas_f64 v[102:103], v[102:103], v[114:115], v[116:117]
	s_delay_alu instid0(VALU_DEP_1) | instskip(NEXT) | instid1(VALU_DEP_1)
	v_div_fixup_f64 v[100:101], v[102:103], v[112:113], -v[100:101]
	v_fma_f64 v[102:103], v[100:101], v[100:101], 1.0
	s_delay_alu instid0(VALU_DEP_1) | instskip(SKIP_2) | instid1(VALU_DEP_1)
	v_cmp_gt_f64_e32 vcc_lo, 0x10000000, v[102:103]
	s_wait_alu 0xfffd
	v_cndmask_b32_e64 v112, 0, 0x100, vcc_lo
	v_ldexp_f64 v[102:103], v[102:103], v112
	s_delay_alu instid0(VALU_DEP_1) | instskip(NEXT) | instid1(TRANS32_DEP_1)
	v_rsq_f64_e32 v[112:113], v[102:103]
	v_mul_f64_e32 v[114:115], v[102:103], v[112:113]
	v_mul_f64_e32 v[112:113], 0.5, v[112:113]
	s_delay_alu instid0(VALU_DEP_1) | instskip(NEXT) | instid1(VALU_DEP_1)
	v_fma_f64 v[116:117], -v[112:113], v[114:115], 0.5
	v_fma_f64 v[114:115], v[114:115], v[116:117], v[114:115]
	v_fma_f64 v[112:113], v[112:113], v[116:117], v[112:113]
	s_delay_alu instid0(VALU_DEP_2) | instskip(NEXT) | instid1(VALU_DEP_1)
	v_fma_f64 v[116:117], -v[114:115], v[114:115], v[102:103]
	v_fma_f64 v[114:115], v[116:117], v[112:113], v[114:115]
	s_delay_alu instid0(VALU_DEP_1) | instskip(NEXT) | instid1(VALU_DEP_1)
	v_fma_f64 v[116:117], -v[114:115], v[114:115], v[102:103]
	v_fma_f64 v[112:113], v[116:117], v[112:113], v[114:115]
	v_cndmask_b32_e64 v114, 0, 0xffffff80, vcc_lo
	v_cmp_class_f64_e64 vcc_lo, v[102:103], 0x260
	s_delay_alu instid0(VALU_DEP_2) | instskip(SKIP_1) | instid1(VALU_DEP_1)
	v_ldexp_f64 v[112:113], v[112:113], v114
	s_wait_alu 0xfffd
	v_dual_cndmask_b32 v103, v113, v103 :: v_dual_cndmask_b32 v102, v112, v102
	s_delay_alu instid0(VALU_DEP_1) | instskip(NEXT) | instid1(VALU_DEP_1)
	v_div_scale_f64 v[112:113], null, v[102:103], v[102:103], 1.0
	v_rcp_f64_e32 v[114:115], v[112:113]
	s_delay_alu instid0(TRANS32_DEP_1) | instskip(NEXT) | instid1(VALU_DEP_1)
	v_fma_f64 v[116:117], -v[112:113], v[114:115], 1.0
	v_fma_f64 v[114:115], v[114:115], v[116:117], v[114:115]
	s_delay_alu instid0(VALU_DEP_1) | instskip(NEXT) | instid1(VALU_DEP_1)
	v_fma_f64 v[116:117], -v[112:113], v[114:115], 1.0
	v_fma_f64 v[114:115], v[114:115], v[116:117], v[114:115]
	v_div_scale_f64 v[116:117], vcc_lo, 1.0, v[102:103], 1.0
	s_delay_alu instid0(VALU_DEP_1) | instskip(NEXT) | instid1(VALU_DEP_1)
	v_mul_f64_e32 v[128:129], v[116:117], v[114:115]
	v_fma_f64 v[112:113], -v[112:113], v[128:129], v[116:117]
	s_wait_alu 0xfffd
	s_delay_alu instid0(VALU_DEP_1) | instskip(NEXT) | instid1(VALU_DEP_1)
	v_div_fmas_f64 v[112:113], v[112:113], v[114:115], v[128:129]
	v_div_fixup_f64 v[102:103], v[112:113], v[102:103], 1.0
	s_delay_alu instid0(VALU_DEP_1)
	v_mul_f64_e32 v[114:115], v[100:101], v[102:103]
.LBB32_217:                             ;   in Loop: Header=BB32_146 Depth=2
	s_wait_alu 0xfffe
	s_or_b32 exec_lo, exec_lo, s4
	s_delay_alu instid0(VALU_DEP_1) | instskip(SKIP_3) | instid1(VALU_DEP_3)
	v_xor_b32_e32 v100, 0x80000000, v103
	v_cmp_eq_u32_e32 vcc_lo, v51, v118
	v_dual_mov_b32 v51, v50 :: v_dual_add_nc_u32 v84, -2, v84
	s_wait_alu 0xfffd
	v_dual_cndmask_b32 v101, v115, v100 :: v_dual_cndmask_b32 v100, v114, v102
	v_dual_cndmask_b32 v103, v103, v115 :: v_dual_cndmask_b32 v102, v102, v114
	v_add_co_u32 v112, vcc_lo, v12, v98
	s_wait_alu 0xfffd
	v_add_co_ci_u32_e64 v113, null, v13, v99, vcc_lo
	v_add_co_u32 v98, vcc_lo, v3, v98
	s_wait_alu 0xfffd
	v_add_co_ci_u32_e64 v99, null, v11, v99, vcc_lo
	;; [unrolled: 3-line block ×3, first 2 shown]
	s_clause 0x1
	flat_store_b64 v[112:113], v[100:101]
	flat_store_b64 v[98:99], v[102:103] offset:-8
	flat_store_b128 v[85:86], v[28:31] offset:-8
	flat_store_b64 v[96:97], v[50:51] offset:-8
	ds_store_b32 v33, v84
	s_or_b32 exec_lo, exec_lo, s15
                                        ; implicit-def: $vgpr85_vgpr86
                                        ; implicit-def: $vgpr112_vgpr113
                                        ; implicit-def: $vgpr29
.LBB32_218:                             ;   in Loop: Header=BB32_146 Depth=2
	s_wait_alu 0xfffe
	s_and_not1_saveexec_b32 s4, s14
	s_cbranch_execz .LBB32_220
.LBB32_219:                             ;   in Loop: Header=BB32_146 Depth=2
	flat_store_b64 v[85:86], v[112:113]
	ds_store_b32 v33, v29
.LBB32_220:                             ;   in Loop: Header=BB32_146 Depth=2
	s_wait_alu 0xfffe
	s_or_b32 exec_lo, exec_lo, s4
.LBB32_221:                             ;   in Loop: Header=BB32_146 Depth=2
	s_wait_alu 0xfffe
	s_or_b32 exec_lo, exec_lo, s5
	s_wait_storecnt 0x0
	s_wait_loadcnt_dscnt 0x0
	s_barrier_signal -1
	s_barrier_wait -1
	global_inv scope:SCOPE_SE
	ds_load_b32 v84, v132
	ds_load_b32 v28, v33
	s_mov_b32 s14, exec_lo
	s_wait_dscnt 0x0
	v_cmpx_ne_u32_e64 v84, v28
	s_cbranch_execz .LBB32_145
; %bb.222:                              ;   in Loop: Header=BB32_146 Depth=2
	s_and_saveexec_b32 s15, s3
	s_cbranch_execz .LBB32_144
; %bb.223:                              ;   in Loop: Header=BB32_146 Depth=2
	global_load_b32 v28, v[21:22], off offset:16
	v_ashrrev_i32_e32 v85, 31, v84
	s_mov_b32 s16, 0
	s_wait_loadcnt 0x0
	ds_load_b32 v30, v28
	v_mul_lo_u32 v28, v84, v9
	s_delay_alu instid0(VALU_DEP_1) | instskip(SKIP_3) | instid1(VALU_DEP_3)
	v_ashrrev_i32_e32 v29, 31, v28
	s_wait_dscnt 0x0
	v_sub_nc_u32_e32 v51, v30, v84
	v_lshlrev_b64_e32 v[30:31], 3, v[84:85]
	v_lshlrev_b64_e32 v[84:85], 3, v[28:29]
	s_delay_alu instid0(VALU_DEP_3) | instskip(NEXT) | instid1(VALU_DEP_3)
	v_mad_co_i64_i32 v[96:97], null, v51, v9, 0
	v_add_co_u32 v28, vcc_lo, v12, v30
	s_wait_alu 0xfffd
	s_delay_alu instid0(VALU_DEP_4) | instskip(NEXT) | instid1(VALU_DEP_4)
	v_add_co_ci_u32_e64 v29, null, v13, v31, vcc_lo
	v_add_co_u32 v102, vcc_lo, v7, v84
	s_delay_alu instid0(VALU_DEP_4)
	v_lshlrev_b64_e32 v[96:97], 3, v[96:97]
	s_wait_alu 0xfffd
	v_add_co_ci_u32_e64 v103, null, v8, v85, vcc_lo
	v_add_co_u32 v30, vcc_lo, v163, v84
	s_wait_alu 0xfffd
	v_add_co_ci_u32_e64 v31, null, v164, v85, vcc_lo
	v_add_co_u32 v112, s4, v102, v96
	s_wait_alu 0xf1ff
	v_add_co_ci_u32_e64 v113, null, v103, v97, s4
	v_mov_b32_e32 v84, v0
	v_cmp_lt_i32_e32 vcc_lo, 0, v51
	s_branch .LBB32_225
.LBB32_224:                             ;   in Loop: Header=BB32_225 Depth=3
	s_wait_alu 0xfffe
	s_or_b32 exec_lo, exec_lo, s17
	v_add_nc_u32_e32 v84, v84, v26
	v_add_co_u32 v96, s4, v112, v96
	s_wait_alu 0xf1ff
	v_add_co_ci_u32_e64 v97, null, v113, v97, s4
	s_delay_alu instid0(VALU_DEP_3)
	v_cmp_ge_i32_e64 s4, v84, v2
	v_add_co_u32 v30, s5, v30, v38
	s_wait_alu 0xf1ff
	v_add_co_ci_u32_e64 v31, null, v31, v39, s5
	s_or_b32 s16, s4, s16
	s_wait_loadcnt_dscnt 0x0
	flat_store_b64 v[96:97], v[85:86]
	s_wait_alu 0xfffe
	s_and_not1_b32 exec_lo, exec_lo, s16
	s_cbranch_execz .LBB32_144
.LBB32_225:                             ;   Parent Loop BB32_8 Depth=1
                                        ;     Parent Loop BB32_146 Depth=2
                                        ; =>    This Loop Header: Depth=3
                                        ;         Child Loop BB32_227 Depth 4
	s_delay_alu instid0(VALU_DEP_2) | instskip(NEXT) | instid1(VALU_DEP_1)
	v_ashrrev_i32_e32 v85, 31, v84
	v_lshlrev_b64_e32 v[96:97], 3, v[84:85]
	s_delay_alu instid0(VALU_DEP_1) | instskip(SKIP_1) | instid1(VALU_DEP_2)
	v_add_co_u32 v85, s4, v102, v96
	s_wait_alu 0xf1ff
	v_add_co_ci_u32_e64 v86, null, v103, v97, s4
	flat_load_b64 v[85:86], v[85:86]
	s_and_saveexec_b32 s17, vcc_lo
	s_cbranch_execz .LBB32_224
; %bb.226:                              ;   in Loop: Header=BB32_225 Depth=3
	v_dual_mov_b32 v99, v29 :: v_dual_mov_b32 v98, v28
	v_dual_mov_b32 v101, v31 :: v_dual_mov_b32 v100, v30
	v_mov_b32_e32 v114, v51
	s_mov_b32 s18, 0
.LBB32_227:                             ;   Parent Loop BB32_8 Depth=1
                                        ;     Parent Loop BB32_146 Depth=2
                                        ;       Parent Loop BB32_225 Depth=3
                                        ; =>      This Inner Loop Header: Depth=4
	s_delay_alu instid0(VALU_DEP_2)
	v_add_co_u32 v115, s4, v100, v48
	s_wait_alu 0xf1ff
	v_add_co_ci_u32_e64 v116, null, v101, v49, s4
	v_add_co_u32 v117, s4, v98, v151
	s_wait_alu 0xf1ff
	v_add_co_ci_u32_e64 v118, null, v99, v160, s4
	flat_load_b64 v[128:129], v[115:116]
	s_clause 0x1
	flat_load_b64 v[117:118], v[117:118]
	flat_load_b64 v[130:131], v[98:99]
	v_add_nc_u32_e32 v114, -1, v114
	v_add_co_u32 v98, s5, v98, 8
	s_wait_alu 0xf1ff
	v_add_co_ci_u32_e64 v99, null, 0, v99, s5
	s_wait_loadcnt_dscnt 0x101
	v_mul_f64_e32 v[132:133], v[117:118], v[128:129]
	v_mul_f64_e32 v[117:118], v[85:86], v[117:118]
	s_wait_loadcnt_dscnt 0x0
	s_delay_alu instid0(VALU_DEP_2) | instskip(NEXT) | instid1(VALU_DEP_2)
	v_fma_f64 v[132:133], v[85:86], v[130:131], v[132:133]
	v_fma_f64 v[85:86], v[130:131], v[128:129], -v[117:118]
	flat_store_b64 v[100:101], v[132:133]
	v_dual_mov_b32 v100, v115 :: v_dual_mov_b32 v101, v116
	v_cmp_eq_u32_e64 s4, 0, v114
	s_wait_alu 0xfffe
	s_or_b32 s18, s4, s18
	s_wait_alu 0xfffe
	s_and_not1_b32 exec_lo, exec_lo, s18
	s_cbranch_execnz .LBB32_227
; %bb.228:                              ;   in Loop: Header=BB32_225 Depth=3
	s_or_b32 exec_lo, exec_lo, s18
	s_branch .LBB32_224
.LBB32_229:                             ;   in Loop: Header=BB32_146 Depth=2
	s_wait_alu 0xfffe
	s_or_b32 exec_lo, exec_lo, s15
                                        ; implicit-def: $vgpr85_vgpr86
                                        ; implicit-def: $vgpr112_vgpr113
                                        ; implicit-def: $vgpr29
	s_and_not1_saveexec_b32 s4, s14
	s_cbranch_execnz .LBB32_219
	s_branch .LBB32_220
.LBB32_230:                             ;   in Loop: Header=BB32_8 Depth=1
	s_or_b32 exec_lo, exec_lo, s13
.LBB32_231:                             ;   in Loop: Header=BB32_8 Depth=1
	s_wait_alu 0xfffe
	s_or_b32 exec_lo, exec_lo, s12
.LBB32_232:                             ;   in Loop: Header=BB32_8 Depth=1
	s_wait_alu 0xfffe
	s_or_b32 exec_lo, exec_lo, s6
	s_wait_loadcnt 0x0
	s_barrier_signal -1
	s_barrier_wait -1
	global_inv scope:SCOPE_SE
	ds_load_b64 v[28:29], v83
	s_mov_b32 s5, exec_lo
	s_wait_dscnt 0x0
	v_cmpx_gt_f64_e32 v[28:29], v[19:20]
	s_cbranch_execz .LBB32_238
; %bb.233:                              ;   in Loop: Header=BB32_8 Depth=1
	v_div_scale_f64 v[30:31], null, v[28:29], v[28:29], v[19:20]
	s_clause 0x1
	global_load_b32 v33, v[21:22], off offset:16
	global_load_b32 v51, v[21:22], off offset:32
	v_rcp_f64_e32 v[84:85], v[30:31]
	s_delay_alu instid0(TRANS32_DEP_1) | instskip(NEXT) | instid1(VALU_DEP_1)
	v_fma_f64 v[96:97], -v[30:31], v[84:85], 1.0
	v_fma_f64 v[84:85], v[84:85], v[96:97], v[84:85]
	s_delay_alu instid0(VALU_DEP_1) | instskip(NEXT) | instid1(VALU_DEP_1)
	v_fma_f64 v[96:97], -v[30:31], v[84:85], 1.0
	v_fma_f64 v[84:85], v[84:85], v[96:97], v[84:85]
	v_div_scale_f64 v[96:97], vcc_lo, v[19:20], v[28:29], v[19:20]
	s_delay_alu instid0(VALU_DEP_1) | instskip(NEXT) | instid1(VALU_DEP_1)
	v_mul_f64_e32 v[98:99], v[96:97], v[84:85]
	v_fma_f64 v[30:31], -v[30:31], v[98:99], v[96:97]
	s_wait_alu 0xfffd
	s_delay_alu instid0(VALU_DEP_1) | instskip(NEXT) | instid1(VALU_DEP_1)
	v_div_fmas_f64 v[30:31], v[30:31], v[84:85], v[98:99]
	v_div_fixup_f64 v[28:29], v[30:31], v[28:29], v[19:20]
	s_wait_loadcnt 0x1
	ds_load_b32 v33, v33
	s_wait_loadcnt 0x0
	ds_load_b32 v30, v51
	s_and_saveexec_b32 s4, s2
	s_cbranch_execz .LBB32_235
; %bb.234:                              ;   in Loop: Header=BB32_8 Depth=1
	s_wait_dscnt 0x0
	v_ashrrev_i32_e32 v31, 31, v30
	s_delay_alu instid0(VALU_DEP_1) | instskip(NEXT) | instid1(VALU_DEP_1)
	v_lshlrev_b64_e32 v[84:85], 3, v[30:31]
	v_add_co_u32 v84, vcc_lo, v23, v84
	s_wait_alu 0xfffd
	s_delay_alu instid0(VALU_DEP_2)
	v_add_co_ci_u32_e64 v85, null, v4, v85, vcc_lo
	flat_load_b64 v[96:97], v[84:85]
	s_wait_loadcnt_dscnt 0x0
	v_mul_f64_e32 v[96:97], v[28:29], v[96:97]
	flat_store_b64 v[84:85], v[96:97]
.LBB32_235:                             ;   in Loop: Header=BB32_8 Depth=1
	s_wait_alu 0xfffe
	s_or_b32 exec_lo, exec_lo, s4
	s_wait_dscnt 0x1
	v_add_nc_u32_e32 v84, v33, v0
	s_wait_dscnt 0x0
	s_delay_alu instid0(VALU_DEP_1)
	v_cmp_lt_i32_e32 vcc_lo, v84, v30
	s_and_b32 exec_lo, exec_lo, vcc_lo
	s_cbranch_execz .LBB32_238
; %bb.236:                              ;   in Loop: Header=BB32_8 Depth=1
	v_ashrrev_i32_e32 v85, 31, v84
	s_mov_b32 s6, 0
	s_delay_alu instid0(VALU_DEP_1)
	v_lshlrev_b64_e32 v[85:86], 3, v[84:85]
.LBB32_237:                             ;   Parent Loop BB32_8 Depth=1
                                        ; =>  This Inner Loop Header: Depth=2
	s_delay_alu instid0(VALU_DEP_1) | instskip(SKIP_1) | instid1(VALU_DEP_2)
	v_add_co_u32 v96, vcc_lo, v23, v85
	s_wait_alu 0xfffd
	v_add_co_ci_u32_e64 v97, null, v4, v86, vcc_lo
	v_add_co_u32 v100, vcc_lo, v5, v85
	s_wait_alu 0xfffd
	v_add_co_ci_u32_e64 v101, null, v6, v86, vcc_lo
	flat_load_b64 v[98:99], v[96:97]
	v_add_nc_u32_e32 v84, v84, v26
	v_add_co_u32 v85, s4, v85, v38
	s_wait_alu 0xf1ff
	v_add_co_ci_u32_e64 v86, null, v86, v39, s4
	s_delay_alu instid0(VALU_DEP_3)
	v_cmp_ge_i32_e32 vcc_lo, v84, v30
	s_wait_alu 0xfffe
	s_or_b32 s6, vcc_lo, s6
	s_wait_loadcnt_dscnt 0x0
	v_mul_f64_e32 v[98:99], v[28:29], v[98:99]
	flat_store_b64 v[96:97], v[98:99]
	flat_load_b64 v[96:97], v[100:101]
	s_wait_loadcnt_dscnt 0x0
	v_mul_f64_e32 v[96:97], v[28:29], v[96:97]
	flat_store_b64 v[100:101], v[96:97]
	s_wait_alu 0xfffe
	s_and_not1_b32 exec_lo, exec_lo, s6
	s_cbranch_execnz .LBB32_237
.LBB32_238:                             ;   in Loop: Header=BB32_8 Depth=1
	s_wait_alu 0xfffe
	s_or_b32 exec_lo, exec_lo, s5
	ds_load_b64 v[28:29], v83
	s_mov_b32 s5, exec_lo
	s_wait_dscnt 0x0
	v_cmpx_lt_f64_e32 v[28:29], v[17:18]
	s_cbranch_execz .LBB32_6
; %bb.239:                              ;   in Loop: Header=BB32_8 Depth=1
	v_div_scale_f64 v[30:31], null, v[28:29], v[28:29], v[17:18]
	s_clause 0x1
	global_load_b32 v33, v[21:22], off offset:16
	global_load_b32 v51, v[21:22], off offset:32
	v_rcp_f64_e32 v[82:83], v[30:31]
	s_delay_alu instid0(TRANS32_DEP_1) | instskip(NEXT) | instid1(VALU_DEP_1)
	v_fma_f64 v[84:85], -v[30:31], v[82:83], 1.0
	v_fma_f64 v[82:83], v[82:83], v[84:85], v[82:83]
	s_delay_alu instid0(VALU_DEP_1) | instskip(NEXT) | instid1(VALU_DEP_1)
	v_fma_f64 v[84:85], -v[30:31], v[82:83], 1.0
	v_fma_f64 v[82:83], v[82:83], v[84:85], v[82:83]
	v_div_scale_f64 v[84:85], vcc_lo, v[17:18], v[28:29], v[17:18]
	s_delay_alu instid0(VALU_DEP_1) | instskip(NEXT) | instid1(VALU_DEP_1)
	v_mul_f64_e32 v[96:97], v[84:85], v[82:83]
	v_fma_f64 v[30:31], -v[30:31], v[96:97], v[84:85]
	s_wait_alu 0xfffd
	s_delay_alu instid0(VALU_DEP_1) | instskip(NEXT) | instid1(VALU_DEP_1)
	v_div_fmas_f64 v[30:31], v[30:31], v[82:83], v[96:97]
	v_div_fixup_f64 v[28:29], v[30:31], v[28:29], v[17:18]
	s_wait_loadcnt 0x1
	ds_load_b32 v33, v33
	s_wait_loadcnt 0x0
	ds_load_b32 v30, v51
	s_and_saveexec_b32 s4, s2
	s_cbranch_execz .LBB32_241
; %bb.240:                              ;   in Loop: Header=BB32_8 Depth=1
	s_wait_dscnt 0x0
	v_ashrrev_i32_e32 v31, 31, v30
	s_delay_alu instid0(VALU_DEP_1) | instskip(NEXT) | instid1(VALU_DEP_1)
	v_lshlrev_b64_e32 v[82:83], 3, v[30:31]
	v_add_co_u32 v82, vcc_lo, v23, v82
	s_wait_alu 0xfffd
	s_delay_alu instid0(VALU_DEP_2)
	v_add_co_ci_u32_e64 v83, null, v4, v83, vcc_lo
	flat_load_b64 v[84:85], v[82:83]
	s_wait_loadcnt_dscnt 0x0
	v_mul_f64_e32 v[84:85], v[28:29], v[84:85]
	flat_store_b64 v[82:83], v[84:85]
.LBB32_241:                             ;   in Loop: Header=BB32_8 Depth=1
	s_wait_alu 0xfffe
	s_or_b32 exec_lo, exec_lo, s4
	s_wait_dscnt 0x1
	v_add_nc_u32_e32 v82, v33, v0
	s_wait_dscnt 0x0
	s_delay_alu instid0(VALU_DEP_1)
	v_cmp_lt_i32_e32 vcc_lo, v82, v30
	s_and_b32 exec_lo, exec_lo, vcc_lo
	s_cbranch_execz .LBB32_6
; %bb.242:                              ;   in Loop: Header=BB32_8 Depth=1
	v_ashrrev_i32_e32 v83, 31, v82
	s_mov_b32 s6, 0
	s_delay_alu instid0(VALU_DEP_1)
	v_lshlrev_b64_e32 v[83:84], 3, v[82:83]
.LBB32_243:                             ;   Parent Loop BB32_8 Depth=1
                                        ; =>  This Inner Loop Header: Depth=2
	s_delay_alu instid0(VALU_DEP_1) | instskip(SKIP_1) | instid1(VALU_DEP_2)
	v_add_co_u32 v85, vcc_lo, v23, v83
	s_wait_alu 0xfffd
	v_add_co_ci_u32_e64 v86, null, v4, v84, vcc_lo
	v_add_co_u32 v98, vcc_lo, v5, v83
	s_wait_alu 0xfffd
	v_add_co_ci_u32_e64 v99, null, v6, v84, vcc_lo
	flat_load_b64 v[96:97], v[85:86]
	v_add_nc_u32_e32 v82, v82, v26
	v_add_co_u32 v83, s4, v83, v38
	s_wait_alu 0xf1ff
	v_add_co_ci_u32_e64 v84, null, v84, v39, s4
	s_delay_alu instid0(VALU_DEP_3)
	v_cmp_ge_i32_e32 vcc_lo, v82, v30
	s_wait_alu 0xfffe
	s_or_b32 s6, vcc_lo, s6
	s_wait_loadcnt_dscnt 0x0
	v_mul_f64_e32 v[96:97], v[28:29], v[96:97]
	flat_store_b64 v[85:86], v[96:97]
	flat_load_b64 v[85:86], v[98:99]
	s_wait_loadcnt_dscnt 0x0
	v_mul_f64_e32 v[85:86], v[28:29], v[85:86]
	flat_store_b64 v[98:99], v[85:86]
	s_wait_alu 0xfffe
	s_and_not1_b32 exec_lo, exec_lo, s6
	s_cbranch_execnz .LBB32_243
	s_branch .LBB32_6
.LBB32_244:
	s_wait_alu 0xfffe
	s_or_b32 exec_lo, exec_lo, s7
	s_delay_alu instid0(SALU_CYCLE_1)
	s_mov_b32 s3, exec_lo
	v_cmpx_lt_i32_e64 v0, v32
	s_cbranch_execz .LBB32_249
; %bb.245:
	v_lshlrev_b64_e32 v[12:13], 3, v[0:1]
	v_lshlrev_b64_e32 v[10:11], 3, v[26:27]
	v_mov_b32_e32 v1, 1
	s_mov_b32 s4, 0
	s_delay_alu instid0(VALU_DEP_3)
	v_add_co_u32 v5, vcc_lo, v5, v12
	s_wait_alu 0xfffd
	v_add_co_ci_u32_e64 v6, null, v6, v13, vcc_lo
	s_branch .LBB32_247
.LBB32_246:                             ;   in Loop: Header=BB32_247 Depth=1
	s_wait_alu 0xfffe
	s_or_b32 exec_lo, exec_lo, s2
	v_add_nc_u32_e32 v0, v0, v26
	v_add_co_u32 v5, s2, v5, v10
	s_wait_alu 0xf1ff
	v_add_co_ci_u32_e64 v6, null, v6, v11, s2
	s_delay_alu instid0(VALU_DEP_3)
	v_cmp_ge_i32_e32 vcc_lo, v0, v32
	s_or_b32 s4, vcc_lo, s4
	s_wait_alu 0xfffe
	s_and_not1_b32 exec_lo, exec_lo, s4
	s_cbranch_execz .LBB32_249
.LBB32_247:                             ; =>This Inner Loop Header: Depth=1
	flat_load_b64 v[12:13], v[5:6]
	s_mov_b32 s2, exec_lo
	s_wait_loadcnt_dscnt 0x0
	v_cmpx_neq_f64_e32 0, v[12:13]
	s_cbranch_execz .LBB32_246
; %bb.248:                              ;   in Loop: Header=BB32_247 Depth=1
	flat_atomic_add_u32 v[24:25], v1 scope:SCOPE_DEV
	s_branch .LBB32_246
.LBB32_249:
	s_wait_alu 0xfffe
	s_or_b32 exec_lo, exec_lo, s3
	v_cmp_lt_i32_e32 vcc_lo, 1, v2
	s_mov_b32 s2, 1
	s_and_b32 s1, s1, vcc_lo
	s_wait_alu 0xfffe
	s_and_saveexec_b32 s4, s1
	s_cbranch_execz .LBB32_265
; %bb.250:
	v_add_co_u32 v0, vcc_lo, v23, 8
	s_wait_alu 0xfffd
	v_add_co_ci_u32_e64 v1, null, 0, v4, vcc_lo
	s_mov_b32 s5, 0
	s_branch .LBB32_252
.LBB32_251:                             ;   in Loop: Header=BB32_252 Depth=1
	s_wait_alu 0xfffe
	s_or_b32 exec_lo, exec_lo, s3
	s_add_co_i32 s2, s2, 1
	v_add_co_u32 v0, s1, v0, 8
	s_wait_alu 0xfffe
	v_cmp_eq_u32_e32 vcc_lo, s2, v2
	s_wait_alu 0xf1ff
	v_add_co_ci_u32_e64 v1, null, 0, v1, s1
	s_wait_storecnt 0x0
	s_wait_loadcnt_dscnt 0x0
	s_barrier_signal -1
	s_or_b32 s5, vcc_lo, s5
	s_barrier_wait -1
	global_inv scope:SCOPE_SE
	s_wait_alu 0xfffe
	s_and_not1_b32 exec_lo, exec_lo, s5
	s_cbranch_execz .LBB32_265
.LBB32_252:                             ; =>This Loop Header: Depth=1
                                        ;     Child Loop BB32_257 Depth 2
                                        ;     Child Loop BB32_264 Depth 2
                                        ; implicit-def: $vgpr11
	s_and_saveexec_b32 s1, s0
	s_wait_alu 0xfffe
	s_xor_b32 s1, exec_lo, s1
	s_cbranch_execz .LBB32_254
; %bb.253:                              ;   in Loop: Header=BB32_252 Depth=1
	global_load_b64 v[10:11], v[21:22], off
.LBB32_254:                             ;   in Loop: Header=BB32_252 Depth=1
	s_wait_alu 0xfffe
	s_and_not1_saveexec_b32 s6, s1
	s_cbranch_execz .LBB32_262
; %bb.255:                              ;   in Loop: Header=BB32_252 Depth=1
	s_ashr_i32 s3, s2, 31
	s_wait_loadcnt 0x0
	global_load_b96 v[10:12], v[21:22], off
	s_wait_alu 0xfffe
	s_lshl_b64 s[8:9], s[2:3], 3
	s_add_co_i32 s3, s2, -1
	s_wait_alu 0xfffe
	v_add_co_u32 v5, vcc_lo, v23, s8
	s_wait_alu 0xfffd
	v_add_co_ci_u32_e64 v6, null, s9, v4, vcc_lo
	v_mov_b32_e32 v17, v1
	v_dual_mov_b32 v13, s3 :: v_dual_mov_b32 v16, v0
	flat_load_b64 v[14:15], v[5:6] offset:-8
	s_mov_b32 s7, 0
	s_mov_b32 s8, s2
	s_wait_loadcnt 0x1
	ds_store_b32 v10, v13
	ds_store_b32 v11, v13
	s_wait_loadcnt_dscnt 0x2
	ds_store_b64 v12, v[14:15]
	s_branch .LBB32_257
.LBB32_256:                             ;   in Loop: Header=BB32_257 Depth=2
	s_wait_alu 0xfffe
	s_or_b32 exec_lo, exec_lo, s1
	s_add_co_i32 s8, s8, 1
	v_add_co_u32 v16, s1, v16, 8
	s_wait_alu 0xfffe
	v_cmp_eq_u32_e32 vcc_lo, s8, v2
	s_wait_alu 0xf1ff
	v_add_co_ci_u32_e64 v17, null, 0, v17, s1
	s_or_b32 s7, vcc_lo, s7
	s_wait_alu 0xfffe
	s_and_not1_b32 exec_lo, exec_lo, s7
	s_cbranch_execz .LBB32_259
.LBB32_257:                             ;   Parent Loop BB32_252 Depth=1
                                        ; =>  This Inner Loop Header: Depth=2
	flat_load_b64 v[18:19], v[16:17]
	s_mov_b32 s1, exec_lo
	s_wait_loadcnt_dscnt 0x0
	v_cmpx_lt_f64_e32 v[18:19], v[14:15]
	s_cbranch_execz .LBB32_256
; %bb.258:                              ;   in Loop: Header=BB32_257 Depth=2
	s_wait_alu 0xfffe
	v_dual_mov_b32 v13, s8 :: v_dual_mov_b32 v14, v18
	v_mov_b32_e32 v15, v19
	ds_store_b32 v11, v13
	ds_store_b64 v12, v[18:19]
	s_branch .LBB32_256
.LBB32_259:                             ;   in Loop: Header=BB32_252 Depth=1
	s_or_b32 exec_lo, exec_lo, s7
	s_delay_alu instid0(SALU_CYCLE_1)
	s_mov_b32 s1, exec_lo
	v_cmpx_ne_u32_e64 s3, v13
	s_cbranch_execz .LBB32_261
; %bb.260:                              ;   in Loop: Header=BB32_252 Depth=1
	flat_load_b64 v[15:16], v[5:6] offset:-8
	v_ashrrev_i32_e32 v14, 31, v13
	s_delay_alu instid0(VALU_DEP_1) | instskip(NEXT) | instid1(VALU_DEP_1)
	v_lshlrev_b64_e32 v[13:14], 3, v[13:14]
	v_add_co_u32 v13, vcc_lo, v23, v13
	s_wait_alu 0xfffd
	s_delay_alu instid0(VALU_DEP_2)
	v_add_co_ci_u32_e64 v14, null, v4, v14, vcc_lo
	s_wait_loadcnt_dscnt 0x0
	flat_store_b64 v[13:14], v[15:16]
	ds_load_b64 v[12:13], v12
	s_wait_dscnt 0x0
	flat_store_b64 v[5:6], v[12:13] offset:-8
.LBB32_261:                             ;   in Loop: Header=BB32_252 Depth=1
	s_wait_alu 0xfffe
	s_or_b32 exec_lo, exec_lo, s1
.LBB32_262:                             ;   in Loop: Header=BB32_252 Depth=1
	s_wait_alu 0xfffe
	s_or_b32 exec_lo, exec_lo, s6
	s_wait_storecnt 0x0
	s_wait_loadcnt_dscnt 0x0
	s_barrier_signal -1
	s_barrier_wait -1
	global_inv scope:SCOPE_SE
	ds_load_b32 v3, v11
	ds_load_b32 v5, v10
	s_mov_b32 s3, exec_lo
	s_wait_dscnt 0x0
	v_cmpx_ne_u32_e64 v3, v5
	s_cbranch_execz .LBB32_251
; %bb.263:                              ;   in Loop: Header=BB32_252 Depth=1
	v_mul_lo_u32 v10, v3, v9
	v_mul_lo_u32 v5, v5, v9
	v_mov_b32_e32 v3, v2
	s_mov_b32 s6, 0
	s_delay_alu instid0(VALU_DEP_3) | instskip(NEXT) | instid1(VALU_DEP_3)
	v_ashrrev_i32_e32 v11, 31, v10
	v_ashrrev_i32_e32 v6, 31, v5
	s_delay_alu instid0(VALU_DEP_2) | instskip(NEXT) | instid1(VALU_DEP_2)
	v_lshlrev_b64_e32 v[10:11], 3, v[10:11]
	v_lshlrev_b64_e32 v[12:13], 3, v[5:6]
	s_delay_alu instid0(VALU_DEP_2) | instskip(SKIP_1) | instid1(VALU_DEP_3)
	v_add_co_u32 v5, vcc_lo, v7, v10
	s_wait_alu 0xfffd
	v_add_co_ci_u32_e64 v6, null, v8, v11, vcc_lo
	s_delay_alu instid0(VALU_DEP_3)
	v_add_co_u32 v10, vcc_lo, v7, v12
	s_wait_alu 0xfffd
	v_add_co_ci_u32_e64 v11, null, v8, v13, vcc_lo
.LBB32_264:                             ;   Parent Loop BB32_252 Depth=1
                                        ; =>  This Inner Loop Header: Depth=2
	flat_load_b64 v[12:13], v[5:6]
	flat_load_b64 v[14:15], v[10:11]
	v_add_nc_u32_e32 v3, -1, v3
	s_wait_loadcnt_dscnt 0x101
	flat_store_b64 v[10:11], v[12:13]
	s_wait_loadcnt_dscnt 0x1
	flat_store_b64 v[5:6], v[14:15]
	v_add_co_u32 v5, s1, v5, 8
	v_cmp_eq_u32_e32 vcc_lo, 0, v3
	s_wait_alu 0xf1ff
	v_add_co_ci_u32_e64 v6, null, 0, v6, s1
	v_add_co_u32 v10, s1, v10, 8
	s_wait_alu 0xf1ff
	v_add_co_ci_u32_e64 v11, null, 0, v11, s1
	s_wait_alu 0xfffe
	s_or_b32 s6, vcc_lo, s6
	s_wait_alu 0xfffe
	s_and_not1_b32 exec_lo, exec_lo, s6
	s_cbranch_execnz .LBB32_264
	s_branch .LBB32_251
.LBB32_265:
	s_wait_alu 0xfffe
	s_or_b32 exec_lo, exec_lo, s4
	s_clause 0x3
	scratch_load_b32 v43, off, s32
	scratch_load_b32 v42, off, s32 offset:4
	scratch_load_b32 v41, off, s32 offset:8
	;; [unrolled: 1-line block ×3, first 2 shown]
	s_wait_loadcnt_dscnt 0x0
	s_setpc_b64 s[30:31]
.Lfunc_end32:
	.size	_ZN9rocsolver6v331009run_steqrIddEEviiiPT0_S3_PT_iPiS3_iS2_S2_S2_b, .Lfunc_end32-_ZN9rocsolver6v331009run_steqrIddEEviiiPT0_S3_PT_iPiS3_iS2_S2_S2_b
                                        ; -- End function
	.set .L_ZN9rocsolver6v331009run_steqrIddEEviiiPT0_S3_PT_iPiS3_iS2_S2_S2_b.num_vgpr, 184
	.set .L_ZN9rocsolver6v331009run_steqrIddEEviiiPT0_S3_PT_iPiS3_iS2_S2_S2_b.num_agpr, 0
	.set .L_ZN9rocsolver6v331009run_steqrIddEEviiiPT0_S3_PT_iPiS3_iS2_S2_S2_b.numbered_sgpr, 33
	.set .L_ZN9rocsolver6v331009run_steqrIddEEviiiPT0_S3_PT_iPiS3_iS2_S2_S2_b.num_named_barrier, 0
	.set .L_ZN9rocsolver6v331009run_steqrIddEEviiiPT0_S3_PT_iPiS3_iS2_S2_S2_b.private_seg_size, 20
	.set .L_ZN9rocsolver6v331009run_steqrIddEEviiiPT0_S3_PT_iPiS3_iS2_S2_S2_b.uses_vcc, 1
	.set .L_ZN9rocsolver6v331009run_steqrIddEEviiiPT0_S3_PT_iPiS3_iS2_S2_S2_b.uses_flat_scratch, 1
	.set .L_ZN9rocsolver6v331009run_steqrIddEEviiiPT0_S3_PT_iPiS3_iS2_S2_S2_b.has_dyn_sized_stack, 0
	.set .L_ZN9rocsolver6v331009run_steqrIddEEviiiPT0_S3_PT_iPiS3_iS2_S2_S2_b.has_recursion, 0
	.set .L_ZN9rocsolver6v331009run_steqrIddEEviiiPT0_S3_PT_iPiS3_iS2_S2_S2_b.has_indirect_call, 0
	.section	.AMDGPU.csdata,"",@progbits
; Function info:
; codeLenInByte = 20568
; TotalNumSgprs: 35
; NumVgprs: 184
; ScratchSize: 20
; MemoryBound: 0
	.section	.text._ZN9rocsolver6v33100L12steqr_kernelIddPdEEviPT0_lS4_lT1_iilPiS4_iS3_S3_S3_,"axG",@progbits,_ZN9rocsolver6v33100L12steqr_kernelIddPdEEviPT0_lS4_lT1_iilPiS4_iS3_S3_S3_,comdat
	.globl	_ZN9rocsolver6v33100L12steqr_kernelIddPdEEviPT0_lS4_lT1_iilPiS4_iS3_S3_S3_ ; -- Begin function _ZN9rocsolver6v33100L12steqr_kernelIddPdEEviPT0_lS4_lT1_iilPiS4_iS3_S3_S3_
	.p2align	8
	.type	_ZN9rocsolver6v33100L12steqr_kernelIddPdEEviPT0_lS4_lT1_iilPiS4_iS3_S3_S3_,@function
_ZN9rocsolver6v33100L12steqr_kernelIddPdEEviPT0_lS4_lT1_iilPiS4_iS3_S3_S3_: ; @_ZN9rocsolver6v33100L12steqr_kernelIddPdEEviPT0_lS4_lT1_iilPiS4_iS3_S3_S3_
; %bb.0:
	s_clause 0x6
	s_load_b32 s27, s[0:1], 0x7c
	s_load_b32 s31, s[0:1], 0x0
	s_load_b256 s[12:19], s[0:1], 0x8
	s_load_b256 s[4:11], s[0:1], 0x28
	s_load_b96 s[24:26], s[0:1], 0x68
	s_load_b96 s[28:30], s[0:1], 0x48
	s_load_b128 s[20:23], s[0:1], 0x58
	s_mov_b32 s2, ttmp7
	s_ashr_i32 s3, ttmp7, 31
	v_mov_b32_e32 v21, 1
	s_lshl_b64 s[34:35], s[2:3], 2
	s_mov_b32 s32, 0
	s_wait_kmcnt 0x0
	s_and_b32 s27, s27, 0xffff
	s_lshl_b32 s36, s31, 1
	s_mul_u64 s[14:15], s[14:15], s[2:3]
	s_mul_u64 s[8:9], s[8:9], s[2:3]
	s_ashr_i32 s37, s36, 31
	s_mul_u64 s[18:19], s[18:19], s[2:3]
	s_ashr_i32 s39, s6, 31
	s_mov_b32 s38, s6
	s_lshl_b64 s[8:9], s[8:9], 3
	s_mul_u64 s[2:3], s[36:37], s[2:3]
	v_mad_co_u64_u32 v[0:1], null, ttmp9, s27, v[0:1]
	s_mul_i32 s6, s26, s27
	s_lshl_b64 s[14:15], s[14:15], 3
	s_lshl_b64 s[18:19], s[18:19], 3
	;; [unrolled: 1-line block ×3, first 2 shown]
	s_add_nc_u64 s[4:5], s[4:5], s[8:9]
	s_lshl_b64 s[2:3], s[2:3], 3
	s_add_nc_u64 s[12:13], s[12:13], s[14:15]
	s_add_nc_u64 s[14:15], s[16:17], s[18:19]
	s_wait_alu 0xfffe
	s_add_nc_u64 s[4:5], s[4:5], s[26:27]
	s_add_nc_u64 s[2:3], s[28:29], s[2:3]
	;; [unrolled: 1-line block ×3, first 2 shown]
	v_dual_mov_b32 v1, s6 :: v_dual_mov_b32 v2, s31
	v_dual_mov_b32 v3, s12 :: v_dual_mov_b32 v4, s13
	;; [unrolled: 1-line block ×10, first 2 shown]
	s_add_nc_u64 s[8:9], s[0:1], 0x70
	s_getpc_b64 s[0:1]
	s_wait_alu 0xfffe
	s_sext_i32_i16 s1, s1
	s_add_co_u32 s0, s0, _ZN9rocsolver6v331009run_steqrIddEEviiiPT0_S3_PT_iPiS3_iS2_S2_S2_b@rel32@lo+12
	s_wait_alu 0xfffe
	s_add_co_ci_u32 s1, s1, _ZN9rocsolver6v331009run_steqrIddEEviiiPT0_S3_PT_iPiS3_iS2_S2_S2_b@rel32@hi+24
	s_mov_b32 s15, 0
	s_wait_alu 0xfffe
	s_swappc_b64 s[30:31], s[0:1]
	s_endpgm
	.section	.rodata,"a",@progbits
	.p2align	6, 0x0
	.amdhsa_kernel _ZN9rocsolver6v33100L12steqr_kernelIddPdEEviPT0_lS4_lT1_iilPiS4_iS3_S3_S3_
		.amdhsa_group_segment_fixed_size 48
		.amdhsa_private_segment_fixed_size 20
		.amdhsa_kernarg_size 368
		.amdhsa_user_sgpr_count 2
		.amdhsa_user_sgpr_dispatch_ptr 0
		.amdhsa_user_sgpr_queue_ptr 0
		.amdhsa_user_sgpr_kernarg_segment_ptr 1
		.amdhsa_user_sgpr_dispatch_id 0
		.amdhsa_user_sgpr_private_segment_size 0
		.amdhsa_wavefront_size32 1
		.amdhsa_uses_dynamic_stack 0
		.amdhsa_enable_private_segment 1
		.amdhsa_system_sgpr_workgroup_id_x 1
		.amdhsa_system_sgpr_workgroup_id_y 1
		.amdhsa_system_sgpr_workgroup_id_z 0
		.amdhsa_system_sgpr_workgroup_info 0
		.amdhsa_system_vgpr_workitem_id 0
		.amdhsa_next_free_vgpr 184
		.amdhsa_next_free_sgpr 40
		.amdhsa_reserve_vcc 1
		.amdhsa_float_round_mode_32 0
		.amdhsa_float_round_mode_16_64 0
		.amdhsa_float_denorm_mode_32 3
		.amdhsa_float_denorm_mode_16_64 3
		.amdhsa_fp16_overflow 0
		.amdhsa_workgroup_processor_mode 1
		.amdhsa_memory_ordered 1
		.amdhsa_forward_progress 1
		.amdhsa_inst_pref_size 3
		.amdhsa_round_robin_scheduling 0
		.amdhsa_exception_fp_ieee_invalid_op 0
		.amdhsa_exception_fp_denorm_src 0
		.amdhsa_exception_fp_ieee_div_zero 0
		.amdhsa_exception_fp_ieee_overflow 0
		.amdhsa_exception_fp_ieee_underflow 0
		.amdhsa_exception_fp_ieee_inexact 0
		.amdhsa_exception_int_div_zero 0
	.end_amdhsa_kernel
	.section	.text._ZN9rocsolver6v33100L12steqr_kernelIddPdEEviPT0_lS4_lT1_iilPiS4_iS3_S3_S3_,"axG",@progbits,_ZN9rocsolver6v33100L12steqr_kernelIddPdEEviPT0_lS4_lT1_iilPiS4_iS3_S3_S3_,comdat
.Lfunc_end33:
	.size	_ZN9rocsolver6v33100L12steqr_kernelIddPdEEviPT0_lS4_lT1_iilPiS4_iS3_S3_S3_, .Lfunc_end33-_ZN9rocsolver6v33100L12steqr_kernelIddPdEEviPT0_lS4_lT1_iilPiS4_iS3_S3_S3_
                                        ; -- End function
	.set _ZN9rocsolver6v33100L12steqr_kernelIddPdEEviPT0_lS4_lT1_iilPiS4_iS3_S3_S3_.num_vgpr, max(22, .L_ZN9rocsolver6v331009run_steqrIddEEviiiPT0_S3_PT_iPiS3_iS2_S2_S2_b.num_vgpr)
	.set _ZN9rocsolver6v33100L12steqr_kernelIddPdEEviPT0_lS4_lT1_iilPiS4_iS3_S3_S3_.num_agpr, max(0, .L_ZN9rocsolver6v331009run_steqrIddEEviiiPT0_S3_PT_iPiS3_iS2_S2_S2_b.num_agpr)
	.set _ZN9rocsolver6v33100L12steqr_kernelIddPdEEviPT0_lS4_lT1_iilPiS4_iS3_S3_S3_.numbered_sgpr, max(40, .L_ZN9rocsolver6v331009run_steqrIddEEviiiPT0_S3_PT_iPiS3_iS2_S2_S2_b.numbered_sgpr)
	.set _ZN9rocsolver6v33100L12steqr_kernelIddPdEEviPT0_lS4_lT1_iilPiS4_iS3_S3_S3_.num_named_barrier, max(0, .L_ZN9rocsolver6v331009run_steqrIddEEviiiPT0_S3_PT_iPiS3_iS2_S2_S2_b.num_named_barrier)
	.set _ZN9rocsolver6v33100L12steqr_kernelIddPdEEviPT0_lS4_lT1_iilPiS4_iS3_S3_S3_.private_seg_size, 0+max(.L_ZN9rocsolver6v331009run_steqrIddEEviiiPT0_S3_PT_iPiS3_iS2_S2_S2_b.private_seg_size)
	.set _ZN9rocsolver6v33100L12steqr_kernelIddPdEEviPT0_lS4_lT1_iilPiS4_iS3_S3_S3_.uses_vcc, or(1, .L_ZN9rocsolver6v331009run_steqrIddEEviiiPT0_S3_PT_iPiS3_iS2_S2_S2_b.uses_vcc)
	.set _ZN9rocsolver6v33100L12steqr_kernelIddPdEEviPT0_lS4_lT1_iilPiS4_iS3_S3_S3_.uses_flat_scratch, or(0, .L_ZN9rocsolver6v331009run_steqrIddEEviiiPT0_S3_PT_iPiS3_iS2_S2_S2_b.uses_flat_scratch)
	.set _ZN9rocsolver6v33100L12steqr_kernelIddPdEEviPT0_lS4_lT1_iilPiS4_iS3_S3_S3_.has_dyn_sized_stack, or(0, .L_ZN9rocsolver6v331009run_steqrIddEEviiiPT0_S3_PT_iPiS3_iS2_S2_S2_b.has_dyn_sized_stack)
	.set _ZN9rocsolver6v33100L12steqr_kernelIddPdEEviPT0_lS4_lT1_iilPiS4_iS3_S3_S3_.has_recursion, or(0, .L_ZN9rocsolver6v331009run_steqrIddEEviiiPT0_S3_PT_iPiS3_iS2_S2_S2_b.has_recursion)
	.set _ZN9rocsolver6v33100L12steqr_kernelIddPdEEviPT0_lS4_lT1_iilPiS4_iS3_S3_S3_.has_indirect_call, or(0, .L_ZN9rocsolver6v331009run_steqrIddEEviiiPT0_S3_PT_iPiS3_iS2_S2_S2_b.has_indirect_call)
	.section	.AMDGPU.csdata,"",@progbits
; Kernel info:
; codeLenInByte = 320
; TotalNumSgprs: 42
; NumVgprs: 184
; ScratchSize: 20
; MemoryBound: 0
; FloatMode: 240
; IeeeMode: 1
; LDSByteSize: 48 bytes/workgroup (compile time only)
; SGPRBlocks: 0
; VGPRBlocks: 22
; NumSGPRsForWavesPerEU: 42
; NumVGPRsForWavesPerEU: 184
; Occupancy: 8
; WaveLimiterHint : 0
; COMPUTE_PGM_RSRC2:SCRATCH_EN: 1
; COMPUTE_PGM_RSRC2:USER_SGPR: 2
; COMPUTE_PGM_RSRC2:TRAP_HANDLER: 0
; COMPUTE_PGM_RSRC2:TGID_X_EN: 1
; COMPUTE_PGM_RSRC2:TGID_Y_EN: 1
; COMPUTE_PGM_RSRC2:TGID_Z_EN: 0
; COMPUTE_PGM_RSRC2:TIDIG_COMP_CNT: 0
	.section	.text._ZN9rocsolver6v33100L10init_identIdPdEEviiT0_iil,"axG",@progbits,_ZN9rocsolver6v33100L10init_identIdPdEEviiT0_iil,comdat
	.globl	_ZN9rocsolver6v33100L10init_identIdPdEEviiT0_iil ; -- Begin function _ZN9rocsolver6v33100L10init_identIdPdEEviiT0_iil
	.p2align	8
	.type	_ZN9rocsolver6v33100L10init_identIdPdEEviiT0_iil,@function
_ZN9rocsolver6v33100L10init_identIdPdEEviiT0_iil: ; @_ZN9rocsolver6v33100L10init_identIdPdEEviiT0_iil
; %bb.0:
	s_clause 0x1
	s_load_b32 s4, s[0:1], 0x2c
	s_load_b64 s[2:3], s[0:1], 0x0
	v_and_b32_e32 v1, 0x3ff, v0
	v_bfe_u32 v0, v0, 10, 10
	s_and_b32 s5, ttmp7, 0xffff
	s_wait_kmcnt 0x0
	s_lshr_b32 s6, s4, 16
	s_and_b32 s4, s4, 0xffff
	s_delay_alu instid0(SALU_CYCLE_1) | instskip(NEXT) | instid1(VALU_DEP_1)
	v_mad_co_u64_u32 v[1:2], null, ttmp9, s4, v[1:2]
	v_mad_co_u64_u32 v[2:3], null, s5, s6, v[0:1]
	v_cmp_gt_u32_e32 vcc_lo, s2, v1
	s_delay_alu instid0(VALU_DEP_2)
	v_cmp_gt_u32_e64 s2, s3, v2
	s_and_b32 s2, vcc_lo, s2
	s_wait_alu 0xfffe
	s_and_saveexec_b32 s3, s2
	s_cbranch_execz .LBB34_6
; %bb.1:
	s_load_b64 s[2:3], s[0:1], 0x10
	s_mov_b32 s4, exec_lo
                                        ; implicit-def: $vgpr0
	v_cmpx_ne_u32_e64 v1, v2
	s_wait_alu 0xfffe
	s_xor_b32 s4, exec_lo, s4
	s_cbranch_execz .LBB34_3
; %bb.2:
	s_wait_kmcnt 0x0
	v_mad_co_u64_u32 v[0:1], null, v2, s3, v[1:2]
                                        ; implicit-def: $vgpr1_vgpr2
.LBB34_3:
	s_wait_alu 0xfffe
	s_or_saveexec_b32 s4, s4
	v_mov_b32_e32 v2, 0
	v_mov_b32_e32 v3, 0
	s_wait_alu 0xfffe
	s_xor_b32 exec_lo, exec_lo, s4
	s_cbranch_execz .LBB34_5
; %bb.4:
	s_wait_kmcnt 0x0
	v_mad_co_u64_u32 v[0:1], null, v1, s3, v[1:2]
	v_mov_b32_e32 v2, 0
	v_mov_b32_e32 v3, 0x3ff00000
.LBB34_5:
	s_or_b32 exec_lo, exec_lo, s4
	s_clause 0x1
	s_load_b64 s[4:5], s[0:1], 0x18
	s_load_b64 s[0:1], s[0:1], 0x8
	v_mov_b32_e32 v1, 0
	s_mov_b32 s7, 0
	s_lshr_b32 s6, ttmp7, 16
	s_wait_kmcnt 0x0
	s_ashr_i32 s3, s2, 31
	v_lshlrev_b64_e32 v[0:1], 3, v[0:1]
	s_wait_alu 0xfffe
	s_lshl_b64 s[2:3], s[2:3], 3
	s_mul_u64 s[4:5], s[4:5], s[6:7]
	s_wait_alu 0xfffe
	s_lshl_b64 s[4:5], s[4:5], 3
	s_wait_alu 0xfffe
	s_add_nc_u64 s[0:1], s[0:1], s[4:5]
	s_wait_alu 0xfffe
	s_add_nc_u64 s[0:1], s[0:1], s[2:3]
	s_wait_alu 0xfffe
	v_add_co_u32 v0, vcc_lo, s0, v0
	s_delay_alu instid0(VALU_DEP_1)
	v_add_co_ci_u32_e64 v1, null, s1, v1, vcc_lo
	global_store_b64 v[0:1], v[2:3], off
.LBB34_6:
	s_endpgm
	.section	.rodata,"a",@progbits
	.p2align	6, 0x0
	.amdhsa_kernel _ZN9rocsolver6v33100L10init_identIdPdEEviiT0_iil
		.amdhsa_group_segment_fixed_size 0
		.amdhsa_private_segment_fixed_size 0
		.amdhsa_kernarg_size 288
		.amdhsa_user_sgpr_count 2
		.amdhsa_user_sgpr_dispatch_ptr 0
		.amdhsa_user_sgpr_queue_ptr 0
		.amdhsa_user_sgpr_kernarg_segment_ptr 1
		.amdhsa_user_sgpr_dispatch_id 0
		.amdhsa_user_sgpr_private_segment_size 0
		.amdhsa_wavefront_size32 1
		.amdhsa_uses_dynamic_stack 0
		.amdhsa_enable_private_segment 0
		.amdhsa_system_sgpr_workgroup_id_x 1
		.amdhsa_system_sgpr_workgroup_id_y 1
		.amdhsa_system_sgpr_workgroup_id_z 1
		.amdhsa_system_sgpr_workgroup_info 0
		.amdhsa_system_vgpr_workitem_id 1
		.amdhsa_next_free_vgpr 4
		.amdhsa_next_free_sgpr 8
		.amdhsa_reserve_vcc 1
		.amdhsa_float_round_mode_32 0
		.amdhsa_float_round_mode_16_64 0
		.amdhsa_float_denorm_mode_32 3
		.amdhsa_float_denorm_mode_16_64 3
		.amdhsa_fp16_overflow 0
		.amdhsa_workgroup_processor_mode 1
		.amdhsa_memory_ordered 1
		.amdhsa_forward_progress 1
		.amdhsa_inst_pref_size 3
		.amdhsa_round_robin_scheduling 0
		.amdhsa_exception_fp_ieee_invalid_op 0
		.amdhsa_exception_fp_denorm_src 0
		.amdhsa_exception_fp_ieee_div_zero 0
		.amdhsa_exception_fp_ieee_overflow 0
		.amdhsa_exception_fp_ieee_underflow 0
		.amdhsa_exception_fp_ieee_inexact 0
		.amdhsa_exception_int_div_zero 0
	.end_amdhsa_kernel
	.section	.text._ZN9rocsolver6v33100L10init_identIdPdEEviiT0_iil,"axG",@progbits,_ZN9rocsolver6v33100L10init_identIdPdEEviiT0_iil,comdat
.Lfunc_end34:
	.size	_ZN9rocsolver6v33100L10init_identIdPdEEviiT0_iil, .Lfunc_end34-_ZN9rocsolver6v33100L10init_identIdPdEEviiT0_iil
                                        ; -- End function
	.set _ZN9rocsolver6v33100L10init_identIdPdEEviiT0_iil.num_vgpr, 4
	.set _ZN9rocsolver6v33100L10init_identIdPdEEviiT0_iil.num_agpr, 0
	.set _ZN9rocsolver6v33100L10init_identIdPdEEviiT0_iil.numbered_sgpr, 8
	.set _ZN9rocsolver6v33100L10init_identIdPdEEviiT0_iil.num_named_barrier, 0
	.set _ZN9rocsolver6v33100L10init_identIdPdEEviiT0_iil.private_seg_size, 0
	.set _ZN9rocsolver6v33100L10init_identIdPdEEviiT0_iil.uses_vcc, 1
	.set _ZN9rocsolver6v33100L10init_identIdPdEEviiT0_iil.uses_flat_scratch, 0
	.set _ZN9rocsolver6v33100L10init_identIdPdEEviiT0_iil.has_dyn_sized_stack, 0
	.set _ZN9rocsolver6v33100L10init_identIdPdEEviiT0_iil.has_recursion, 0
	.set _ZN9rocsolver6v33100L10init_identIdPdEEviiT0_iil.has_indirect_call, 0
	.section	.AMDGPU.csdata,"",@progbits
; Kernel info:
; codeLenInByte = 332
; TotalNumSgprs: 10
; NumVgprs: 4
; ScratchSize: 0
; MemoryBound: 0
; FloatMode: 240
; IeeeMode: 1
; LDSByteSize: 0 bytes/workgroup (compile time only)
; SGPRBlocks: 0
; VGPRBlocks: 0
; NumSGPRsForWavesPerEU: 10
; NumVGPRsForWavesPerEU: 4
; Occupancy: 16
; WaveLimiterHint : 0
; COMPUTE_PGM_RSRC2:SCRATCH_EN: 0
; COMPUTE_PGM_RSRC2:USER_SGPR: 2
; COMPUTE_PGM_RSRC2:TRAP_HANDLER: 0
; COMPUTE_PGM_RSRC2:TGID_X_EN: 1
; COMPUTE_PGM_RSRC2:TGID_Y_EN: 1
; COMPUTE_PGM_RSRC2:TGID_Z_EN: 1
; COMPUTE_PGM_RSRC2:TIDIG_COMP_CNT: 1
	.section	.text._ZN9rocsolver6v33100L19stedc_divide_kernelIdEEviiiPT_lS3_liPi,"axG",@progbits,_ZN9rocsolver6v33100L19stedc_divide_kernelIdEEviiiPT_lS3_liPi,comdat
	.globl	_ZN9rocsolver6v33100L19stedc_divide_kernelIdEEviiiPT_lS3_liPi ; -- Begin function _ZN9rocsolver6v33100L19stedc_divide_kernelIdEEviiiPT_lS3_liPi
	.p2align	8
	.type	_ZN9rocsolver6v33100L19stedc_divide_kernelIdEEviiiPT_lS3_liPi,@function
_ZN9rocsolver6v33100L19stedc_divide_kernelIdEEviiiPT_lS3_liPi: ; @_ZN9rocsolver6v33100L19stedc_divide_kernelIdEEviiiPT_lS3_liPi
; %bb.0:
	s_clause 0x1
	s_load_b32 s2, s[0:1], 0x4c
	s_load_b32 s3, s[0:1], 0x30
	s_wait_kmcnt 0x0
	s_and_b32 s2, s2, 0xffff
	s_delay_alu instid0(SALU_CYCLE_1)
	v_mad_co_u64_u32 v[2:3], null, ttmp9, s2, v[0:1]
	s_mov_b32 s2, exec_lo
	v_cmpx_gt_i32_e64 s3, v2
	s_cbranch_execz .LBB35_10
; %bb.1:
	s_clause 0x1
	s_load_b96 s[4:6], s[0:1], 0x0
	s_load_b64 s[2:3], s[0:1], 0x38
	s_wait_kmcnt 0x0
	s_mul_i32 s7, s6, 13
	v_mov_b32_e32 v3, s6
	v_mul_lo_u32 v0, s7, v2
	s_cmp_lt_i32 s4, 1
	s_delay_alu instid0(VALU_DEP_1) | instskip(NEXT) | instid1(VALU_DEP_1)
	v_ashrrev_i32_e32 v1, 31, v0
	v_lshlrev_b64_e32 v[0:1], 2, v[0:1]
	s_delay_alu instid0(VALU_DEP_1) | instskip(NEXT) | instid1(VALU_DEP_1)
	v_add_co_u32 v0, vcc_lo, s2, v0
	v_add_co_ci_u32_e64 v1, null, s3, v1, vcc_lo
	global_store_b32 v[0:1], v3, off
	s_cbranch_scc1 .LBB35_7
; %bb.2:
	v_add_co_u32 v5, vcc_lo, v0, -4
	s_wait_alu 0xfffd
	v_add_co_ci_u32_e64 v6, null, -1, v1, vcc_lo
	s_mov_b32 s9, 0
	s_mov_b32 s3, 0
	s_branch .LBB35_4
.LBB35_3:                               ;   in Loop: Header=BB35_4 Depth=1
	s_add_co_i32 s3, s3, 1
	s_wait_alu 0xfffe
	s_cmp_eq_u32 s3, s4
	s_cbranch_scc1 .LBB35_7
.LBB35_4:                               ; =>This Loop Header: Depth=1
                                        ;     Child Loop BB35_6 Depth 2
	s_wait_alu 0xfffe
	s_cmp_eq_u32 s3, 31
	s_cbranch_scc1 .LBB35_3
; %bb.5:                                ;   in Loop: Header=BB35_4 Depth=1
	s_lshl_b32 s8, 1, s3
	s_delay_alu instid0(SALU_CYCLE_1)
	s_lshl_b64 s[10:11], s[8:9], 2
	s_add_co_i32 s7, s8, 1
	s_wait_alu 0xfffe
	v_add_co_u32 v3, vcc_lo, v5, s10
	s_wait_alu 0xfffd
	v_add_co_ci_u32_e64 v4, null, s11, v6, vcc_lo
	s_lshl_b32 s8, s8, 1
.LBB35_6:                               ;   Parent Loop BB35_4 Depth=1
                                        ; =>  This Inner Loop Header: Depth=2
	global_load_b32 v7, v[3:4], off
	s_lshl_b64 s[10:11], s[8:9], 2
	v_add_co_u32 v3, vcc_lo, v3, -4
	s_wait_alu 0xfffe
	v_add_co_u32 v9, s2, v0, s10
	s_wait_alu 0xf1ff
	v_add_co_ci_u32_e64 v10, null, s11, v1, s2
	s_wait_alu 0xfffd
	v_add_co_ci_u32_e64 v4, null, -1, v4, vcc_lo
	s_add_co_i32 s7, s7, -1
	s_add_co_i32 s8, s8, -2
	s_wait_alu 0xfffe
	s_cmp_lt_u32 s7, 2
	s_wait_loadcnt 0x0
	v_lshrrev_b32_e32 v8, 31, v7
	v_and_b32_e32 v11, 1, v7
	s_delay_alu instid0(VALU_DEP_2) | instskip(NEXT) | instid1(VALU_DEP_1)
	v_add_nc_u32_e32 v8, v7, v8
	v_ashrrev_i32_e32 v7, 1, v8
	s_delay_alu instid0(VALU_DEP_1)
	v_add_nc_u32_e32 v8, v7, v11
	global_store_b64 v[9:10], v[7:8], off offset:-8
	s_cbranch_scc0 .LBB35_6
	s_branch .LBB35_3
.LBB35_7:
	s_ashr_i32 s3, s6, 31
	s_mov_b32 s2, s6
	v_mov_b32_e32 v3, 0
	s_wait_alu 0xfffe
	s_lshl_b64 s[2:3], s[2:3], 2
	s_cmp_lt_i32 s5, 2
	s_wait_alu 0xfffe
	v_add_co_u32 v4, vcc_lo, v0, s2
	s_wait_alu 0xfffd
	v_add_co_ci_u32_e64 v5, null, s3, v1, vcc_lo
	global_store_b32 v[4:5], v3, off
	s_cbranch_scc1 .LBB35_10
; %bb.8:
	s_load_b256 s[8:15], s[0:1], 0x10
	v_ashrrev_i32_e32 v6, 31, v2
	s_add_co_i32 s4, s5, -1
	s_add_nc_u64 s[0:1], s[2:3], 4
	s_wait_kmcnt 0x0
	v_mul_lo_u32 v8, s11, v2
	v_mul_lo_u32 v9, s10, v6
	v_mad_co_u64_u32 v[4:5], null, s10, v2, 0
	v_mul_lo_u32 v10, s15, v2
	v_mul_lo_u32 v11, s14, v6
	v_mad_co_u64_u32 v[6:7], null, s14, v2, 0
	s_delay_alu instid0(VALU_DEP_4) | instskip(NEXT) | instid1(VALU_DEP_2)
	v_add3_u32 v5, v5, v9, v8
	v_add3_u32 v7, v7, v11, v10
	s_delay_alu instid0(VALU_DEP_2) | instskip(NEXT) | instid1(VALU_DEP_2)
	v_lshlrev_b64_e32 v[4:5], 3, v[4:5]
	v_lshlrev_b64_e32 v[6:7], 3, v[6:7]
	s_delay_alu instid0(VALU_DEP_2) | instskip(SKIP_1) | instid1(VALU_DEP_3)
	v_add_co_u32 v2, vcc_lo, s8, v4
	s_wait_alu 0xfffd
	v_add_co_ci_u32_e64 v5, null, s9, v5, vcc_lo
	s_delay_alu instid0(VALU_DEP_3)
	v_add_co_u32 v6, vcc_lo, s12, v6
	s_wait_alu 0xfffd
	v_add_co_ci_u32_e64 v7, null, s13, v7, vcc_lo
.LBB35_9:                               ; =>This Inner Loop Header: Depth=1
	global_load_b32 v4, v[0:1], off
	s_add_co_i32 s4, s4, -1
	s_delay_alu instid0(SALU_CYCLE_1) | instskip(SKIP_2) | instid1(VALU_DEP_1)
	s_cmp_lg_u32 s4, 0
	s_wait_loadcnt 0x0
	v_add_nc_u32_e32 v3, v4, v3
	v_ashrrev_i32_e32 v4, 31, v3
	s_delay_alu instid0(VALU_DEP_1) | instskip(NEXT) | instid1(VALU_DEP_1)
	v_lshlrev_b64_e32 v[8:9], 3, v[3:4]
	v_add_co_u32 v10, vcc_lo, v6, v8
	s_wait_alu 0xfffd
	s_delay_alu instid0(VALU_DEP_2)
	v_add_co_ci_u32_e64 v11, null, v7, v9, vcc_lo
	v_add_co_u32 v12, vcc_lo, v2, v8
	s_wait_alu 0xfffd
	v_add_co_ci_u32_e64 v13, null, v5, v9, vcc_lo
	global_load_b64 v[14:15], v[10:11], off offset:-8
	global_load_b128 v[8:11], v[12:13], off offset:-8
	s_wait_loadcnt 0x0
	v_add_f64_e64 v[10:11], v[10:11], -v[14:15]
	v_add_f64_e64 v[8:9], v[8:9], -v[14:15]
	s_wait_alu 0xfffe
	v_add_co_u32 v14, vcc_lo, v0, s0
	s_wait_alu 0xfffd
	v_add_co_ci_u32_e64 v15, null, s1, v1, vcc_lo
	v_add_co_u32 v0, vcc_lo, v0, 4
	s_wait_alu 0xfffd
	v_add_co_ci_u32_e64 v1, null, 0, v1, vcc_lo
	global_store_b32 v[14:15], v3, off
	global_store_b128 v[12:13], v[8:11], off offset:-8
	s_cbranch_scc1 .LBB35_9
.LBB35_10:
	s_endpgm
	.section	.rodata,"a",@progbits
	.p2align	6, 0x0
	.amdhsa_kernel _ZN9rocsolver6v33100L19stedc_divide_kernelIdEEviiiPT_lS3_liPi
		.amdhsa_group_segment_fixed_size 0
		.amdhsa_private_segment_fixed_size 0
		.amdhsa_kernarg_size 320
		.amdhsa_user_sgpr_count 2
		.amdhsa_user_sgpr_dispatch_ptr 0
		.amdhsa_user_sgpr_queue_ptr 0
		.amdhsa_user_sgpr_kernarg_segment_ptr 1
		.amdhsa_user_sgpr_dispatch_id 0
		.amdhsa_user_sgpr_private_segment_size 0
		.amdhsa_wavefront_size32 1
		.amdhsa_uses_dynamic_stack 0
		.amdhsa_enable_private_segment 0
		.amdhsa_system_sgpr_workgroup_id_x 1
		.amdhsa_system_sgpr_workgroup_id_y 0
		.amdhsa_system_sgpr_workgroup_id_z 0
		.amdhsa_system_sgpr_workgroup_info 0
		.amdhsa_system_vgpr_workitem_id 0
		.amdhsa_next_free_vgpr 16
		.amdhsa_next_free_sgpr 16
		.amdhsa_reserve_vcc 1
		.amdhsa_float_round_mode_32 0
		.amdhsa_float_round_mode_16_64 0
		.amdhsa_float_denorm_mode_32 3
		.amdhsa_float_denorm_mode_16_64 3
		.amdhsa_fp16_overflow 0
		.amdhsa_workgroup_processor_mode 1
		.amdhsa_memory_ordered 1
		.amdhsa_forward_progress 1
		.amdhsa_inst_pref_size 7
		.amdhsa_round_robin_scheduling 0
		.amdhsa_exception_fp_ieee_invalid_op 0
		.amdhsa_exception_fp_denorm_src 0
		.amdhsa_exception_fp_ieee_div_zero 0
		.amdhsa_exception_fp_ieee_overflow 0
		.amdhsa_exception_fp_ieee_underflow 0
		.amdhsa_exception_fp_ieee_inexact 0
		.amdhsa_exception_int_div_zero 0
	.end_amdhsa_kernel
	.section	.text._ZN9rocsolver6v33100L19stedc_divide_kernelIdEEviiiPT_lS3_liPi,"axG",@progbits,_ZN9rocsolver6v33100L19stedc_divide_kernelIdEEviiiPT_lS3_liPi,comdat
.Lfunc_end35:
	.size	_ZN9rocsolver6v33100L19stedc_divide_kernelIdEEviiiPT_lS3_liPi, .Lfunc_end35-_ZN9rocsolver6v33100L19stedc_divide_kernelIdEEviiiPT_lS3_liPi
                                        ; -- End function
	.set _ZN9rocsolver6v33100L19stedc_divide_kernelIdEEviiiPT_lS3_liPi.num_vgpr, 16
	.set _ZN9rocsolver6v33100L19stedc_divide_kernelIdEEviiiPT_lS3_liPi.num_agpr, 0
	.set _ZN9rocsolver6v33100L19stedc_divide_kernelIdEEviiiPT_lS3_liPi.numbered_sgpr, 16
	.set _ZN9rocsolver6v33100L19stedc_divide_kernelIdEEviiiPT_lS3_liPi.num_named_barrier, 0
	.set _ZN9rocsolver6v33100L19stedc_divide_kernelIdEEviiiPT_lS3_liPi.private_seg_size, 0
	.set _ZN9rocsolver6v33100L19stedc_divide_kernelIdEEviiiPT_lS3_liPi.uses_vcc, 1
	.set _ZN9rocsolver6v33100L19stedc_divide_kernelIdEEviiiPT_lS3_liPi.uses_flat_scratch, 0
	.set _ZN9rocsolver6v33100L19stedc_divide_kernelIdEEviiiPT_lS3_liPi.has_dyn_sized_stack, 0
	.set _ZN9rocsolver6v33100L19stedc_divide_kernelIdEEviiiPT_lS3_liPi.has_recursion, 0
	.set _ZN9rocsolver6v33100L19stedc_divide_kernelIdEEviiiPT_lS3_liPi.has_indirect_call, 0
	.section	.AMDGPU.csdata,"",@progbits
; Kernel info:
; codeLenInByte = 808
; TotalNumSgprs: 18
; NumVgprs: 16
; ScratchSize: 0
; MemoryBound: 0
; FloatMode: 240
; IeeeMode: 1
; LDSByteSize: 0 bytes/workgroup (compile time only)
; SGPRBlocks: 0
; VGPRBlocks: 1
; NumSGPRsForWavesPerEU: 18
; NumVGPRsForWavesPerEU: 16
; Occupancy: 16
; WaveLimiterHint : 1
; COMPUTE_PGM_RSRC2:SCRATCH_EN: 0
; COMPUTE_PGM_RSRC2:USER_SGPR: 2
; COMPUTE_PGM_RSRC2:TRAP_HANDLER: 0
; COMPUTE_PGM_RSRC2:TGID_X_EN: 1
; COMPUTE_PGM_RSRC2:TGID_Y_EN: 0
; COMPUTE_PGM_RSRC2:TGID_Z_EN: 0
; COMPUTE_PGM_RSRC2:TIDIG_COMP_CNT: 0
	.section	.text._ZN9rocsolver6v33100L18stedc_solve_kernelIdEEviiPT_lS3_lS3_iilPiS3_S4_S2_S2_S2_,"axG",@progbits,_ZN9rocsolver6v33100L18stedc_solve_kernelIdEEviiPT_lS3_lS3_iilPiS3_S4_S2_S2_S2_,comdat
	.globl	_ZN9rocsolver6v33100L18stedc_solve_kernelIdEEviiPT_lS3_lS3_iilPiS3_S4_S2_S2_S2_ ; -- Begin function _ZN9rocsolver6v33100L18stedc_solve_kernelIdEEviiPT_lS3_lS3_iilPiS3_S4_S2_S2_S2_
	.p2align	8
	.type	_ZN9rocsolver6v33100L18stedc_solve_kernelIdEEviiPT_lS3_lS3_iilPiS3_S4_S2_S2_S2_,@function
_ZN9rocsolver6v33100L18stedc_solve_kernelIdEEviiPT_lS3_lS3_iilPiS3_S4_S2_S2_S2_: ; @_ZN9rocsolver6v33100L18stedc_solve_kernelIdEEviiPT_lS3_lS3_iilPiS3_S4_S2_S2_S2_
; %bb.0:
	s_clause 0x1
	s_load_b32 s6, s[0:1], 0x4
	s_load_b256 s[12:19], s[0:1], 0x38
	s_mov_b32 s4, ttmp9
	s_ashr_i32 s5, ttmp9, 31
	v_mov_b32_e32 v1, 0
	s_lshl_b64 s[4:5], s[4:5], 2
	s_mov_b32 s2, ttmp7
	s_ashr_i32 s3, ttmp7, 31
	v_mov_b32_e32 v21, 0
	s_mov_b32 s32, 0
	s_wait_kmcnt 0x0
	s_mul_i32 s33, ttmp7, s6
	s_ashr_i32 s7, s6, 31
	s_mul_i32 s8, s33, 13
	s_lshl_b64 s[6:7], s[6:7], 2
	s_ashr_i32 s9, s8, 31
	s_mul_u64 s[12:13], s[12:13], s[2:3]
	s_lshl_b64 s[8:9], s[8:9], 2
	s_getpc_b64 s[10:11]
	s_sext_i32_i16 s11, s11
	s_add_co_u32 s10, s10, _ZN9rocsolver6v331009run_steqrIddEEviiiPT0_S3_PT_iPiS3_iS2_S2_S2_b@rel32@lo+8
	s_add_co_ci_u32 s11, s11, _ZN9rocsolver6v331009run_steqrIddEEviiiPT0_S3_PT_iPiS3_iS2_S2_S2_b@rel32@hi+16
	s_add_nc_u64 s[8:9], s[18:19], s[8:9]
	s_lshl_b64 s[34:35], s[2:3], 2
	s_add_nc_u64 s[6:7], s[8:9], s[6:7]
	s_lshl_b64 s[12:13], s[12:13], 3
	s_add_nc_u64 s[6:7], s[6:7], s[4:5]
	s_add_nc_u64 s[4:5], s[8:9], s[4:5]
	s_clause 0x1
	global_load_b32 v3, v1, s[6:7]
	global_load_b32 v2, v1, s[4:5]
	s_clause 0x4
	s_load_b32 s36, s[0:1], 0x7c
	s_load_b128 s[4:7], s[0:1], 0x28
	s_load_b256 s[20:27], s[0:1], 0x8
	s_load_b64 s[18:19], s[0:1], 0x68
	s_load_b128 s[28:31], s[0:1], 0x58
	s_add_nc_u64 s[8:9], s[0:1], 0x70
	s_add_nc_u64 s[14:15], s[14:15], s[34:35]
	s_delay_alu instid0(SALU_CYCLE_1)
	v_mov_b32_e32 v11, s15
	s_mov_b32 s15, 1
	s_wait_kmcnt 0x0
	s_and_b32 s36, s36, 0xffff
	s_ashr_i32 s1, s6, 31
	s_mul_u64 s[22:23], s[22:23], s[2:3]
	s_mul_u64 s[2:3], s[26:27], s[2:3]
	s_lshl_b64 s[22:23], s[22:23], 3
	s_mov_b32 s0, s6
	s_lshl_b64 s[2:3], s[2:3], 3
	s_add_nc_u64 s[4:5], s[4:5], s[12:13]
	s_add_nc_u64 s[12:13], s[20:21], s[22:23]
	s_lshl_b32 s26, s33, 1
	s_lshl_b64 s[0:1], s[0:1], 3
	s_add_nc_u64 s[2:3], s[24:25], s[2:3]
	s_ashr_i32 s27, s26, 31
	s_add_nc_u64 s[0:1], s[4:5], s[0:1]
	s_lshl_b64 s[20:21], s[26:27], 3
	v_mov_b32_e32 v15, s28
	s_add_nc_u64 s[4:5], s[16:17], s[20:21]
	v_dual_mov_b32 v16, s29 :: v_dual_mov_b32 v17, s30
	v_dual_mov_b32 v19, s18 :: v_dual_mov_b32 v18, s31
	v_mov_b32_e32 v20, s19
	s_wait_loadcnt 0x1
	v_ashrrev_i32_e32 v4, 31, v3
	v_mul_lo_u32 v7, v3, s7
	v_lshlrev_b32_e32 v5, 1, v3
	s_wait_loadcnt 0x0
	v_mul_lo_u32 v14, v2, 30
	v_lshlrev_b64_e32 v[9:10], 3, v[3:4]
	s_delay_alu instid0(VALU_DEP_3) | instskip(SKIP_1) | instid1(VALU_DEP_3)
	v_ashrrev_i32_e32 v6, 31, v5
	v_ashrrev_i32_e32 v8, 31, v7
	v_add_co_u32 v3, vcc_lo, s12, v9
	s_delay_alu instid0(VALU_DEP_3)
	v_lshlrev_b64_e32 v[12:13], 3, v[5:6]
	v_add_co_ci_u32_e64 v4, null, s13, v10, vcc_lo
	v_add_co_u32 v5, vcc_lo, s2, v9
	v_lshlrev_b64_e32 v[7:8], 3, v[7:8]
	s_wait_alu 0xfffd
	v_add_co_ci_u32_e64 v6, null, s3, v10, vcc_lo
	v_add_co_u32 v1, vcc_lo, s0, v9
	s_wait_alu 0xfffd
	v_add_co_ci_u32_e64 v9, null, s1, v10, vcc_lo
	v_add_co_u32 v12, vcc_lo, s4, v12
	;; [unrolled: 3-line block ×3, first 2 shown]
	s_wait_alu 0xfffd
	v_add_co_ci_u32_e64 v8, null, v9, v8, vcc_lo
	v_mov_b32_e32 v9, s7
	v_dual_mov_b32 v1, s36 :: v_dual_mov_b32 v10, s14
	s_wait_alu 0xfffe
	s_swappc_b64 s[30:31], s[10:11]
	s_endpgm
	.section	.rodata,"a",@progbits
	.p2align	6, 0x0
	.amdhsa_kernel _ZN9rocsolver6v33100L18stedc_solve_kernelIdEEviiPT_lS3_lS3_iilPiS3_S4_S2_S2_S2_
		.amdhsa_group_segment_fixed_size 48
		.amdhsa_private_segment_fixed_size 20
		.amdhsa_kernarg_size 368
		.amdhsa_user_sgpr_count 2
		.amdhsa_user_sgpr_dispatch_ptr 0
		.amdhsa_user_sgpr_queue_ptr 0
		.amdhsa_user_sgpr_kernarg_segment_ptr 1
		.amdhsa_user_sgpr_dispatch_id 0
		.amdhsa_user_sgpr_private_segment_size 0
		.amdhsa_wavefront_size32 1
		.amdhsa_uses_dynamic_stack 0
		.amdhsa_enable_private_segment 1
		.amdhsa_system_sgpr_workgroup_id_x 1
		.amdhsa_system_sgpr_workgroup_id_y 1
		.amdhsa_system_sgpr_workgroup_id_z 0
		.amdhsa_system_sgpr_workgroup_info 0
		.amdhsa_system_vgpr_workitem_id 0
		.amdhsa_next_free_vgpr 184
		.amdhsa_next_free_sgpr 37
		.amdhsa_reserve_vcc 1
		.amdhsa_float_round_mode_32 0
		.amdhsa_float_round_mode_16_64 0
		.amdhsa_float_denorm_mode_32 3
		.amdhsa_float_denorm_mode_16_64 3
		.amdhsa_fp16_overflow 0
		.amdhsa_workgroup_processor_mode 1
		.amdhsa_memory_ordered 1
		.amdhsa_forward_progress 1
		.amdhsa_inst_pref_size 4
		.amdhsa_round_robin_scheduling 0
		.amdhsa_exception_fp_ieee_invalid_op 0
		.amdhsa_exception_fp_denorm_src 0
		.amdhsa_exception_fp_ieee_div_zero 0
		.amdhsa_exception_fp_ieee_overflow 0
		.amdhsa_exception_fp_ieee_underflow 0
		.amdhsa_exception_fp_ieee_inexact 0
		.amdhsa_exception_int_div_zero 0
	.end_amdhsa_kernel
	.section	.text._ZN9rocsolver6v33100L18stedc_solve_kernelIdEEviiPT_lS3_lS3_iilPiS3_S4_S2_S2_S2_,"axG",@progbits,_ZN9rocsolver6v33100L18stedc_solve_kernelIdEEviiPT_lS3_lS3_iilPiS3_S4_S2_S2_S2_,comdat
.Lfunc_end36:
	.size	_ZN9rocsolver6v33100L18stedc_solve_kernelIdEEviiPT_lS3_lS3_iilPiS3_S4_S2_S2_S2_, .Lfunc_end36-_ZN9rocsolver6v33100L18stedc_solve_kernelIdEEviiPT_lS3_lS3_iilPiS3_S4_S2_S2_S2_
                                        ; -- End function
	.set _ZN9rocsolver6v33100L18stedc_solve_kernelIdEEviiPT_lS3_lS3_iilPiS3_S4_S2_S2_S2_.num_vgpr, max(22, .L_ZN9rocsolver6v331009run_steqrIddEEviiiPT0_S3_PT_iPiS3_iS2_S2_S2_b.num_vgpr)
	.set _ZN9rocsolver6v33100L18stedc_solve_kernelIdEEviiPT_lS3_lS3_iilPiS3_S4_S2_S2_S2_.num_agpr, max(0, .L_ZN9rocsolver6v331009run_steqrIddEEviiiPT0_S3_PT_iPiS3_iS2_S2_S2_b.num_agpr)
	.set _ZN9rocsolver6v33100L18stedc_solve_kernelIdEEviiPT_lS3_lS3_iilPiS3_S4_S2_S2_S2_.numbered_sgpr, max(37, .L_ZN9rocsolver6v331009run_steqrIddEEviiiPT0_S3_PT_iPiS3_iS2_S2_S2_b.numbered_sgpr)
	.set _ZN9rocsolver6v33100L18stedc_solve_kernelIdEEviiPT_lS3_lS3_iilPiS3_S4_S2_S2_S2_.num_named_barrier, max(0, .L_ZN9rocsolver6v331009run_steqrIddEEviiiPT0_S3_PT_iPiS3_iS2_S2_S2_b.num_named_barrier)
	.set _ZN9rocsolver6v33100L18stedc_solve_kernelIdEEviiPT_lS3_lS3_iilPiS3_S4_S2_S2_S2_.private_seg_size, 0+max(.L_ZN9rocsolver6v331009run_steqrIddEEviiiPT0_S3_PT_iPiS3_iS2_S2_S2_b.private_seg_size)
	.set _ZN9rocsolver6v33100L18stedc_solve_kernelIdEEviiPT_lS3_lS3_iilPiS3_S4_S2_S2_S2_.uses_vcc, or(1, .L_ZN9rocsolver6v331009run_steqrIddEEviiiPT0_S3_PT_iPiS3_iS2_S2_S2_b.uses_vcc)
	.set _ZN9rocsolver6v33100L18stedc_solve_kernelIdEEviiPT_lS3_lS3_iilPiS3_S4_S2_S2_S2_.uses_flat_scratch, or(0, .L_ZN9rocsolver6v331009run_steqrIddEEviiiPT0_S3_PT_iPiS3_iS2_S2_S2_b.uses_flat_scratch)
	.set _ZN9rocsolver6v33100L18stedc_solve_kernelIdEEviiPT_lS3_lS3_iilPiS3_S4_S2_S2_S2_.has_dyn_sized_stack, or(0, .L_ZN9rocsolver6v331009run_steqrIddEEviiiPT0_S3_PT_iPiS3_iS2_S2_S2_b.has_dyn_sized_stack)
	.set _ZN9rocsolver6v33100L18stedc_solve_kernelIdEEviiPT_lS3_lS3_iilPiS3_S4_S2_S2_S2_.has_recursion, or(0, .L_ZN9rocsolver6v331009run_steqrIddEEviiiPT0_S3_PT_iPiS3_iS2_S2_S2_b.has_recursion)
	.set _ZN9rocsolver6v33100L18stedc_solve_kernelIdEEviiPT_lS3_lS3_iilPiS3_S4_S2_S2_S2_.has_indirect_call, or(0, .L_ZN9rocsolver6v331009run_steqrIddEEviiiPT0_S3_PT_iPiS3_iS2_S2_S2_b.has_indirect_call)
	.section	.AMDGPU.csdata,"",@progbits
; Kernel info:
; codeLenInByte = 504
; TotalNumSgprs: 39
; NumVgprs: 184
; ScratchSize: 20
; MemoryBound: 0
; FloatMode: 240
; IeeeMode: 1
; LDSByteSize: 48 bytes/workgroup (compile time only)
; SGPRBlocks: 0
; VGPRBlocks: 22
; NumSGPRsForWavesPerEU: 39
; NumVGPRsForWavesPerEU: 184
; Occupancy: 8
; WaveLimiterHint : 0
; COMPUTE_PGM_RSRC2:SCRATCH_EN: 1
; COMPUTE_PGM_RSRC2:USER_SGPR: 2
; COMPUTE_PGM_RSRC2:TRAP_HANDLER: 0
; COMPUTE_PGM_RSRC2:TGID_X_EN: 1
; COMPUTE_PGM_RSRC2:TGID_Y_EN: 1
; COMPUTE_PGM_RSRC2:TGID_Z_EN: 0
; COMPUTE_PGM_RSRC2:TIDIG_COMP_CNT: 0
	.section	.text._ZN9rocsolver6v33100L37stedc_mergePrepare_DeflateZero_kernelIdEEviiPT_lS3_lS3_iilS3_PiS2_,"axG",@progbits,_ZN9rocsolver6v33100L37stedc_mergePrepare_DeflateZero_kernelIdEEviiPT_lS3_lS3_iilS3_PiS2_,comdat
	.globl	_ZN9rocsolver6v33100L37stedc_mergePrepare_DeflateZero_kernelIdEEviiPT_lS3_lS3_iilS3_PiS2_ ; -- Begin function _ZN9rocsolver6v33100L37stedc_mergePrepare_DeflateZero_kernelIdEEviiPT_lS3_lS3_iilS3_PiS2_
	.p2align	8
	.type	_ZN9rocsolver6v33100L37stedc_mergePrepare_DeflateZero_kernelIdEEviiPT_lS3_lS3_iilS3_PiS2_,@function
_ZN9rocsolver6v33100L37stedc_mergePrepare_DeflateZero_kernelIdEEviiPT_lS3_lS3_iilS3_PiS2_: ; @_ZN9rocsolver6v33100L37stedc_mergePrepare_DeflateZero_kernelIdEEviiPT_lS3_lS3_iilS3_PiS2_
; %bb.0:
	s_clause 0x1
	s_load_b32 s24, s[0:1], 0x4
	s_load_b256 s[8:15], s[0:1], 0x38
	s_movk_i32 s2, 0xffe8
	s_mov_b32 s3, -1
	s_lshl_b32 s4, ttmp9, 1
	s_mov_b32 s26, ttmp7
	s_ashr_i32 s5, s4, 31
	s_ashr_i32 s27, ttmp7, 31
	s_lshl_b64 s[4:5], s[4:5], 2
	s_wait_kmcnt 0x0
	s_mul_i32 s30, s24, ttmp7
	s_lshl_b32 s6, s24, 3
	s_mul_i32 s16, s30, 13
	s_ashr_i32 s7, s6, 31
	s_ashr_i32 s17, s16, 31
	;; [unrolled: 1-line block ×3, first 2 shown]
	s_lshl_b64 s[16:17], s[16:17], 2
	s_lshl_b64 s[6:7], s[6:7], 2
	s_add_nc_u64 s[12:13], s[12:13], s[16:17]
	s_mul_u64 s[2:3], s[24:25], s[2:3]
	s_add_nc_u64 s[6:7], s[12:13], s[6:7]
	s_lshl_b64 s[12:13], s[24:25], 2
	s_add_nc_u64 s[2:3], s[6:7], s[2:3]
	s_load_b256 s[16:23], s[0:1], 0x8
	s_add_nc_u64 s[12:13], s[2:3], s[12:13]
	s_add_nc_u64 s[2:3], s[2:3], s[4:5]
	;; [unrolled: 1-line block ×3, first 2 shown]
	s_mul_i32 s4, s24, 9
	s_load_b64 s[12:13], s[12:13], 0x0
	s_ashr_i32 s5, s4, 31
	s_delay_alu instid0(SALU_CYCLE_1) | instskip(SKIP_2) | instid1(SALU_CYCLE_1)
	s_lshl_b64 s[4:5], s[4:5], 3
	s_wait_kmcnt 0x0
	s_mul_u64 s[22:23], s[22:23], s[26:27]
	s_lshl_b64 s[28:29], s[22:23], 3
	s_delay_alu instid0(SALU_CYCLE_1) | instskip(SKIP_2) | instid1(SALU_CYCLE_1)
	s_add_nc_u64 s[20:21], s[20:21], s[28:29]
	s_ashr_i32 s23, s13, 31
	s_mov_b32 s22, s13
	s_lshl_b64 s[28:29], s[22:23], 3
	s_delay_alu instid0(SALU_CYCLE_1) | instskip(NEXT) | instid1(SALU_CYCLE_1)
	s_add_nc_u64 s[20:21], s[20:21], s[28:29]
	s_add_nc_u64 s[20:21], s[20:21], -8
	s_load_b64 s[20:21], s[20:21], 0x0
	s_load_b64 s[28:29], s[2:3], 0x0
	;; [unrolled: 1-line block ×3, first 2 shown]
	s_mul_i32 s2, s30, 10
	s_delay_alu instid0(SALU_CYCLE_1) | instskip(NEXT) | instid1(SALU_CYCLE_1)
	s_ashr_i32 s3, s2, 31
	s_lshl_b64 s[2:3], s[2:3], 3
	s_delay_alu instid0(SALU_CYCLE_1)
	s_add_nc_u64 s[10:11], s[10:11], s[2:3]
	s_wait_kmcnt 0x0
	s_add_co_i32 s13, s29, s28
	v_add_f64_e64 v[1:2], s[20:21], s[20:21]
	v_cmp_le_i32_e64 s3, s13, v0
	v_cmp_gt_i32_e64 s2, s13, v0
	s_add_nc_u64 s[20:21], s[10:11], s[4:5]
	s_and_saveexec_b32 s5, s2
	s_cbranch_execz .LBB37_3
; %bb.1:
	s_load_b32 s4, s[0:1], 0x64
	v_mov_b32_e32 v3, v0
	s_mov_b32 s31, 0
	s_wait_kmcnt 0x0
	s_and_b32 s30, s4, 0xffff
.LBB37_2:                               ; =>This Inner Loop Header: Depth=1
	s_delay_alu instid0(VALU_DEP_1) | instskip(SKIP_1) | instid1(VALU_DEP_2)
	v_add_nc_u32_e32 v4, s12, v3
	v_add_nc_u32_e32 v3, s30, v3
	v_ashrrev_i32_e32 v5, 31, v4
	s_delay_alu instid0(VALU_DEP_2) | instskip(NEXT) | instid1(VALU_DEP_2)
	v_cmp_le_i32_e32 vcc_lo, s13, v3
	v_lshlrev_b64_e32 v[4:5], 3, v[4:5]
	s_or_b32 s31, vcc_lo, s31
	s_delay_alu instid0(VALU_DEP_1) | instskip(SKIP_1) | instid1(VALU_DEP_2)
	v_add_co_u32 v4, s4, s20, v4
	s_wait_alu 0xf1ff
	v_add_co_ci_u32_e64 v5, null, s21, v5, s4
	global_store_b64 v[4:5], v[1:2], off
	s_wait_alu 0xfffe
	s_and_not1_b32 exec_lo, exec_lo, s31
	s_cbranch_execnz .LBB37_2
.LBB37_3:
	s_or_b32 exec_lo, exec_lo, s5
	s_load_b64 s[30:31], s[0:1], 0x30
	s_mul_u64 s[4:5], s[8:9], s[26:27]
	v_mov_b32_e32 v3, 0
	s_wait_alu 0xfffe
	s_lshl_b64 s[4:5], s[4:5], 3
	v_mov_b32_e32 v4, 0
	s_wait_alu 0xfffe
	s_add_nc_u64 s[4:5], s[34:35], s[4:5]
	s_wait_kmcnt 0x0
	s_ashr_i32 s9, s30, 31
	s_mov_b32 s8, s30
	s_mov_b32 s30, exec_lo
	s_lshl_b64 s[8:9], s[8:9], 3
	s_wait_alu 0xfffe
	s_add_nc_u64 s[8:9], s[4:5], s[8:9]
	v_cmpx_gt_i32_e64 s28, v0
	s_cbranch_execz .LBB37_7
; %bb.4:
	s_load_b32 s4, s[0:1], 0x64
	v_add_nc_u32_e32 v5, s12, v0
	v_dual_mov_b32 v3, 0 :: v_dual_mov_b32 v6, v0
	v_mov_b32_e32 v4, 0
	s_mov_b32 s34, 0x667f3bcd
	s_delay_alu instid0(VALU_DEP_3) | instskip(SKIP_4) | instid1(SALU_CYCLE_1)
	v_mul_lo_u32 v5, s31, v5
	s_mov_b32 s33, 0
	s_mov_b32 s35, 0x3ff6a09e
	s_wait_kmcnt 0x0
	s_and_b32 s36, s4, 0xffff
	s_mul_i32 s37, s31, s36
.LBB37_5:                               ; =>This Inner Loop Header: Depth=1
	s_delay_alu instid0(VALU_DEP_1) | instskip(SKIP_3) | instid1(VALU_DEP_3)
	v_ashrrev_i32_e32 v8, 31, v5
	v_add_co_u32 v7, vcc_lo, v5, s22
	v_add_nc_u32_e32 v5, s37, v5
	s_wait_alu 0xfffd
	v_add_co_ci_u32_e64 v8, null, s23, v8, vcc_lo
	s_delay_alu instid0(VALU_DEP_1) | instskip(NEXT) | instid1(VALU_DEP_1)
	v_lshlrev_b64_e32 v[7:8], 3, v[7:8]
	v_add_co_u32 v7, vcc_lo, s8, v7
	s_wait_alu 0xfffd
	s_delay_alu instid0(VALU_DEP_2) | instskip(SKIP_4) | instid1(VALU_DEP_2)
	v_add_co_ci_u32_e64 v8, null, s9, v8, vcc_lo
	global_load_b64 v[7:8], v[7:8], off offset:-8
	s_wait_loadcnt 0x0
	v_div_scale_f64 v[9:10], null, s[34:35], s[34:35], v[7:8]
	v_div_scale_f64 v[15:16], vcc_lo, v[7:8], s[34:35], v[7:8]
	v_rcp_f64_e32 v[11:12], v[9:10]
	s_delay_alu instid0(TRANS32_DEP_1) | instskip(NEXT) | instid1(VALU_DEP_1)
	v_fma_f64 v[13:14], -v[9:10], v[11:12], 1.0
	v_fma_f64 v[11:12], v[11:12], v[13:14], v[11:12]
	s_delay_alu instid0(VALU_DEP_1) | instskip(NEXT) | instid1(VALU_DEP_1)
	v_fma_f64 v[13:14], -v[9:10], v[11:12], 1.0
	v_fma_f64 v[11:12], v[11:12], v[13:14], v[11:12]
	s_delay_alu instid0(VALU_DEP_1) | instskip(NEXT) | instid1(VALU_DEP_1)
	v_mul_f64_e32 v[13:14], v[15:16], v[11:12]
	v_fma_f64 v[9:10], -v[9:10], v[13:14], v[15:16]
	s_wait_alu 0xfffd
	s_delay_alu instid0(VALU_DEP_1) | instskip(NEXT) | instid1(VALU_DEP_1)
	v_div_fmas_f64 v[9:10], v[9:10], v[11:12], v[13:14]
	v_div_fixup_f64 v[7:8], v[9:10], s[34:35], v[7:8]
	s_delay_alu instid0(VALU_DEP_1) | instskip(SKIP_4) | instid1(VALU_DEP_3)
	v_cmp_lt_f64_e64 vcc_lo, v[3:4], |v[7:8]|
	v_and_b32_e32 v11, 0x7fffffff, v8
	v_add_nc_u32_e32 v9, s12, v6
	s_wait_alu 0xfffd
	v_dual_cndmask_b32 v3, v3, v7 :: v_dual_add_nc_u32 v6, s36, v6
	v_cndmask_b32_e32 v4, v4, v11, vcc_lo
	s_delay_alu instid0(VALU_DEP_3) | instskip(NEXT) | instid1(VALU_DEP_3)
	v_ashrrev_i32_e32 v10, 31, v9
	v_cmp_le_i32_e64 s4, s28, v6
	s_delay_alu instid0(VALU_DEP_2) | instskip(SKIP_1) | instid1(VALU_DEP_1)
	v_lshlrev_b64_e32 v[9:10], 3, v[9:10]
	s_or_b32 s33, s4, s33
	v_add_co_u32 v9, s5, s10, v9
	s_wait_alu 0xf1ff
	s_delay_alu instid0(VALU_DEP_2)
	v_add_co_ci_u32_e64 v10, null, s11, v10, s5
	global_store_b64 v[9:10], v[7:8], off
	s_and_not1_b32 exec_lo, exec_lo, s33
	s_cbranch_execnz .LBB37_5
; %bb.6:
	s_or_b32 exec_lo, exec_lo, s33
.LBB37_7:
	s_delay_alu instid0(SALU_CYCLE_1)
	s_or_b32 exec_lo, exec_lo, s30
	s_add_nc_u64 s[4:5], s[0:1], 0x58
	s_mov_b32 s23, exec_lo
	v_cmpx_le_i32_e64 s29, v0
	s_wait_alu 0xfffe
	s_xor_b32 s23, exec_lo, s23
	s_wait_alu 0xfffe
	s_or_saveexec_b32 s23, s23
	v_dual_mov_b32 v8, s5 :: v_dual_mov_b32 v7, s4
	s_wait_alu 0xfffe
	s_xor_b32 exec_lo, exec_lo, s23
	s_cbranch_execz .LBB37_11
; %bb.8:
	s_load_b32 s0, s[0:1], 0x64
	v_dual_mov_b32 v6, v0 :: v_dual_add_nc_u32 v5, s22, v0
	s_mov_b32 s34, 0x667f3bcd
	s_mov_b32 s28, 0
	;; [unrolled: 1-line block ×3, first 2 shown]
	s_delay_alu instid0(VALU_DEP_1)
	v_mul_lo_u32 v5, s31, v5
	s_wait_kmcnt 0x0
	s_and_b32 s30, s0, 0xffff
	s_wait_alu 0xfffe
	s_mul_i32 s31, s31, s30
.LBB37_9:                               ; =>This Inner Loop Header: Depth=1
	s_delay_alu instid0(VALU_DEP_1) | instskip(SKIP_2) | instid1(VALU_DEP_2)
	v_add_nc_u32_e32 v7, s22, v5
	s_wait_alu 0xfffe
	v_add_nc_u32_e32 v5, s31, v5
	v_ashrrev_i32_e32 v8, 31, v7
	s_delay_alu instid0(VALU_DEP_1) | instskip(NEXT) | instid1(VALU_DEP_1)
	v_lshlrev_b64_e32 v[7:8], 3, v[7:8]
	v_add_co_u32 v7, vcc_lo, s8, v7
	s_wait_alu 0xfffd
	s_delay_alu instid0(VALU_DEP_2) | instskip(SKIP_4) | instid1(VALU_DEP_2)
	v_add_co_ci_u32_e64 v8, null, s9, v8, vcc_lo
	global_load_b64 v[7:8], v[7:8], off
	s_wait_loadcnt 0x0
	v_div_scale_f64 v[9:10], null, s[34:35], s[34:35], v[7:8]
	v_div_scale_f64 v[15:16], vcc_lo, v[7:8], s[34:35], v[7:8]
	v_rcp_f64_e32 v[11:12], v[9:10]
	s_delay_alu instid0(TRANS32_DEP_1) | instskip(NEXT) | instid1(VALU_DEP_1)
	v_fma_f64 v[13:14], -v[9:10], v[11:12], 1.0
	v_fma_f64 v[11:12], v[11:12], v[13:14], v[11:12]
	s_delay_alu instid0(VALU_DEP_1) | instskip(NEXT) | instid1(VALU_DEP_1)
	v_fma_f64 v[13:14], -v[9:10], v[11:12], 1.0
	v_fma_f64 v[11:12], v[11:12], v[13:14], v[11:12]
	s_delay_alu instid0(VALU_DEP_1) | instskip(NEXT) | instid1(VALU_DEP_1)
	v_mul_f64_e32 v[13:14], v[15:16], v[11:12]
	v_fma_f64 v[9:10], -v[9:10], v[13:14], v[15:16]
	s_wait_alu 0xfffd
	s_delay_alu instid0(VALU_DEP_1) | instskip(NEXT) | instid1(VALU_DEP_1)
	v_div_fmas_f64 v[9:10], v[9:10], v[11:12], v[13:14]
	v_div_fixup_f64 v[7:8], v[9:10], s[34:35], v[7:8]
	v_add_nc_u32_e32 v9, s22, v6
	s_delay_alu instid0(VALU_DEP_1) | instskip(NEXT) | instid1(VALU_DEP_1)
	v_ashrrev_i32_e32 v10, 31, v9
	v_lshlrev_b64_e32 v[9:10], 3, v[9:10]
	s_delay_alu instid0(VALU_DEP_1) | instskip(SKIP_1) | instid1(VALU_DEP_2)
	v_add_co_u32 v9, s1, s10, v9
	s_wait_alu 0xf1ff
	v_add_co_ci_u32_e64 v10, null, s11, v10, s1
	v_cmp_lt_f64_e64 vcc_lo, v[3:4], |v[7:8]|
	v_add_nc_u32_e32 v6, s30, v6
	v_and_b32_e32 v11, 0x7fffffff, v8
	global_store_b64 v[9:10], v[7:8], off
	s_wait_alu 0xfffd
	v_cndmask_b32_e32 v3, v3, v7, vcc_lo
	v_cmp_le_i32_e64 s0, s29, v6
	v_cndmask_b32_e32 v4, v4, v11, vcc_lo
	s_or_b32 s28, s0, s28
	s_wait_alu 0xfffe
	s_and_not1_b32 exec_lo, exec_lo, s28
	s_cbranch_execnz .LBB37_9
; %bb.10:
	s_or_b32 exec_lo, exec_lo, s28
	v_dual_mov_b32 v8, s5 :: v_dual_mov_b32 v7, s4
.LBB37_11:
	s_or_b32 exec_lo, exec_lo, s23
                                        ; implicit-def: $vgpr10
                                        ; implicit-def: $vgpr9
	s_and_saveexec_b32 s0, s3
	s_wait_alu 0xfffe
	s_xor_b32 s0, exec_lo, s0
	s_cbranch_execz .LBB37_13
; %bb.12:
	global_load_u16 v10, v[7:8], off offset:12
                                        ; implicit-def: $vgpr7_vgpr8
	s_wait_loadcnt 0x0
	v_and_b32_e32 v9, 0xffff, v10
.LBB37_13:
	s_wait_alu 0xfffe
	s_or_saveexec_b32 s1, s0
	v_mov_b32_e32 v5, 0
	v_mov_b32_e32 v6, 0
	s_wait_alu 0xfffe
	s_xor_b32 exec_lo, exec_lo, s1
	s_cbranch_execz .LBB37_17
; %bb.14:
	global_load_u16 v10, v[7:8], off offset:12
	s_mul_u64 s[4:5], s[18:19], s[26:27]
	v_mov_b32_e32 v5, 0
	v_dual_mov_b32 v6, 0 :: v_dual_mov_b32 v7, v0
	s_wait_alu 0xfffe
	s_lshl_b64 s[4:5], s[4:5], 3
	s_mov_b32 s3, 0
	s_wait_alu 0xfffe
	s_add_nc_u64 s[4:5], s[16:17], s[4:5]
	s_wait_loadcnt 0x0
	v_and_b32_e32 v9, 0xffff, v10
.LBB37_15:                              ; =>This Inner Loop Header: Depth=1
	v_add_nc_u32_e32 v11, s12, v7
	s_delay_alu instid0(VALU_DEP_2) | instskip(NEXT) | instid1(VALU_DEP_2)
	v_add_nc_u32_e32 v7, v7, v9
	v_ashrrev_i32_e32 v12, 31, v11
	s_delay_alu instid0(VALU_DEP_2) | instskip(NEXT) | instid1(VALU_DEP_2)
	v_cmp_le_i32_e64 s0, s13, v7
	v_lshlrev_b64_e32 v[11:12], 3, v[11:12]
	s_or_b32 s3, s0, s3
	s_wait_alu 0xfffe
	s_delay_alu instid0(VALU_DEP_1) | instskip(SKIP_1) | instid1(VALU_DEP_2)
	v_add_co_u32 v11, vcc_lo, s4, v11
	s_wait_alu 0xfffd
	v_add_co_ci_u32_e64 v12, null, s5, v12, vcc_lo
	global_load_b64 v[11:12], v[11:12], off
	s_wait_loadcnt 0x0
	v_cmp_lt_f64_e64 vcc_lo, v[5:6], |v[11:12]|
	s_wait_alu 0xfffd
	v_dual_cndmask_b32 v5, v5, v11 :: v_dual_and_b32 v8, 0x7fffffff, v12
	s_delay_alu instid0(VALU_DEP_1)
	v_cndmask_b32_e32 v6, v6, v8, vcc_lo
	s_and_not1_b32 exec_lo, exec_lo, s3
	s_cbranch_execnz .LBB37_15
; %bb.16:
	s_or_b32 exec_lo, exec_lo, s3
.LBB37_17:
	s_delay_alu instid0(SALU_CYCLE_1)
	s_or_b32 exec_lo, exec_lo, s1
	v_lshlrev_b32_e32 v7, 3, v0
	s_mov_b32 s1, exec_lo
	ds_store_2addr_stride64_b64 v7, v[5:6], v[3:4] offset1:8
	s_wait_storecnt_dscnt 0x0
	s_barrier_signal -1
	s_barrier_wait -1
	global_inv scope:SCOPE_SE
	v_cmpx_lt_u16_e32 1, v10
	s_cbranch_execz .LBB37_22
; %bb.18:
	v_or_b32_e32 v8, 0x1000, v7
	v_mov_b32_e32 v10, v9
	s_mov_b32 s3, 0
	s_branch .LBB37_20
.LBB37_19:                              ;   in Loop: Header=BB37_20 Depth=1
	s_wait_alu 0xfffe
	s_or_b32 exec_lo, exec_lo, s4
	v_cmp_gt_u32_e32 vcc_lo, 4, v10
	v_mov_b32_e32 v10, v11
	s_wait_loadcnt_dscnt 0x0
	s_barrier_signal -1
	s_barrier_wait -1
	s_or_b32 s3, vcc_lo, s3
	global_inv scope:SCOPE_SE
	s_and_not1_b32 exec_lo, exec_lo, s3
	s_cbranch_execz .LBB37_22
.LBB37_20:                              ; =>This Inner Loop Header: Depth=1
	s_delay_alu instid0(VALU_DEP_1) | instskip(SKIP_1) | instid1(VALU_DEP_1)
	v_lshrrev_b32_e32 v11, 1, v10
	s_mov_b32 s4, exec_lo
	v_cmpx_lt_u32_e64 v0, v11
	s_cbranch_execz .LBB37_19
; %bb.21:                               ;   in Loop: Header=BB37_20 Depth=1
	v_lshlrev_b32_e32 v12, 3, v11
	s_delay_alu instid0(VALU_DEP_1)
	v_add_nc_u32_e32 v13, v7, v12
	v_add_nc_u32_e32 v14, v8, v12
	ds_load_b64 v[12:13], v13
	ds_load_b64 v[14:15], v14
	s_wait_dscnt 0x1
	v_cmp_lt_f64_e32 vcc_lo, v[5:6], v[12:13]
	s_wait_dscnt 0x0
	v_cmp_lt_f64_e64 s0, v[3:4], v[14:15]
	s_wait_alu 0xfffd
	v_dual_cndmask_b32 v6, v6, v13 :: v_dual_cndmask_b32 v5, v5, v12
	s_wait_alu 0xf1ff
	s_delay_alu instid0(VALU_DEP_2)
	v_cndmask_b32_e64 v4, v4, v15, s0
	v_cndmask_b32_e64 v3, v3, v14, s0
	ds_store_b64 v7, v[5:6]
	ds_store_b64 v8, v[3:4]
	s_branch .LBB37_19
.LBB37_22:
	s_wait_alu 0xfffe
	s_or_b32 exec_lo, exec_lo, s1
	s_and_saveexec_b32 s0, s2
	s_cbranch_execz .LBB37_27
; %bb.23:
	v_mov_b32_e32 v3, 0
	v_ldexp_f64 v[7:8], s[14:15], 3
	s_movk_i32 s0, 0xffd8
	s_mov_b32 s1, -1
	s_wait_alu 0xfffe
	s_mul_u64 s[0:1], s[24:25], s[0:1]
	ds_load_2addr_stride64_b64 v[3:6], v3 offset1:8
	s_wait_alu 0xfffe
	s_add_nc_u64 s[2:3], s[20:21], s[0:1]
	s_lshl_b64 s[0:1], s[24:25], 3
	s_wait_alu 0xfffe
	s_add_nc_u64 s[4:5], s[2:3], s[0:1]
	s_mov_b32 s1, 0
	s_wait_dscnt 0x0
	v_cmp_lt_f64_e32 vcc_lo, v[3:4], v[5:6]
	s_wait_alu 0xfffd
	v_dual_cndmask_b32 v4, v4, v6 :: v_dual_cndmask_b32 v3, v3, v5
	v_mov_b32_e32 v5, v0
	s_delay_alu instid0(VALU_DEP_2)
	v_mul_f64_e32 v[3:4], v[7:8], v[3:4]
.LBB37_24:                              ; =>This Inner Loop Header: Depth=1
	s_delay_alu instid0(VALU_DEP_2) | instskip(SKIP_1) | instid1(VALU_DEP_2)
	v_add_nc_u32_e32 v6, s12, v5
	v_add_nc_u32_e32 v5, v5, v9
	v_ashrrev_i32_e32 v7, 31, v6
	s_delay_alu instid0(VALU_DEP_2) | instskip(NEXT) | instid1(VALU_DEP_2)
	v_cmp_le_i32_e32 vcc_lo, s13, v5
	v_lshlrev_b64_e32 v[6:7], 3, v[6:7]
	s_wait_alu 0xfffe
	s_or_b32 s1, vcc_lo, s1
	s_delay_alu instid0(VALU_DEP_1) | instskip(SKIP_1) | instid1(VALU_DEP_2)
	v_add_co_u32 v10, s0, s2, v6
	s_wait_alu 0xf1ff
	v_add_co_ci_u32_e64 v11, null, s3, v7, s0
	v_add_co_u32 v6, s0, s4, v6
	s_wait_alu 0xf1ff
	v_add_co_ci_u32_e64 v7, null, s5, v7, s0
	s_clause 0x1
	global_store_b64 v[10:11], v[3:4], off
	global_store_b64 v[6:7], v[3:4], off
	s_wait_alu 0xfffe
	s_and_not1_b32 exec_lo, exec_lo, s1
	s_cbranch_execnz .LBB37_24
; %bb.25:
	s_or_b32 exec_lo, exec_lo, s1
	s_mov_b32 s1, 0
.LBB37_26:                              ; =>This Inner Loop Header: Depth=1
	v_add_nc_u32_e32 v5, s12, v0
	v_add_nc_u32_e32 v0, v0, v9
	s_delay_alu instid0(VALU_DEP_2) | instskip(NEXT) | instid1(VALU_DEP_1)
	v_ashrrev_i32_e32 v6, 31, v5
	v_lshlrev_b64_e32 v[7:8], 3, v[5:6]
	v_lshlrev_b64_e32 v[5:6], 2, v[5:6]
	s_delay_alu instid0(VALU_DEP_2) | instskip(SKIP_1) | instid1(VALU_DEP_3)
	v_add_co_u32 v7, vcc_lo, s10, v7
	s_wait_alu 0xfffd
	v_add_co_ci_u32_e64 v8, null, s11, v8, vcc_lo
	s_delay_alu instid0(VALU_DEP_3)
	v_add_co_u32 v5, s0, s6, v5
	s_wait_alu 0xf1ff
	v_add_co_ci_u32_e64 v6, null, s7, v6, s0
	global_load_b64 v[7:8], v[7:8], off
	v_cmp_le_i32_e32 vcc_lo, s13, v0
	s_wait_alu 0xfffe
	s_or_b32 s1, vcc_lo, s1
	s_wait_loadcnt 0x0
	v_mul_f64_e32 v[7:8], v[1:2], v[7:8]
	s_delay_alu instid0(VALU_DEP_1) | instskip(SKIP_1) | instid1(VALU_DEP_1)
	v_cmp_nle_f64_e64 s0, |v[7:8]|, v[3:4]
	s_wait_alu 0xf1ff
	v_cndmask_b32_e64 v7, 0, 1, s0
	global_store_b32 v[5:6], v7, off
	s_wait_alu 0xfffe
	s_and_not1_b32 exec_lo, exec_lo, s1
	s_cbranch_execnz .LBB37_26
.LBB37_27:
	s_endpgm
	.section	.rodata,"a",@progbits
	.p2align	6, 0x0
	.amdhsa_kernel _ZN9rocsolver6v33100L37stedc_mergePrepare_DeflateZero_kernelIdEEviiPT_lS3_lS3_iilS3_PiS2_
		.amdhsa_group_segment_fixed_size 8192
		.amdhsa_private_segment_fixed_size 0
		.amdhsa_kernarg_size 344
		.amdhsa_user_sgpr_count 2
		.amdhsa_user_sgpr_dispatch_ptr 0
		.amdhsa_user_sgpr_queue_ptr 0
		.amdhsa_user_sgpr_kernarg_segment_ptr 1
		.amdhsa_user_sgpr_dispatch_id 0
		.amdhsa_user_sgpr_private_segment_size 0
		.amdhsa_wavefront_size32 1
		.amdhsa_uses_dynamic_stack 0
		.amdhsa_enable_private_segment 0
		.amdhsa_system_sgpr_workgroup_id_x 1
		.amdhsa_system_sgpr_workgroup_id_y 1
		.amdhsa_system_sgpr_workgroup_id_z 0
		.amdhsa_system_sgpr_workgroup_info 0
		.amdhsa_system_vgpr_workitem_id 0
		.amdhsa_next_free_vgpr 17
		.amdhsa_next_free_sgpr 38
		.amdhsa_reserve_vcc 1
		.amdhsa_float_round_mode_32 0
		.amdhsa_float_round_mode_16_64 0
		.amdhsa_float_denorm_mode_32 3
		.amdhsa_float_denorm_mode_16_64 3
		.amdhsa_fp16_overflow 0
		.amdhsa_workgroup_processor_mode 1
		.amdhsa_memory_ordered 1
		.amdhsa_forward_progress 1
		.amdhsa_inst_pref_size 17
		.amdhsa_round_robin_scheduling 0
		.amdhsa_exception_fp_ieee_invalid_op 0
		.amdhsa_exception_fp_denorm_src 0
		.amdhsa_exception_fp_ieee_div_zero 0
		.amdhsa_exception_fp_ieee_overflow 0
		.amdhsa_exception_fp_ieee_underflow 0
		.amdhsa_exception_fp_ieee_inexact 0
		.amdhsa_exception_int_div_zero 0
	.end_amdhsa_kernel
	.section	.text._ZN9rocsolver6v33100L37stedc_mergePrepare_DeflateZero_kernelIdEEviiPT_lS3_lS3_iilS3_PiS2_,"axG",@progbits,_ZN9rocsolver6v33100L37stedc_mergePrepare_DeflateZero_kernelIdEEviiPT_lS3_lS3_iilS3_PiS2_,comdat
.Lfunc_end37:
	.size	_ZN9rocsolver6v33100L37stedc_mergePrepare_DeflateZero_kernelIdEEviiPT_lS3_lS3_iilS3_PiS2_, .Lfunc_end37-_ZN9rocsolver6v33100L37stedc_mergePrepare_DeflateZero_kernelIdEEviiPT_lS3_lS3_iilS3_PiS2_
                                        ; -- End function
	.set _ZN9rocsolver6v33100L37stedc_mergePrepare_DeflateZero_kernelIdEEviiPT_lS3_lS3_iilS3_PiS2_.num_vgpr, 17
	.set _ZN9rocsolver6v33100L37stedc_mergePrepare_DeflateZero_kernelIdEEviiPT_lS3_lS3_iilS3_PiS2_.num_agpr, 0
	.set _ZN9rocsolver6v33100L37stedc_mergePrepare_DeflateZero_kernelIdEEviiPT_lS3_lS3_iilS3_PiS2_.numbered_sgpr, 38
	.set _ZN9rocsolver6v33100L37stedc_mergePrepare_DeflateZero_kernelIdEEviiPT_lS3_lS3_iilS3_PiS2_.num_named_barrier, 0
	.set _ZN9rocsolver6v33100L37stedc_mergePrepare_DeflateZero_kernelIdEEviiPT_lS3_lS3_iilS3_PiS2_.private_seg_size, 0
	.set _ZN9rocsolver6v33100L37stedc_mergePrepare_DeflateZero_kernelIdEEviiPT_lS3_lS3_iilS3_PiS2_.uses_vcc, 1
	.set _ZN9rocsolver6v33100L37stedc_mergePrepare_DeflateZero_kernelIdEEviiPT_lS3_lS3_iilS3_PiS2_.uses_flat_scratch, 0
	.set _ZN9rocsolver6v33100L37stedc_mergePrepare_DeflateZero_kernelIdEEviiPT_lS3_lS3_iilS3_PiS2_.has_dyn_sized_stack, 0
	.set _ZN9rocsolver6v33100L37stedc_mergePrepare_DeflateZero_kernelIdEEviiPT_lS3_lS3_iilS3_PiS2_.has_recursion, 0
	.set _ZN9rocsolver6v33100L37stedc_mergePrepare_DeflateZero_kernelIdEEviiPT_lS3_lS3_iilS3_PiS2_.has_indirect_call, 0
	.section	.AMDGPU.csdata,"",@progbits
; Kernel info:
; codeLenInByte = 2168
; TotalNumSgprs: 40
; NumVgprs: 17
; ScratchSize: 0
; MemoryBound: 0
; FloatMode: 240
; IeeeMode: 1
; LDSByteSize: 8192 bytes/workgroup (compile time only)
; SGPRBlocks: 0
; VGPRBlocks: 2
; NumSGPRsForWavesPerEU: 40
; NumVGPRsForWavesPerEU: 17
; Occupancy: 16
; WaveLimiterHint : 1
; COMPUTE_PGM_RSRC2:SCRATCH_EN: 0
; COMPUTE_PGM_RSRC2:USER_SGPR: 2
; COMPUTE_PGM_RSRC2:TRAP_HANDLER: 0
; COMPUTE_PGM_RSRC2:TGID_X_EN: 1
; COMPUTE_PGM_RSRC2:TGID_Y_EN: 1
; COMPUTE_PGM_RSRC2:TGID_Z_EN: 0
; COMPUTE_PGM_RSRC2:TIDIG_COMP_CNT: 0
	.section	.text._ZN9rocsolver6v33100L31stedc_mergePrepare_SortD_kernelIdEEviiPT_lS3_Pi,"axG",@progbits,_ZN9rocsolver6v33100L31stedc_mergePrepare_SortD_kernelIdEEviiPT_lS3_Pi,comdat
	.globl	_ZN9rocsolver6v33100L31stedc_mergePrepare_SortD_kernelIdEEviiPT_lS3_Pi ; -- Begin function _ZN9rocsolver6v33100L31stedc_mergePrepare_SortD_kernelIdEEviiPT_lS3_Pi
	.p2align	8
	.type	_ZN9rocsolver6v33100L31stedc_mergePrepare_SortD_kernelIdEEviiPT_lS3_Pi,@function
_ZN9rocsolver6v33100L31stedc_mergePrepare_SortD_kernelIdEEviiPT_lS3_Pi: ; @_ZN9rocsolver6v33100L31stedc_mergePrepare_SortD_kernelIdEEviiPT_lS3_Pi
; %bb.0:
	s_clause 0x2
	s_load_b32 s16, s[0:1], 0x4
	s_load_b32 s3, s[0:1], 0x34
	s_load_b256 s[8:15], s[0:1], 0x8
	s_movk_i32 s0, 0xffec
	s_mov_b32 s1, -1
	s_mov_b32 s4, ttmp9
	s_ashr_i32 s5, ttmp9, 31
	s_mov_b32 s2, ttmp7
	v_mov_b32_e32 v2, 0
	s_wait_kmcnt 0x0
	s_mul_i32 s28, ttmp7, s16
	s_lshl_b32 s6, s16, 3
	s_mul_i32 s18, s28, 13
	s_ashr_i32 s17, s16, 31
	s_ashr_i32 s19, s18, 31
	s_ashr_i32 s7, s6, 31
	s_lshl_b64 s[18:19], s[18:19], 2
	s_and_b32 s29, s3, 0xffff
	s_lshl_b64 s[22:23], s[16:17], 2
	s_lshl_b64 s[6:7], s[6:7], 2
	s_add_nc_u64 s[14:15], s[14:15], s[18:19]
	s_lshl_b32 s30, s29, 3
	s_sub_nc_u64 s[26:27], 0, s[22:23]
	s_add_nc_u64 s[24:25], s[14:15], s[6:7]
	s_cvt_f32_u32 s3, s30
	s_mul_u64 s[20:21], s[16:17], 12
	s_add_nc_u64 s[18:19], s[24:25], s[26:27]
	s_mul_u64 s[6:7], s[16:17], s[0:1]
	s_add_nc_u64 s[20:21], s[18:19], s[20:21]
	v_rcp_iflag_f32_e32 v1, s3
	s_ashr_i32 s3, ttmp7, 31
	s_lshl_b64 s[0:1], s[4:5], 2
	s_add_nc_u64 s[6:7], s[20:21], s[6:7]
	s_wait_alu 0xfffe
	s_mul_u64 s[2:3], s[10:11], s[2:3]
	s_add_nc_u64 s[14:15], s[6:7], s[0:1]
	s_wait_alu 0xfffe
	s_lshl_b64 s[2:3], s[2:3], 3
	s_load_b32 s17, s[14:15], 0x0
	s_add_nc_u64 s[26:27], s[8:9], s[2:3]
	s_add_nc_u64 s[2:3], s[6:7], s[22:23]
	s_wait_alu 0xfffe
	s_add_nc_u64 s[2:3], s[2:3], s[0:1]
	s_load_b32 s11, s[2:3], 0x0
	v_readfirstlane_b32 s14, v1
	v_mov_b32_e32 v1, 0
	s_mul_f32 s10, s14, 0x4f7ffffe
	s_lshl_b64 s[14:15], s[4:5], 3
	s_sub_co_i32 s5, 0, s30
	s_delay_alu instid0(SALU_CYCLE_1) | instskip(NEXT) | instid1(SALU_CYCLE_3)
	s_cvt_u32_f32 s4, s10
	s_mul_i32 s5, s5, s4
	s_delay_alu instid0(SALU_CYCLE_1)
	s_mul_hi_u32 s2, s4, s5
	s_wait_kmcnt 0x0
	s_add_co_i32 s5, s17, -1
	s_wait_alu 0xfffe
	s_add_co_i32 s4, s4, s2
	s_abs_i32 s6, s5
	s_add_nc_u64 s[2:3], s[26:27], s[14:15]
	s_mul_hi_u32 s4, s6, s4
	s_load_b64 s[22:23], s[2:3], 0x0
	s_mul_i32 s2, s4, s30
	s_ashr_i32 s3, s5, 31
	s_wait_alu 0xfffe
	s_sub_co_i32 s2, s6, s2
	s_add_co_i32 s5, s4, 1
	s_wait_alu 0xfffe
	s_sub_co_i32 s6, s2, s30
	s_cmp_ge_u32 s2, s30
	s_cselect_b32 s4, s5, s4
	s_cselect_b32 s2, s6, s2
	s_add_co_i32 s5, s4, 1
	s_wait_alu 0xfffe
	s_cmp_ge_u32 s2, s30
	s_cselect_b32 s2, s5, s4
	s_wait_alu 0xfffe
	s_xor_b32 s2, s2, s3
	s_wait_alu 0xfffe
	s_sub_co_i32 s3, s2, s3
	s_mov_b32 s2, -1
	s_wait_alu 0xfffe
	s_cmp_lt_i32 s3, 0
	s_cbranch_scc1 .LBB38_36
; %bb.1:
	s_add_nc_u64 s[0:1], s[24:25], s[0:1]
	v_dual_mov_b32 v1, 0 :: v_dual_mov_b32 v42, v0
	s_load_b32 s33, s[0:1], 0x0
	s_lshl_b32 s0, s29, 1
	s_mul_i32 s1, s29, 3
	s_delay_alu instid0(VALU_DEP_1)
	v_dual_mov_b32 v8, v1 :: v_dual_mov_b32 v11, v1
	v_dual_mov_b32 v2, v1 :: v_dual_mov_b32 v3, v1
	;; [unrolled: 1-line block ×4, first 2 shown]
	s_add_co_i32 s34, s11, s0
	s_add_co_i32 s35, s11, s1
	s_lshl_b32 s0, s29, 2
	s_mul_i32 s1, s29, 5
	v_dual_mov_b32 v9, v8 :: v_dual_mov_b32 v10, v1
	v_dual_mov_b32 v13, v1 :: v_dual_mov_b32 v12, v1
	;; [unrolled: 1-line block ×10, first 2 shown]
	v_mov_b32_e32 v7, v6
	v_mov_b32_e32 v6, v5
	;; [unrolled: 1-line block ×6, first 2 shown]
	s_add_co_i32 s36, s11, s0
	s_add_co_i32 s37, s11, s1
	s_mul_i32 s0, s29, 6
	s_mul_i32 s1, s29, 7
	s_add_co_i32 s31, s3, 1
	s_add_co_i32 s38, s11, s0
	;; [unrolled: 1-line block ×4, first 2 shown]
	s_branch .LBB38_3
.LBB38_2:                               ;   in Loop: Header=BB38_3 Depth=1
	s_wait_alu 0xfffe
	s_or_b32 exec_lo, exec_lo, s4
	v_add_nc_u32_e32 v42, s30, v42
	s_add_co_i32 s31, s31, -1
	s_wait_alu 0xfffe
	s_cmp_eq_u32 s31, 0
	s_cbranch_scc1 .LBB38_35
.LBB38_3:                               ; =>This Inner Loop Header: Depth=1
	v_cmp_gt_i32_e64 s6, s17, v42
	v_add_nc_u32_e32 v40, s11, v42
	s_and_saveexec_b32 s0, s6
	s_cbranch_execz .LBB38_5
; %bb.4:                                ;   in Loop: Header=BB38_3 Depth=1
	s_delay_alu instid0(VALU_DEP_1) | instskip(SKIP_1) | instid1(VALU_DEP_1)
	v_ashrrev_i32_e32 v41, 31, v40
	s_wait_loadcnt 0x1
	v_lshlrev_b64_e32 v[10:11], 3, v[40:41]
	v_lshlrev_b64_e32 v[26:27], 2, v[40:41]
	s_delay_alu instid0(VALU_DEP_2) | instskip(SKIP_1) | instid1(VALU_DEP_3)
	v_add_co_u32 v10, vcc_lo, s26, v10
	s_wait_alu 0xfffd
	v_add_co_ci_u32_e64 v11, null, s27, v11, vcc_lo
	s_delay_alu instid0(VALU_DEP_3)
	v_add_co_u32 v26, vcc_lo, s24, v26
	s_wait_alu 0xfffd
	v_add_co_ci_u32_e64 v27, null, s25, v27, vcc_lo
	global_load_b64 v[10:11], v[10:11], off
	s_wait_loadcnt 0x1
	global_load_b32 v2, v[26:27], off
.LBB38_5:                               ;   in Loop: Header=BB38_3 Depth=1
	s_wait_alu 0xfffe
	s_or_b32 exec_lo, exec_lo, s0
	v_add_nc_u32_e32 v26, s29, v42
	v_add_nc_u32_e32 v38, s40, v42
	s_delay_alu instid0(VALU_DEP_2)
	v_cmp_gt_i32_e64 s5, s17, v26
	s_and_saveexec_b32 s0, s5
	s_cbranch_execz .LBB38_7
; %bb.6:                                ;   in Loop: Header=BB38_3 Depth=1
	v_ashrrev_i32_e32 v39, 31, v38
	s_wait_loadcnt 0x1
	s_delay_alu instid0(VALU_DEP_1) | instskip(SKIP_1) | instid1(VALU_DEP_2)
	v_lshlrev_b64_e32 v[12:13], 3, v[38:39]
	v_lshlrev_b64_e32 v[27:28], 2, v[38:39]
	v_add_co_u32 v12, vcc_lo, s26, v12
	s_wait_alu 0xfffd
	s_delay_alu instid0(VALU_DEP_3) | instskip(NEXT) | instid1(VALU_DEP_3)
	v_add_co_ci_u32_e64 v13, null, s27, v13, vcc_lo
	v_add_co_u32 v27, vcc_lo, s24, v27
	s_wait_alu 0xfffd
	v_add_co_ci_u32_e64 v28, null, s25, v28, vcc_lo
	global_load_b64 v[12:13], v[12:13], off
	s_wait_loadcnt 0x1
	global_load_b32 v3, v[27:28], off
.LBB38_7:                               ;   in Loop: Header=BB38_3 Depth=1
	s_wait_alu 0xfffe
	s_or_b32 exec_lo, exec_lo, s0
	v_add_nc_u32_e32 v26, s29, v26
	v_add_nc_u32_e32 v36, s34, v42
	s_delay_alu instid0(VALU_DEP_2)
	v_cmp_gt_i32_e64 s4, s17, v26
	s_and_saveexec_b32 s0, s4
	s_cbranch_execz .LBB38_9
; %bb.8:                                ;   in Loop: Header=BB38_3 Depth=1
	v_ashrrev_i32_e32 v37, 31, v36
	s_wait_loadcnt 0x1
	s_delay_alu instid0(VALU_DEP_1) | instskip(SKIP_1) | instid1(VALU_DEP_2)
	v_lshlrev_b64_e32 v[14:15], 3, v[36:37]
	v_lshlrev_b64_e32 v[27:28], 2, v[36:37]
	v_add_co_u32 v14, vcc_lo, s26, v14
	s_wait_alu 0xfffd
	s_delay_alu instid0(VALU_DEP_3) | instskip(NEXT) | instid1(VALU_DEP_3)
	v_add_co_ci_u32_e64 v15, null, s27, v15, vcc_lo
	v_add_co_u32 v27, vcc_lo, s24, v27
	s_wait_alu 0xfffd
	v_add_co_ci_u32_e64 v28, null, s25, v28, vcc_lo
	global_load_b64 v[14:15], v[14:15], off
	s_wait_loadcnt 0x1
	global_load_b32 v4, v[27:28], off
.LBB38_9:                               ;   in Loop: Header=BB38_3 Depth=1
	s_wait_alu 0xfffe
	s_or_b32 exec_lo, exec_lo, s0
	v_add_nc_u32_e32 v26, s29, v26
	v_add_nc_u32_e32 v34, s35, v42
	s_delay_alu instid0(VALU_DEP_2)
	v_cmp_gt_i32_e64 s3, s17, v26
	s_and_saveexec_b32 s0, s3
	s_cbranch_execz .LBB38_11
; %bb.10:                               ;   in Loop: Header=BB38_3 Depth=1
	v_ashrrev_i32_e32 v35, 31, v34
	s_wait_loadcnt 0x1
	s_delay_alu instid0(VALU_DEP_1) | instskip(SKIP_1) | instid1(VALU_DEP_2)
	v_lshlrev_b64_e32 v[16:17], 3, v[34:35]
	v_lshlrev_b64_e32 v[27:28], 2, v[34:35]
	v_add_co_u32 v16, vcc_lo, s26, v16
	s_wait_alu 0xfffd
	s_delay_alu instid0(VALU_DEP_3) | instskip(NEXT) | instid1(VALU_DEP_3)
	v_add_co_ci_u32_e64 v17, null, s27, v17, vcc_lo
	v_add_co_u32 v27, vcc_lo, s24, v27
	s_wait_alu 0xfffd
	v_add_co_ci_u32_e64 v28, null, s25, v28, vcc_lo
	global_load_b64 v[16:17], v[16:17], off
	s_wait_loadcnt 0x1
	global_load_b32 v5, v[27:28], off
.LBB38_11:                              ;   in Loop: Header=BB38_3 Depth=1
	s_wait_alu 0xfffe
	s_or_b32 exec_lo, exec_lo, s0
	v_add_nc_u32_e32 v26, s29, v26
	v_add_nc_u32_e32 v32, s36, v42
	s_delay_alu instid0(VALU_DEP_2)
	v_cmp_gt_i32_e64 s2, s17, v26
	s_and_saveexec_b32 s0, s2
	s_cbranch_execz .LBB38_13
; %bb.12:                               ;   in Loop: Header=BB38_3 Depth=1
	v_ashrrev_i32_e32 v33, 31, v32
	s_wait_loadcnt 0x1
	s_delay_alu instid0(VALU_DEP_1) | instskip(SKIP_1) | instid1(VALU_DEP_2)
	v_lshlrev_b64_e32 v[18:19], 3, v[32:33]
	v_lshlrev_b64_e32 v[27:28], 2, v[32:33]
	v_add_co_u32 v18, vcc_lo, s26, v18
	s_wait_alu 0xfffd
	s_delay_alu instid0(VALU_DEP_3) | instskip(NEXT) | instid1(VALU_DEP_3)
	v_add_co_ci_u32_e64 v19, null, s27, v19, vcc_lo
	v_add_co_u32 v27, vcc_lo, s24, v27
	s_wait_alu 0xfffd
	v_add_co_ci_u32_e64 v28, null, s25, v28, vcc_lo
	global_load_b64 v[18:19], v[18:19], off
	s_wait_loadcnt 0x1
	global_load_b32 v6, v[27:28], off
.LBB38_13:                              ;   in Loop: Header=BB38_3 Depth=1
	;; [unrolled: 25-line block ×4, first 2 shown]
	s_wait_alu 0xfffe
	s_or_b32 exec_lo, exec_lo, s7
	v_add_nc_u32_e32 v26, s29, v26
	s_delay_alu instid0(VALU_DEP_1)
	v_cmp_gt_i32_e32 vcc_lo, s17, v26
	v_add_nc_u32_e32 v26, s39, v42
	s_and_saveexec_b32 s8, vcc_lo
	s_cbranch_execnz .LBB38_26
; %bb.18:                               ;   in Loop: Header=BB38_3 Depth=1
	s_wait_alu 0xfffe
	s_or_b32 exec_lo, exec_lo, s8
	s_and_saveexec_b32 s41, s6
	s_cbranch_execnz .LBB38_27
.LBB38_19:                              ;   in Loop: Header=BB38_3 Depth=1
	s_wait_alu 0xfffe
	s_or_b32 exec_lo, exec_lo, s41
	s_and_saveexec_b32 s10, s5
	s_cbranch_execnz .LBB38_28
.LBB38_20:                              ;   in Loop: Header=BB38_3 Depth=1
	s_wait_alu 0xfffe
	s_or_b32 exec_lo, exec_lo, s10
	s_and_saveexec_b32 s9, s4
	s_cbranch_execnz .LBB38_29
.LBB38_21:                              ;   in Loop: Header=BB38_3 Depth=1
	s_wait_alu 0xfffe
	s_or_b32 exec_lo, exec_lo, s9
	s_and_saveexec_b32 s8, s3
	s_cbranch_execnz .LBB38_30
.LBB38_22:                              ;   in Loop: Header=BB38_3 Depth=1
	s_wait_alu 0xfffe
	s_or_b32 exec_lo, exec_lo, s8
	s_and_saveexec_b32 s7, s2
	s_cbranch_execnz .LBB38_31
.LBB38_23:                              ;   in Loop: Header=BB38_3 Depth=1
	s_wait_alu 0xfffe
	s_or_b32 exec_lo, exec_lo, s7
	s_and_saveexec_b32 s6, s1
	s_cbranch_execnz .LBB38_32
.LBB38_24:                              ;   in Loop: Header=BB38_3 Depth=1
	s_wait_alu 0xfffe
	s_or_b32 exec_lo, exec_lo, s6
	s_and_saveexec_b32 s5, s0
	s_cbranch_execnz .LBB38_33
.LBB38_25:                              ;   in Loop: Header=BB38_3 Depth=1
	s_wait_alu 0xfffe
	s_or_b32 exec_lo, exec_lo, s5
	s_and_saveexec_b32 s4, vcc_lo
	s_cbranch_execz .LBB38_2
	s_branch .LBB38_34
.LBB38_26:                              ;   in Loop: Header=BB38_3 Depth=1
	s_delay_alu instid0(VALU_DEP_1) | instskip(SKIP_1) | instid1(VALU_DEP_1)
	v_ashrrev_i32_e32 v27, 31, v26
	s_wait_loadcnt 0x1
	v_lshlrev_b64_e32 v[24:25], 3, v[26:27]
	v_lshlrev_b64_e32 v[46:47], 2, v[26:27]
	s_delay_alu instid0(VALU_DEP_2) | instskip(SKIP_1) | instid1(VALU_DEP_3)
	v_add_co_u32 v24, s7, s26, v24
	s_wait_alu 0xf1ff
	v_add_co_ci_u32_e64 v25, null, s27, v25, s7
	s_delay_alu instid0(VALU_DEP_3)
	v_add_co_u32 v46, s7, s24, v46
	s_wait_alu 0xf1ff
	v_add_co_ci_u32_e64 v47, null, s25, v47, s7
	global_load_b64 v[24:25], v[24:25], off
	s_wait_loadcnt 0x1
	global_load_b32 v9, v[46:47], off
	s_wait_alu 0xfffe
	s_or_b32 exec_lo, exec_lo, s8
	s_and_saveexec_b32 s41, s6
	s_cbranch_execz .LBB38_19
.LBB38_27:                              ;   in Loop: Header=BB38_3 Depth=1
	s_wait_loadcnt 0x1
	v_cmp_u_f64_e64 s8, v[10:11], v[10:11]
	s_wait_kmcnt 0x0
	v_cmp_gt_f64_e64 s6, s[22:23], v[10:11]
	v_cmp_eq_f64_e64 s7, s[22:23], v[10:11]
	s_wait_loadcnt 0x0
	v_cmp_lt_i32_e64 s10, 0, v2
	v_cmp_eq_u32_e64 s9, s33, v2
	s_wait_alu 0xf1ff
	s_delay_alu instid0(VALU_DEP_2)
	v_add_co_ci_u32_e64 v1, null, 0, v1, s10
	v_cmp_gt_i32_e64 s10, ttmp9, v40
	v_add_co_ci_u32_e64 v43, null, 0, v43, s8
	v_cmp_lt_i32_e64 s8, s33, v2
	s_and_b32 s6, s9, s6
	s_and_b32 s7, s9, s7
	s_wait_alu 0xfffe
	s_or_b32 s6, s8, s6
	s_wait_alu 0xfffe
	v_add_co_ci_u32_e64 v45, null, 0, v45, s6
	s_and_b32 s6, s7, s10
	s_wait_alu 0xfffe
	v_add_co_ci_u32_e64 v44, null, 0, v44, s6
	s_or_b32 exec_lo, exec_lo, s41
	s_and_saveexec_b32 s10, s5
	s_cbranch_execz .LBB38_20
.LBB38_28:                              ;   in Loop: Header=BB38_3 Depth=1
	s_wait_loadcnt 0x1
	v_cmp_u_f64_e64 s7, v[12:13], v[12:13]
	s_wait_kmcnt 0x0
	v_cmp_gt_f64_e64 s5, s[22:23], v[12:13]
	v_cmp_eq_f64_e64 s6, s[22:23], v[12:13]
	s_wait_loadcnt 0x0
	v_cmp_lt_i32_e64 s9, 0, v3
	v_cmp_eq_u32_e64 s8, s33, v3
	s_wait_alu 0xf1ff
	s_delay_alu instid0(VALU_DEP_2)
	v_add_co_ci_u32_e64 v1, null, 0, v1, s9
	v_cmp_gt_i32_e64 s9, ttmp9, v38
	v_add_co_ci_u32_e64 v43, null, 0, v43, s7
	v_cmp_lt_i32_e64 s7, s33, v3
	s_and_b32 s5, s8, s5
	s_and_b32 s6, s8, s6
	s_wait_alu 0xfffe
	s_or_b32 s5, s7, s5
	s_wait_alu 0xfffe
	v_add_co_ci_u32_e64 v45, null, 0, v45, s5
	s_and_b32 s5, s6, s9
	s_wait_alu 0xfffe
	v_add_co_ci_u32_e64 v44, null, 0, v44, s5
	s_or_b32 exec_lo, exec_lo, s10
	s_and_saveexec_b32 s9, s4
	s_cbranch_execz .LBB38_21
.LBB38_29:                              ;   in Loop: Header=BB38_3 Depth=1
	s_wait_loadcnt 0x1
	v_cmp_u_f64_e64 s6, v[14:15], v[14:15]
	s_wait_kmcnt 0x0
	v_cmp_gt_f64_e64 s4, s[22:23], v[14:15]
	v_cmp_eq_f64_e64 s5, s[22:23], v[14:15]
	s_wait_loadcnt 0x0
	v_cmp_lt_i32_e64 s8, 0, v4
	v_cmp_eq_u32_e64 s7, s33, v4
	s_wait_alu 0xf1ff
	s_delay_alu instid0(VALU_DEP_2)
	v_add_co_ci_u32_e64 v1, null, 0, v1, s8
	v_cmp_gt_i32_e64 s8, ttmp9, v36
	v_add_co_ci_u32_e64 v43, null, 0, v43, s6
	v_cmp_lt_i32_e64 s6, s33, v4
	s_and_b32 s4, s7, s4
	s_and_b32 s5, s7, s5
	s_wait_alu 0xfffe
	s_or_b32 s4, s6, s4
	s_wait_alu 0xfffe
	v_add_co_ci_u32_e64 v45, null, 0, v45, s4
	s_and_b32 s4, s5, s8
	s_wait_alu 0xfffe
	v_add_co_ci_u32_e64 v44, null, 0, v44, s4
	s_or_b32 exec_lo, exec_lo, s9
	s_and_saveexec_b32 s8, s3
	s_cbranch_execz .LBB38_22
.LBB38_30:                              ;   in Loop: Header=BB38_3 Depth=1
	s_wait_loadcnt 0x1
	v_cmp_u_f64_e64 s5, v[16:17], v[16:17]
	s_wait_kmcnt 0x0
	v_cmp_gt_f64_e64 s3, s[22:23], v[16:17]
	v_cmp_eq_f64_e64 s4, s[22:23], v[16:17]
	s_wait_loadcnt 0x0
	v_cmp_lt_i32_e64 s7, 0, v5
	v_cmp_eq_u32_e64 s6, s33, v5
	s_wait_alu 0xf1ff
	s_delay_alu instid0(VALU_DEP_2)
	v_add_co_ci_u32_e64 v1, null, 0, v1, s7
	v_cmp_gt_i32_e64 s7, ttmp9, v34
	v_add_co_ci_u32_e64 v43, null, 0, v43, s5
	v_cmp_lt_i32_e64 s5, s33, v5
	s_and_b32 s3, s6, s3
	s_and_b32 s4, s6, s4
	s_wait_alu 0xfffe
	s_or_b32 s3, s5, s3
	s_wait_alu 0xfffe
	v_add_co_ci_u32_e64 v45, null, 0, v45, s3
	s_and_b32 s3, s4, s7
	s_wait_alu 0xfffe
	v_add_co_ci_u32_e64 v44, null, 0, v44, s3
	s_or_b32 exec_lo, exec_lo, s8
	s_and_saveexec_b32 s7, s2
	s_cbranch_execz .LBB38_23
.LBB38_31:                              ;   in Loop: Header=BB38_3 Depth=1
	s_wait_loadcnt 0x1
	v_cmp_u_f64_e64 s4, v[18:19], v[18:19]
	s_wait_kmcnt 0x0
	v_cmp_gt_f64_e64 s2, s[22:23], v[18:19]
	v_cmp_eq_f64_e64 s3, s[22:23], v[18:19]
	s_wait_loadcnt 0x0
	v_cmp_lt_i32_e64 s6, 0, v6
	v_cmp_eq_u32_e64 s5, s33, v6
	s_wait_alu 0xf1ff
	s_delay_alu instid0(VALU_DEP_2)
	v_add_co_ci_u32_e64 v1, null, 0, v1, s6
	v_cmp_gt_i32_e64 s6, ttmp9, v32
	v_add_co_ci_u32_e64 v43, null, 0, v43, s4
	v_cmp_lt_i32_e64 s4, s33, v6
	s_and_b32 s2, s5, s2
	s_and_b32 s3, s5, s3
	s_wait_alu 0xfffe
	s_or_b32 s2, s4, s2
	s_wait_alu 0xfffe
	v_add_co_ci_u32_e64 v45, null, 0, v45, s2
	s_and_b32 s2, s3, s6
	s_wait_alu 0xfffe
	v_add_co_ci_u32_e64 v44, null, 0, v44, s2
	s_or_b32 exec_lo, exec_lo, s7
	s_and_saveexec_b32 s6, s1
	s_cbranch_execz .LBB38_24
.LBB38_32:                              ;   in Loop: Header=BB38_3 Depth=1
	s_wait_loadcnt 0x1
	v_cmp_u_f64_e64 s3, v[20:21], v[20:21]
	s_wait_kmcnt 0x0
	v_cmp_gt_f64_e64 s1, s[22:23], v[20:21]
	v_cmp_eq_f64_e64 s2, s[22:23], v[20:21]
	s_wait_loadcnt 0x0
	v_cmp_lt_i32_e64 s5, 0, v7
	v_cmp_eq_u32_e64 s4, s33, v7
	s_wait_alu 0xf1ff
	s_delay_alu instid0(VALU_DEP_2)
	v_add_co_ci_u32_e64 v1, null, 0, v1, s5
	v_cmp_gt_i32_e64 s5, ttmp9, v30
	v_add_co_ci_u32_e64 v43, null, 0, v43, s3
	v_cmp_lt_i32_e64 s3, s33, v7
	s_and_b32 s1, s4, s1
	s_and_b32 s2, s4, s2
	s_wait_alu 0xfffe
	s_or_b32 s1, s3, s1
	s_wait_alu 0xfffe
	v_add_co_ci_u32_e64 v45, null, 0, v45, s1
	s_and_b32 s1, s2, s5
	s_wait_alu 0xfffe
	v_add_co_ci_u32_e64 v44, null, 0, v44, s1
	s_or_b32 exec_lo, exec_lo, s6
	s_and_saveexec_b32 s5, s0
	s_cbranch_execz .LBB38_25
.LBB38_33:                              ;   in Loop: Header=BB38_3 Depth=1
	s_wait_loadcnt 0x1
	v_cmp_u_f64_e64 s2, v[22:23], v[22:23]
	s_wait_kmcnt 0x0
	v_cmp_gt_f64_e64 s0, s[22:23], v[22:23]
	v_cmp_eq_f64_e64 s1, s[22:23], v[22:23]
	s_wait_loadcnt 0x0
	v_cmp_lt_i32_e64 s4, 0, v8
	v_cmp_eq_u32_e64 s3, s33, v8
	s_wait_alu 0xf1ff
	s_delay_alu instid0(VALU_DEP_2)
	v_add_co_ci_u32_e64 v1, null, 0, v1, s4
	v_cmp_gt_i32_e64 s4, ttmp9, v28
	v_add_co_ci_u32_e64 v43, null, 0, v43, s2
	v_cmp_lt_i32_e64 s2, s33, v8
	s_and_b32 s0, s3, s0
	s_and_b32 s1, s3, s1
	s_wait_alu 0xfffe
	s_or_b32 s0, s2, s0
	s_wait_alu 0xfffe
	v_add_co_ci_u32_e64 v45, null, 0, v45, s0
	s_and_b32 s0, s1, s4
	s_wait_alu 0xfffe
	v_add_co_ci_u32_e64 v44, null, 0, v44, s0
	s_or_b32 exec_lo, exec_lo, s5
	s_and_saveexec_b32 s4, vcc_lo
	s_cbranch_execz .LBB38_2
.LBB38_34:                              ;   in Loop: Header=BB38_3 Depth=1
	s_wait_loadcnt 0x1
	v_cmp_u_f64_e64 s1, v[24:25], v[24:25]
	s_wait_kmcnt 0x0
	v_cmp_gt_f64_e32 vcc_lo, s[22:23], v[24:25]
	v_cmp_eq_f64_e64 s0, s[22:23], v[24:25]
	s_wait_loadcnt 0x0
	v_cmp_lt_i32_e64 s3, 0, v9
	v_cmp_eq_u32_e64 s2, s33, v9
	s_wait_alu 0xf1ff
	s_delay_alu instid0(VALU_DEP_2)
	v_add_co_ci_u32_e64 v1, null, 0, v1, s3
	v_cmp_gt_i32_e64 s3, ttmp9, v26
	v_add_co_ci_u32_e64 v43, null, 0, v43, s1
	v_cmp_lt_i32_e64 s1, s33, v9
	s_and_b32 s5, s2, vcc_lo
	s_and_b32 s0, s2, s0
	s_wait_alu 0xfffe
	s_or_b32 vcc_lo, s1, s5
	s_wait_alu 0xfffe
	v_add_co_ci_u32_e64 v45, null, 0, v45, vcc_lo
	s_and_b32 vcc_lo, s0, s3
	s_wait_alu 0xfffe
	v_add_co_ci_u32_e64 v44, null, 0, v44, vcc_lo
	s_branch .LBB38_2
.LBB38_35:
	s_wait_loadcnt 0x0
	v_add_nc_u32_e32 v2, v44, v45
	v_cmp_eq_u32_e64 s2, 0, v43
.LBB38_36:
	v_lshlrev_b32_e32 v3, 2, v0
	s_cmp_lt_u32 s29, 2
	ds_store_2addr_stride64_b32 v3, v1, v2 offset1:8
	s_cbranch_scc1 .LBB38_42
; %bb.37:
	v_or_b32_e32 v4, 0x800, v3
.LBB38_38:                              ; =>This Inner Loop Header: Depth=1
	s_wait_alu 0xfffe
	s_lshr_b32 s0, s29, 1
	s_mov_b32 s1, exec_lo
	s_wait_dscnt 0x0
	s_barrier_signal -1
	s_barrier_wait -1
	global_inv scope:SCOPE_SE
	s_wait_alu 0xfffe
	v_cmpx_gt_u32_e64 s0, v0
	s_cbranch_execz .LBB38_40
; %bb.39:                               ;   in Loop: Header=BB38_38 Depth=1
	s_lshl_b32 s3, s0, 2
	s_wait_alu 0xfffe
	v_add_nc_u32_e32 v5, s3, v4
	v_add_nc_u32_e32 v6, s3, v3
	ds_load_b32 v5, v5
	ds_load_b32 v6, v6
	s_wait_dscnt 0x1
	v_add_nc_u32_e32 v2, v5, v2
	s_wait_dscnt 0x0
	v_add_nc_u32_e32 v1, v6, v1
	ds_store_b32 v4, v2
	ds_store_b32 v3, v1
.LBB38_40:                              ;   in Loop: Header=BB38_38 Depth=1
	s_or_b32 exec_lo, exec_lo, s1
	s_cmp_lt_u32 s29, 4
	s_cbranch_scc1 .LBB38_42
; %bb.41:                               ;   in Loop: Header=BB38_38 Depth=1
	s_mov_b32 s29, s0
	s_branch .LBB38_38
.LBB38_42:
	s_mul_i32 s0, s28, 10
	s_mul_i32 s4, s16, 6
	s_wait_alu 0xfffe
	s_ashr_i32 s1, s0, 31
	s_ashr_i32 s5, s4, 31
	s_wait_alu 0xfffe
	s_lshl_b64 s[0:1], s[0:1], 3
	s_lshl_b64 s[4:5], s[4:5], 3
	s_wait_alu 0xfffe
	s_add_nc_u64 s[0:1], s[12:13], s[0:1]
	s_xor_b32 s2, s2, -1
	s_wait_alu 0xfffe
	s_add_nc_u64 s[0:1], s[0:1], s[4:5]
	s_mov_b32 s3, exec_lo
	v_cmpx_eq_u32_e32 0, v0
	s_cbranch_execz .LBB38_44
; %bb.43:
	v_add_nc_u32_e32 v2, s11, v2
	s_wait_alu 0xfffe
	v_mov_b32_e32 v0, ttmp9
	s_wait_kmcnt 0x0
	v_dual_mov_b32 v6, s22 :: v_dual_mov_b32 v7, s23
	v_ashrrev_i32_e32 v3, 31, v2
	s_delay_alu instid0(VALU_DEP_1) | instskip(SKIP_1) | instid1(VALU_DEP_2)
	v_lshlrev_b64_e32 v[4:5], 2, v[2:3]
	v_lshlrev_b64_e32 v[2:3], 3, v[2:3]
	v_add_co_u32 v8, vcc_lo, s20, v4
	s_wait_alu 0xfffd
	s_delay_alu instid0(VALU_DEP_3)
	v_add_co_ci_u32_e64 v9, null, s21, v5, vcc_lo
	v_add_co_u32 v4, vcc_lo, s18, v4
	s_wait_alu 0xfffd
	v_add_co_ci_u32_e64 v5, null, s19, v5, vcc_lo
	v_add_co_u32 v2, vcc_lo, s0, v2
	s_wait_alu 0xfffd
	v_add_co_ci_u32_e64 v3, null, s1, v3, vcc_lo
	s_clause 0x1
	global_store_b32 v[4:5], v1, off
	global_store_b32 v[8:9], v0, off
	global_store_b64 v[2:3], v[6:7], off
.LBB38_44:
	s_wait_alu 0xfffe
	s_or_b32 exec_lo, exec_lo, s3
	s_wait_storecnt 0x0
	s_wait_loadcnt_dscnt 0x0
	s_barrier_signal -1
	s_barrier_wait -1
	global_inv scope:SCOPE_SE
	s_and_saveexec_b32 s3, s2
	s_cbranch_execz .LBB38_46
; %bb.45:
	v_dual_mov_b32 v0, 0 :: v_dual_mov_b32 v1, 0x7ff80000
	s_add_nc_u64 s[0:1], s[0:1], s[14:15]
	global_store_b64 v0, v[0:1], s[0:1]
.LBB38_46:
	s_endpgm
	.section	.rodata,"a",@progbits
	.p2align	6, 0x0
	.amdhsa_kernel _ZN9rocsolver6v33100L31stedc_mergePrepare_SortD_kernelIdEEviiPT_lS3_Pi
		.amdhsa_group_segment_fixed_size 4096
		.amdhsa_private_segment_fixed_size 0
		.amdhsa_kernarg_size 296
		.amdhsa_user_sgpr_count 2
		.amdhsa_user_sgpr_dispatch_ptr 0
		.amdhsa_user_sgpr_queue_ptr 0
		.amdhsa_user_sgpr_kernarg_segment_ptr 1
		.amdhsa_user_sgpr_dispatch_id 0
		.amdhsa_user_sgpr_private_segment_size 0
		.amdhsa_wavefront_size32 1
		.amdhsa_uses_dynamic_stack 0
		.amdhsa_enable_private_segment 0
		.amdhsa_system_sgpr_workgroup_id_x 1
		.amdhsa_system_sgpr_workgroup_id_y 1
		.amdhsa_system_sgpr_workgroup_id_z 0
		.amdhsa_system_sgpr_workgroup_info 0
		.amdhsa_system_vgpr_workitem_id 0
		.amdhsa_next_free_vgpr 48
		.amdhsa_next_free_sgpr 42
		.amdhsa_reserve_vcc 1
		.amdhsa_float_round_mode_32 0
		.amdhsa_float_round_mode_16_64 0
		.amdhsa_float_denorm_mode_32 3
		.amdhsa_float_denorm_mode_16_64 3
		.amdhsa_fp16_overflow 0
		.amdhsa_workgroup_processor_mode 1
		.amdhsa_memory_ordered 1
		.amdhsa_forward_progress 1
		.amdhsa_inst_pref_size 27
		.amdhsa_round_robin_scheduling 0
		.amdhsa_exception_fp_ieee_invalid_op 0
		.amdhsa_exception_fp_denorm_src 0
		.amdhsa_exception_fp_ieee_div_zero 0
		.amdhsa_exception_fp_ieee_overflow 0
		.amdhsa_exception_fp_ieee_underflow 0
		.amdhsa_exception_fp_ieee_inexact 0
		.amdhsa_exception_int_div_zero 0
	.end_amdhsa_kernel
	.section	.text._ZN9rocsolver6v33100L31stedc_mergePrepare_SortD_kernelIdEEviiPT_lS3_Pi,"axG",@progbits,_ZN9rocsolver6v33100L31stedc_mergePrepare_SortD_kernelIdEEviiPT_lS3_Pi,comdat
.Lfunc_end38:
	.size	_ZN9rocsolver6v33100L31stedc_mergePrepare_SortD_kernelIdEEviiPT_lS3_Pi, .Lfunc_end38-_ZN9rocsolver6v33100L31stedc_mergePrepare_SortD_kernelIdEEviiPT_lS3_Pi
                                        ; -- End function
	.set _ZN9rocsolver6v33100L31stedc_mergePrepare_SortD_kernelIdEEviiPT_lS3_Pi.num_vgpr, 48
	.set _ZN9rocsolver6v33100L31stedc_mergePrepare_SortD_kernelIdEEviiPT_lS3_Pi.num_agpr, 0
	.set _ZN9rocsolver6v33100L31stedc_mergePrepare_SortD_kernelIdEEviiPT_lS3_Pi.numbered_sgpr, 42
	.set _ZN9rocsolver6v33100L31stedc_mergePrepare_SortD_kernelIdEEviiPT_lS3_Pi.num_named_barrier, 0
	.set _ZN9rocsolver6v33100L31stedc_mergePrepare_SortD_kernelIdEEviiPT_lS3_Pi.private_seg_size, 0
	.set _ZN9rocsolver6v33100L31stedc_mergePrepare_SortD_kernelIdEEviiPT_lS3_Pi.uses_vcc, 1
	.set _ZN9rocsolver6v33100L31stedc_mergePrepare_SortD_kernelIdEEviiPT_lS3_Pi.uses_flat_scratch, 0
	.set _ZN9rocsolver6v33100L31stedc_mergePrepare_SortD_kernelIdEEviiPT_lS3_Pi.has_dyn_sized_stack, 0
	.set _ZN9rocsolver6v33100L31stedc_mergePrepare_SortD_kernelIdEEviiPT_lS3_Pi.has_recursion, 0
	.set _ZN9rocsolver6v33100L31stedc_mergePrepare_SortD_kernelIdEEviiPT_lS3_Pi.has_indirect_call, 0
	.section	.AMDGPU.csdata,"",@progbits
; Kernel info:
; codeLenInByte = 3416
; TotalNumSgprs: 44
; NumVgprs: 48
; ScratchSize: 0
; MemoryBound: 0
; FloatMode: 240
; IeeeMode: 1
; LDSByteSize: 4096 bytes/workgroup (compile time only)
; SGPRBlocks: 0
; VGPRBlocks: 5
; NumSGPRsForWavesPerEU: 44
; NumVGPRsForWavesPerEU: 48
; Occupancy: 16
; WaveLimiterHint : 1
; COMPUTE_PGM_RSRC2:SCRATCH_EN: 0
; COMPUTE_PGM_RSRC2:USER_SGPR: 2
; COMPUTE_PGM_RSRC2:TRAP_HANDLER: 0
; COMPUTE_PGM_RSRC2:TGID_X_EN: 1
; COMPUTE_PGM_RSRC2:TGID_Y_EN: 1
; COMPUTE_PGM_RSRC2:TGID_Z_EN: 0
; COMPUTE_PGM_RSRC2:TIDIG_COMP_CNT: 0
	.section	.text._ZN9rocsolver6v33100L38stedc_mergePrepare_SetCandFlags_kernelIdEEviiPT_lS3_Pi,"axG",@progbits,_ZN9rocsolver6v33100L38stedc_mergePrepare_SetCandFlags_kernelIdEEviiPT_lS3_Pi,comdat
	.globl	_ZN9rocsolver6v33100L38stedc_mergePrepare_SetCandFlags_kernelIdEEviiPT_lS3_Pi ; -- Begin function _ZN9rocsolver6v33100L38stedc_mergePrepare_SetCandFlags_kernelIdEEviiPT_lS3_Pi
	.p2align	8
	.type	_ZN9rocsolver6v33100L38stedc_mergePrepare_SetCandFlags_kernelIdEEviiPT_lS3_Pi,@function
_ZN9rocsolver6v33100L38stedc_mergePrepare_SetCandFlags_kernelIdEEviiPT_lS3_Pi: ; @_ZN9rocsolver6v33100L38stedc_mergePrepare_SetCandFlags_kernelIdEEviiPT_lS3_Pi
; %bb.0:
	s_clause 0x1
	s_load_b32 s2, s[0:1], 0x34
	s_load_b32 s4, s[0:1], 0x4
	s_wait_kmcnt 0x0
	s_and_b32 s2, s2, 0xffff
	s_delay_alu instid0(SALU_CYCLE_1)
	v_mad_co_u64_u32 v[0:1], null, ttmp9, s2, v[0:1]
	s_mov_b32 s2, exec_lo
	v_cmpx_gt_i32_e64 s4, v0
	s_cbranch_execz .LBB39_6
; %bb.1:
	s_load_b128 s[0:3], s[0:1], 0x18
	s_mul_i32 s9, s4, ttmp7
	v_ashrrev_i32_e32 v1, 31, v0
	s_mul_i32 s10, s9, 13
	s_mul_i32 s6, s4, 6
	;; [unrolled: 1-line block ×3, first 2 shown]
	s_ashr_i32 s11, s10, 31
	v_max_i32_e32 v2, 1, v0
	s_lshl_b32 s8, s4, 2
	s_ashr_i32 s7, s6, 31
	s_ashr_i32 s15, s14, 31
	s_lshl_b64 s[10:11], s[10:11], 2
	s_ashr_i32 s5, s4, 31
	s_ashr_i32 s9, s8, 31
	s_lshl_b64 s[6:7], s[6:7], 2
	s_lshl_b64 s[14:15], s[14:15], 3
	v_lshlrev_b64_e32 v[5:6], 3, v[0:1]
	s_wait_alu 0xfffe
	s_mul_u64 s[12:13], s[4:5], 20
	s_lshl_b64 s[16:17], s[4:5], 4
	s_lshl_b64 s[8:9], s[8:9], 3
	s_wait_kmcnt 0x0
	s_add_nc_u64 s[2:3], s[2:3], s[10:11]
	s_add_nc_u64 s[10:11], s[0:1], s[14:15]
	s_wait_alu 0xfffe
	s_add_nc_u64 s[0:1], s[2:3], s[6:7]
	v_dual_mov_b32 v4, 0 :: v_dual_add_nc_u32 v3, -1, v2
	v_lshlrev_b64_e32 v[1:2], 2, v[0:1]
	s_add_nc_u64 s[8:9], s[10:11], s[8:9]
	s_wait_alu 0xfffe
	s_add_nc_u64 s[2:3], s[0:1], s[12:13]
	s_sub_nc_u64 s[10:11], 0, s[16:17]
	v_add_co_u32 v7, vcc_lo, s8, v5
	s_wait_alu 0xfffe
	s_add_nc_u64 s[10:11], s[2:3], s[10:11]
	v_add_co_ci_u32_e64 v8, null, s9, v6, vcc_lo
	v_add_co_u32 v11, vcc_lo, s10, v1
	s_add_nc_u64 s[6:7], s[8:9], s[16:17]
	s_wait_alu 0xfffd
	v_add_co_ci_u32_e64 v12, null, s11, v2, vcc_lo
	v_add_co_u32 v13, vcc_lo, s0, v1
	v_lshlrev_b64_e32 v[9:10], 3, v[3:4]
	s_wait_alu 0xfffd
	v_add_co_ci_u32_e64 v14, null, s1, v2, vcc_lo
	v_add_co_u32 v15, vcc_lo, s6, v5
	s_wait_alu 0xfffd
	v_add_co_ci_u32_e64 v16, null, s7, v6, vcc_lo
	v_lshlrev_b64_e32 v[5:6], 2, v[3:4]
	v_add_co_u32 v9, vcc_lo, s6, v9
	s_clause 0x1
	global_load_b32 v11, v[11:12], off
	global_load_b32 v12, v[13:14], off
	s_wait_alu 0xfffd
	v_add_co_ci_u32_e64 v10, null, s7, v10, vcc_lo
	v_add_co_u32 v13, vcc_lo, s0, v5
	s_wait_alu 0xfffd
	v_add_co_ci_u32_e64 v14, null, s1, v6, vcc_lo
	s_clause 0x2
	global_load_b64 v[5:6], v[7:8], off
	global_load_b64 v[7:8], v[15:16], off
	;; [unrolled: 1-line block ×3, first 2 shown]
	global_load_b32 v3, v[13:14], off
	s_mov_b32 s5, exec_lo
	s_wait_loadcnt 0x5
	v_add_nc_u32_e32 v14, -1, v11
	s_wait_loadcnt 0x4
	v_sub_nc_u32_e32 v13, v0, v12
	s_delay_alu instid0(VALU_DEP_1)
	v_cmpx_lt_i32_e64 v13, v14
	s_cbranch_execz .LBB39_5
; %bb.2:
	v_add_nc_u32_e32 v4, 1, v0
	s_delay_alu instid0(VALU_DEP_1) | instskip(SKIP_2) | instid1(VALU_DEP_1)
	v_cmp_gt_i32_e32 vcc_lo, s4, v4
	s_wait_alu 0xfffd
	v_cndmask_b32_e32 v14, v0, v4, vcc_lo
	v_ashrrev_i32_e32 v15, 31, v14
	s_delay_alu instid0(VALU_DEP_1) | instskip(SKIP_1) | instid1(VALU_DEP_2)
	v_lshlrev_b64_e32 v[16:17], 3, v[14:15]
	v_lshlrev_b64_e32 v[14:15], 2, v[14:15]
	v_add_co_u32 v16, vcc_lo, s6, v16
	s_wait_alu 0xfffd
	s_delay_alu instid0(VALU_DEP_3) | instskip(NEXT) | instid1(VALU_DEP_3)
	v_add_co_ci_u32_e64 v17, null, s7, v17, vcc_lo
	v_add_co_u32 v14, vcc_lo, s0, v14
	s_wait_alu 0xfffd
	v_add_co_ci_u32_e64 v15, null, s1, v15, vcc_lo
	global_load_b64 v[16:17], v[16:17], off
	global_load_b32 v4, v[14:15], off
	s_wait_loadcnt 0x1
	v_add_f64_e64 v[14:15], v[7:8], -v[16:17]
	s_wait_loadcnt 0x0
	v_cmp_eq_u32_e32 vcc_lo, v12, v4
	v_mov_b32_e32 v4, 0
	s_delay_alu instid0(VALU_DEP_3)
	v_cmp_le_f64_e64 s0, |v[14:15]|, v[5:6]
	s_and_b32 s1, vcc_lo, s0
	s_wait_alu 0xfffe
	s_and_saveexec_b32 s0, s1
; %bb.3:
	s_add_co_i32 s1, s4, -1
	s_wait_alu 0xfffe
	v_cmp_ne_u32_e32 vcc_lo, s1, v0
	s_wait_alu 0xfffd
	v_cndmask_b32_e64 v4, 0, 1, vcc_lo
; %bb.4:
	s_or_b32 exec_lo, exec_lo, s0
.LBB39_5:
	s_wait_alu 0xfffe
	s_or_b32 exec_lo, exec_lo, s5
	s_wait_loadcnt 0x1
	v_add_f64_e64 v[7:8], v[7:8], -v[9:10]
	v_cmp_lt_i32_e64 s1, 0, v0
	v_cmp_ge_i32_e32 vcc_lo, v13, v11
	s_wait_loadcnt 0x0
	v_cmp_ne_u32_e64 s0, v12, v3
	s_wait_alu 0xf1ff
	v_cndmask_b32_e64 v0, 0, 2, s1
	s_or_b32 s0, vcc_lo, s0
	v_cmp_nle_f64_e64 s4, |v[7:8]|, v[5:6]
	s_wait_alu 0xfffe
	s_or_b32 s0, s0, s4
	s_wait_alu 0xfffe
	v_cndmask_b32_e64 v0, v0, 0, s0
	s_delay_alu instid0(VALU_DEP_1)
	v_or_b32_e32 v3, v4, v0
	v_add_co_u32 v0, vcc_lo, s2, v1
	s_wait_alu 0xfffd
	v_add_co_ci_u32_e64 v1, null, s3, v2, vcc_lo
	global_store_b32 v[0:1], v3, off
.LBB39_6:
	s_endpgm
	.section	.rodata,"a",@progbits
	.p2align	6, 0x0
	.amdhsa_kernel _ZN9rocsolver6v33100L38stedc_mergePrepare_SetCandFlags_kernelIdEEviiPT_lS3_Pi
		.amdhsa_group_segment_fixed_size 0
		.amdhsa_private_segment_fixed_size 0
		.amdhsa_kernarg_size 296
		.amdhsa_user_sgpr_count 2
		.amdhsa_user_sgpr_dispatch_ptr 0
		.amdhsa_user_sgpr_queue_ptr 0
		.amdhsa_user_sgpr_kernarg_segment_ptr 1
		.amdhsa_user_sgpr_dispatch_id 0
		.amdhsa_user_sgpr_private_segment_size 0
		.amdhsa_wavefront_size32 1
		.amdhsa_uses_dynamic_stack 0
		.amdhsa_enable_private_segment 0
		.amdhsa_system_sgpr_workgroup_id_x 1
		.amdhsa_system_sgpr_workgroup_id_y 1
		.amdhsa_system_sgpr_workgroup_id_z 0
		.amdhsa_system_sgpr_workgroup_info 0
		.amdhsa_system_vgpr_workitem_id 0
		.amdhsa_next_free_vgpr 18
		.amdhsa_next_free_sgpr 18
		.amdhsa_reserve_vcc 1
		.amdhsa_float_round_mode_32 0
		.amdhsa_float_round_mode_16_64 0
		.amdhsa_float_denorm_mode_32 3
		.amdhsa_float_denorm_mode_16_64 3
		.amdhsa_fp16_overflow 0
		.amdhsa_workgroup_processor_mode 1
		.amdhsa_memory_ordered 1
		.amdhsa_forward_progress 1
		.amdhsa_inst_pref_size 6
		.amdhsa_round_robin_scheduling 0
		.amdhsa_exception_fp_ieee_invalid_op 0
		.amdhsa_exception_fp_denorm_src 0
		.amdhsa_exception_fp_ieee_div_zero 0
		.amdhsa_exception_fp_ieee_overflow 0
		.amdhsa_exception_fp_ieee_underflow 0
		.amdhsa_exception_fp_ieee_inexact 0
		.amdhsa_exception_int_div_zero 0
	.end_amdhsa_kernel
	.section	.text._ZN9rocsolver6v33100L38stedc_mergePrepare_SetCandFlags_kernelIdEEviiPT_lS3_Pi,"axG",@progbits,_ZN9rocsolver6v33100L38stedc_mergePrepare_SetCandFlags_kernelIdEEviiPT_lS3_Pi,comdat
.Lfunc_end39:
	.size	_ZN9rocsolver6v33100L38stedc_mergePrepare_SetCandFlags_kernelIdEEviiPT_lS3_Pi, .Lfunc_end39-_ZN9rocsolver6v33100L38stedc_mergePrepare_SetCandFlags_kernelIdEEviiPT_lS3_Pi
                                        ; -- End function
	.set _ZN9rocsolver6v33100L38stedc_mergePrepare_SetCandFlags_kernelIdEEviiPT_lS3_Pi.num_vgpr, 18
	.set _ZN9rocsolver6v33100L38stedc_mergePrepare_SetCandFlags_kernelIdEEviiPT_lS3_Pi.num_agpr, 0
	.set _ZN9rocsolver6v33100L38stedc_mergePrepare_SetCandFlags_kernelIdEEviiPT_lS3_Pi.numbered_sgpr, 18
	.set _ZN9rocsolver6v33100L38stedc_mergePrepare_SetCandFlags_kernelIdEEviiPT_lS3_Pi.num_named_barrier, 0
	.set _ZN9rocsolver6v33100L38stedc_mergePrepare_SetCandFlags_kernelIdEEviiPT_lS3_Pi.private_seg_size, 0
	.set _ZN9rocsolver6v33100L38stedc_mergePrepare_SetCandFlags_kernelIdEEviiPT_lS3_Pi.uses_vcc, 1
	.set _ZN9rocsolver6v33100L38stedc_mergePrepare_SetCandFlags_kernelIdEEviiPT_lS3_Pi.uses_flat_scratch, 0
	.set _ZN9rocsolver6v33100L38stedc_mergePrepare_SetCandFlags_kernelIdEEviiPT_lS3_Pi.has_dyn_sized_stack, 0
	.set _ZN9rocsolver6v33100L38stedc_mergePrepare_SetCandFlags_kernelIdEEviiPT_lS3_Pi.has_recursion, 0
	.set _ZN9rocsolver6v33100L38stedc_mergePrepare_SetCandFlags_kernelIdEEviiPT_lS3_Pi.has_indirect_call, 0
	.section	.AMDGPU.csdata,"",@progbits
; Kernel info:
; codeLenInByte = 760
; TotalNumSgprs: 20
; NumVgprs: 18
; ScratchSize: 0
; MemoryBound: 0
; FloatMode: 240
; IeeeMode: 1
; LDSByteSize: 0 bytes/workgroup (compile time only)
; SGPRBlocks: 0
; VGPRBlocks: 2
; NumSGPRsForWavesPerEU: 20
; NumVGPRsForWavesPerEU: 18
; Occupancy: 16
; WaveLimiterHint : 0
; COMPUTE_PGM_RSRC2:SCRATCH_EN: 0
; COMPUTE_PGM_RSRC2:USER_SGPR: 2
; COMPUTE_PGM_RSRC2:TRAP_HANDLER: 0
; COMPUTE_PGM_RSRC2:TGID_X_EN: 1
; COMPUTE_PGM_RSRC2:TGID_Y_EN: 1
; COMPUTE_PGM_RSRC2:TGID_Z_EN: 0
; COMPUTE_PGM_RSRC2:TIDIG_COMP_CNT: 0
	.section	.text._ZN9rocsolver6v33100L38stedc_mergePrepare_DeflateCount_kernelIdEEviiPT_lS3_Pi,"axG",@progbits,_ZN9rocsolver6v33100L38stedc_mergePrepare_DeflateCount_kernelIdEEviiPT_lS3_Pi,comdat
	.globl	_ZN9rocsolver6v33100L38stedc_mergePrepare_DeflateCount_kernelIdEEviiPT_lS3_Pi ; -- Begin function _ZN9rocsolver6v33100L38stedc_mergePrepare_DeflateCount_kernelIdEEviiPT_lS3_Pi
	.p2align	8
	.type	_ZN9rocsolver6v33100L38stedc_mergePrepare_DeflateCount_kernelIdEEviiPT_lS3_Pi,@function
_ZN9rocsolver6v33100L38stedc_mergePrepare_DeflateCount_kernelIdEEviiPT_lS3_Pi: ; @_ZN9rocsolver6v33100L38stedc_mergePrepare_DeflateCount_kernelIdEEviiPT_lS3_Pi
; %bb.0:
	s_clause 0x2
	s_load_b32 s2, s[0:1], 0x4
	s_load_b32 s3, s[0:1], 0x34
	s_load_b128 s[4:7], s[0:1], 0x18
	s_mov_b32 s24, -1
	s_wait_kmcnt 0x0
	s_mul_i32 s18, s2, ttmp7
	s_and_b32 s23, s3, 0xffff
	s_mul_i32 s0, s18, 13
	s_mul_i32 s22, ttmp9, s23
	s_ashr_i32 s1, s0, 31
	v_add_nc_u32_e32 v1, s22, v0
	s_lshl_b64 s[10:11], s[0:1], 2
	s_mul_i32 s0, s2, 9
	s_add_nc_u64 s[8:9], s[6:7], s[10:11]
	s_ashr_i32 s1, s0, 31
	s_ashr_i32 s3, s2, 31
	s_lshl_b64 s[12:13], s[0:1], 2
	v_max_i32_e32 v2, 1, v1
	s_add_nc_u64 s[8:9], s[8:9], s[12:13]
	s_lshl_b64 s[14:15], s[2:3], 3
	s_mov_b32 s0, exec_lo
	s_add_nc_u64 s[16:17], s[8:9], s[14:15]
	v_cmpx_ge_i32_e64 s2, v2
	s_cbranch_execz .LBB40_2
; %bb.1:
	v_mov_b32_e32 v3, 0
	s_delay_alu instid0(VALU_DEP_1) | instskip(NEXT) | instid1(VALU_DEP_1)
	v_lshlrev_b64_e32 v[2:3], 2, v[2:3]
	v_add_co_u32 v2, vcc_lo, s16, v2
	s_delay_alu instid0(VALU_DEP_1) | instskip(SKIP_3) | instid1(VALU_DEP_1)
	v_add_co_ci_u32_e64 v3, null, s17, v3, vcc_lo
	global_load_b32 v2, v[2:3], off offset:-4
	s_wait_loadcnt 0x0
	v_and_b32_e32 v2, 1, v2
	v_cmp_eq_u32_e32 vcc_lo, 0, v2
	s_or_not1_b32 s24, vcc_lo, exec_lo
.LBB40_2:
	s_or_b32 exec_lo, exec_lo, s0
	v_cmp_gt_i32_e64 s0, s2, v1
	v_ashrrev_i32_e32 v2, 31, v1
	s_mov_b32 s1, 0
	v_cmp_le_i32_e32 vcc_lo, s2, v1
	s_and_saveexec_b32 s19, s0
	s_cbranch_execz .LBB40_4
; %bb.3:
	v_lshlrev_b64_e32 v[3:4], 2, v[1:2]
	s_delay_alu instid0(VALU_DEP_1) | instskip(NEXT) | instid1(VALU_DEP_1)
	v_add_co_u32 v3, s1, s16, v3
	v_add_co_ci_u32_e64 v4, null, s17, v4, s1
	global_load_b32 v3, v[3:4], off
	s_wait_loadcnt 0x0
	v_and_b32_e32 v3, 1, v3
	s_delay_alu instid0(VALU_DEP_1)
	v_cmp_eq_u32_e64 s1, 1, v3
	s_and_b32 s1, s1, exec_lo
.LBB40_4:
	s_or_b32 exec_lo, exec_lo, s19
	s_mul_i32 s16, s18, 10
	s_mul_i32 s18, s2, 6
	s_wait_alu 0xfffe
	s_ashr_i32 s17, s16, 31
	v_mov_b32_e32 v3, 0
	s_wait_alu 0xfffe
	s_lshl_b64 s[16:17], s[16:17], 3
	s_ashr_i32 s19, s18, 31
	v_mov_b32_e32 v4, 0
	s_wait_alu 0xfffe
	s_add_nc_u64 s[20:21], s[4:5], s[16:17]
	s_lshl_b64 s[18:19], s[18:19], 3
	s_delay_alu instid0(SALU_CYCLE_1)
	s_add_nc_u64 s[20:21], s[20:21], s[18:19]
	s_and_saveexec_b32 s25, s0
	s_cbranch_execz .LBB40_6
; %bb.5:
	v_lshlrev_b64_e32 v[3:4], 3, v[1:2]
	s_delay_alu instid0(VALU_DEP_1) | instskip(SKIP_1) | instid1(VALU_DEP_2)
	v_add_co_u32 v3, s0, s20, v3
	s_wait_alu 0xf1ff
	v_add_co_ci_u32_e64 v4, null, s21, v4, s0
	global_load_b64 v[3:4], v[3:4], off
.LBB40_6:
	s_or_b32 exec_lo, exec_lo, s25
	s_and_saveexec_b32 s0, vcc_lo
	s_wait_alu 0xfffe
	s_xor_b32 s0, exec_lo, s0
	s_wait_alu 0xfffe
	s_or_saveexec_b32 s0, s0
	v_mov_b32_e32 v5, 0
	v_mov_b32_e32 v6, 0
	s_wait_alu 0xfffe
	s_xor_b32 exec_lo, exec_lo, s0
	s_cbranch_execz .LBB40_8
; %bb.7:
	s_lshl_b64 s[26:27], s[2:3], 4
	v_lshlrev_b64_e32 v[5:6], 3, v[1:2]
	s_sub_nc_u64 s[26:27], 0, s[26:27]
	s_delay_alu instid0(SALU_CYCLE_1) | instskip(SKIP_1) | instid1(VALU_DEP_1)
	s_add_nc_u64 s[20:21], s[20:21], s[26:27]
	s_wait_alu 0xfffe
	v_add_co_u32 v5, vcc_lo, s20, v5
	s_wait_alu 0xfffd
	v_add_co_ci_u32_e64 v6, null, s21, v6, vcc_lo
	global_load_b64 v[5:6], v[5:6], off
.LBB40_8:
	s_or_b32 exec_lo, exec_lo, s0
	s_add_nc_u64 s[10:11], s[14:15], s[10:11]
	v_lshlrev_b64_e32 v[7:8], 2, v[1:2]
	s_add_nc_u64 s[10:11], s[10:11], s[12:13]
	v_lshlrev_b64_e32 v[9:10], 3, v[1:2]
	s_add_nc_u64 s[6:7], s[6:7], s[10:11]
	s_add_nc_u64 s[10:11], s[16:17], s[18:19]
	v_lshlrev_b32_e32 v13, 3, v0
	v_dual_mov_b32 v17, v0 :: v_dual_lshlrev_b32 v14, 2, v0
	v_add_co_u32 v7, vcc_lo, s6, v7
	s_add_nc_u64 s[4:5], s[4:5], s[10:11]
	s_wait_alu 0xfffd
	v_add_co_ci_u32_e64 v8, null, s7, v8, vcc_lo
	v_add_co_u32 v9, vcc_lo, s4, v9
	s_wait_alu 0xfffd
	v_add_co_ci_u32_e64 v10, null, s5, v10, vcc_lo
	v_or_b32_e32 v15, 0x8000, v14
	v_mov_b32_e32 v16, v13
	s_lshl_b32 s10, s23, 3
	s_mov_b32 s3, 0
	s_lshl_b32 s11, s23, 2
	s_branch .LBB40_10
.LBB40_9:                               ;   in Loop: Header=BB40_10 Depth=1
	s_wait_alu 0xfffe
	s_or_b32 exec_lo, exec_lo, s0
	v_add_nc_u32_e32 v17, s23, v17
	v_add_co_u32 v7, vcc_lo, v7, s11
	s_wait_alu 0xfffd
	v_add_co_ci_u32_e64 v8, null, 0, v8, vcc_lo
	s_delay_alu instid0(VALU_DEP_3)
	v_cmp_lt_u32_e32 vcc_lo, 0xfff, v17
	v_add_co_u32 v9, s0, v9, s10
	s_wait_loadcnt 0x1
	ds_store_b64 v16, v[11:12]
	s_wait_loadcnt 0x0
	ds_store_b32 v15, v18
	v_add_nc_u32_e32 v16, s10, v16
	s_wait_alu 0xf1ff
	v_add_co_ci_u32_e64 v10, null, 0, v10, s0
	v_add_nc_u32_e32 v15, s11, v15
	s_or_b32 s3, vcc_lo, s3
	s_wait_alu 0xfffe
	s_and_not1_b32 exec_lo, exec_lo, s3
	s_cbranch_execz .LBB40_12
.LBB40_10:                              ; =>This Inner Loop Header: Depth=1
	v_dual_mov_b32 v11, 0 :: v_dual_add_nc_u32 v18, s22, v17
	v_mov_b32_e32 v12, 0
	s_delay_alu instid0(VALU_DEP_2)
	v_cmp_gt_i32_e32 vcc_lo, s2, v18
	v_mov_b32_e32 v18, 0
	s_and_saveexec_b32 s0, vcc_lo
	s_cbranch_execz .LBB40_9
; %bb.11:                               ;   in Loop: Header=BB40_10 Depth=1
	global_load_b64 v[11:12], v[9:10], off
	global_load_b32 v18, v[7:8], off
	s_branch .LBB40_9
.LBB40_12:
	s_or_b32 exec_lo, exec_lo, s3
	v_cmp_eq_u32_e32 vcc_lo, 0, v1
	s_wait_dscnt 0x0
	s_barrier_signal -1
	s_barrier_wait -1
	global_inv scope:SCOPE_SE
	s_or_b32 s0, vcc_lo, s24
	s_wait_alu 0xfffe
	s_and_b32 s0, s1, s0
	s_wait_alu 0xfffe
	s_and_saveexec_b32 s1, s0
	s_cbranch_execz .LBB40_20
; %bb.13:
	ds_load_b32 v8, v14 offset:32776
	v_add_nc_u32_e32 v7, 2, v1
	s_delay_alu instid0(VALU_DEP_1) | instskip(SKIP_2) | instid1(VALU_DEP_1)
	v_cmp_gt_i32_e32 vcc_lo, s2, v7
	s_wait_dscnt 0x0
	v_and_b32_e32 v8, 2, v8
	v_cmp_ne_u32_e64 s0, 0, v8
	s_and_b32 s0, vcc_lo, s0
	s_wait_alu 0xfffe
	s_and_saveexec_b32 s3, s0
	s_cbranch_execz .LBB40_19
; %bb.14:
	v_ashrrev_i32_e32 v8, 31, v7
	v_add_nc_u32_e32 v9, 0x800c, v14
	v_add_nc_u32_e32 v13, 16, v13
	s_mov_b64 s[10:11], src_shared_base
	s_delay_alu instid0(VALU_DEP_3) | instskip(SKIP_1) | instid1(VALU_DEP_2)
	v_lshlrev_b64_e32 v[10:11], 2, v[7:8]
	v_lshlrev_b64_e32 v[7:8], 3, v[7:8]
	v_add_co_u32 v2, vcc_lo, s6, v10
	s_wait_alu 0xfffd
	s_delay_alu instid0(VALU_DEP_3) | instskip(NEXT) | instid1(VALU_DEP_3)
	v_add_co_ci_u32_e64 v14, null, s7, v11, vcc_lo
	v_add_co_u32 v10, vcc_lo, s4, v7
	s_wait_alu 0xfffd
	v_add_co_ci_u32_e64 v11, null, s5, v8, vcc_lo
	v_add_co_u32 v12, vcc_lo, v2, 4
	s_wait_alu 0xfffd
	v_add_co_ci_u32_e64 v14, null, 0, v14, vcc_lo
	s_mov_b32 s4, 0
	s_branch .LBB40_16
.LBB40_15:                              ;   in Loop: Header=BB40_16 Depth=1
	s_wait_alu 0xfffe
	s_or_b32 exec_lo, exec_lo, s0
	v_add_nc_u32_e32 v2, 3, v0
	v_add_nc_u32_e32 v0, 1, v0
	;; [unrolled: 1-line block ×3, first 2 shown]
	s_delay_alu instid0(VALU_DEP_3)
	v_cmp_gt_i32_e32 vcc_lo, 0x1000, v2
	s_wait_alu 0xfffd
	v_cndmask_b32_e64 v8, v14, s11, vcc_lo
	v_cndmask_b32_e32 v7, v12, v9, vcc_lo
	v_add_co_u32 v10, vcc_lo, v10, 8
	s_wait_alu 0xfffd
	v_add_co_ci_u32_e64 v11, null, 0, v11, vcc_lo
	flat_load_b32 v2, v[7:8]
	v_add_nc_u32_e32 v7, 3, v15
	v_add_co_u32 v12, s1, v12, 4
	s_wait_alu 0xf1ff
	v_add_co_ci_u32_e64 v14, null, 0, v14, s1
	s_delay_alu instid0(VALU_DEP_3) | instskip(SKIP_3) | instid1(VALU_DEP_1)
	v_cmp_le_i32_e32 vcc_lo, s2, v7
	v_add_nc_u32_e32 v9, 4, v9
	s_wait_loadcnt_dscnt 0x0
	v_and_b32_e32 v2, 2, v2
	v_cmp_eq_u32_e64 s0, 0, v2
	s_or_b32 s0, vcc_lo, s0
	s_wait_alu 0xfffe
	s_and_b32 s0, exec_lo, s0
	s_wait_alu 0xfffe
	s_or_b32 s4, s0, s4
	s_wait_alu 0xfffe
	s_and_not1_b32 exec_lo, exec_lo, s4
	s_cbranch_execz .LBB40_18
.LBB40_16:                              ; =>This Inner Loop Header: Depth=1
	v_add_nc_u32_e32 v2, 2, v0
	s_delay_alu instid0(VALU_DEP_1)
	v_cmp_gt_i32_e32 vcc_lo, 0x1000, v2
	s_wait_alu 0xfffc
	v_cndmask_b32_e64 v8, v11, s11, vcc_lo
	v_cndmask_b32_e32 v7, v10, v13, vcc_lo
	flat_load_b64 v[7:8], v[7:8]
	s_wait_loadcnt_dscnt 0x0
	v_add_f64_e64 v[15:16], v[7:8], -v[3:4]
	s_delay_alu instid0(VALU_DEP_1)
	v_cmp_gt_f64_e32 vcc_lo, v[15:16], v[5:6]
	v_add_nc_u32_e32 v15, s22, v0
	s_and_saveexec_b32 s0, vcc_lo
	s_cbranch_execz .LBB40_15
; %bb.17:                               ;   in Loop: Header=BB40_16 Depth=1
	v_ashrrev_i32_e32 v2, 31, v1
	s_delay_alu instid0(VALU_DEP_2) | instskip(SKIP_1) | instid1(VALU_DEP_3)
	v_sub_nc_u32_e32 v3, v15, v1
	v_add_nc_u32_e32 v18, 2, v15
	v_lshlrev_b64_e32 v[1:2], 2, v[1:2]
	s_delay_alu instid0(VALU_DEP_3) | instskip(SKIP_1) | instid1(VALU_DEP_3)
	v_add_nc_u32_e32 v19, 1, v3
	v_dual_mov_b32 v3, v7 :: v_dual_mov_b32 v4, v8
	v_add_co_u32 v16, vcc_lo, s8, v1
	s_wait_alu 0xfffd
	s_delay_alu instid0(VALU_DEP_4)
	v_add_co_ci_u32_e64 v17, null, s9, v2, vcc_lo
	v_mov_b32_e32 v1, v18
	global_store_b32 v[16:17], v19, off
	s_branch .LBB40_15
.LBB40_18:
	s_or_b32 exec_lo, exec_lo, s4
	v_add3_u32 v7, s22, v0, 2
	v_ashrrev_i32_e32 v2, 31, v1
.LBB40_19:
	s_wait_alu 0xfffe
	s_or_b32 exec_lo, exec_lo, s3
	s_delay_alu instid0(VALU_DEP_1) | instskip(SKIP_1) | instid1(VALU_DEP_2)
	v_lshlrev_b64_e32 v[2:3], 2, v[1:2]
	v_xad_u32 v4, v1, -1, v7
	v_add_co_u32 v0, vcc_lo, s8, v2
	s_wait_alu 0xfffd
	s_delay_alu instid0(VALU_DEP_3)
	v_add_co_ci_u32_e64 v1, null, s9, v3, vcc_lo
	global_store_b32 v[0:1], v4, off
.LBB40_20:
	s_endpgm
	.section	.rodata,"a",@progbits
	.p2align	6, 0x0
	.amdhsa_kernel _ZN9rocsolver6v33100L38stedc_mergePrepare_DeflateCount_kernelIdEEviiPT_lS3_Pi
		.amdhsa_group_segment_fixed_size 49152
		.amdhsa_private_segment_fixed_size 0
		.amdhsa_kernarg_size 296
		.amdhsa_user_sgpr_count 2
		.amdhsa_user_sgpr_dispatch_ptr 0
		.amdhsa_user_sgpr_queue_ptr 0
		.amdhsa_user_sgpr_kernarg_segment_ptr 1
		.amdhsa_user_sgpr_dispatch_id 0
		.amdhsa_user_sgpr_private_segment_size 0
		.amdhsa_wavefront_size32 1
		.amdhsa_uses_dynamic_stack 0
		.amdhsa_enable_private_segment 0
		.amdhsa_system_sgpr_workgroup_id_x 1
		.amdhsa_system_sgpr_workgroup_id_y 1
		.amdhsa_system_sgpr_workgroup_id_z 0
		.amdhsa_system_sgpr_workgroup_info 0
		.amdhsa_system_vgpr_workitem_id 0
		.amdhsa_next_free_vgpr 169
		.amdhsa_next_free_sgpr 28
		.amdhsa_reserve_vcc 1
		.amdhsa_float_round_mode_32 0
		.amdhsa_float_round_mode_16_64 0
		.amdhsa_float_denorm_mode_32 3
		.amdhsa_float_denorm_mode_16_64 3
		.amdhsa_fp16_overflow 0
		.amdhsa_workgroup_processor_mode 1
		.amdhsa_memory_ordered 1
		.amdhsa_forward_progress 1
		.amdhsa_inst_pref_size 11
		.amdhsa_round_robin_scheduling 0
		.amdhsa_exception_fp_ieee_invalid_op 0
		.amdhsa_exception_fp_denorm_src 0
		.amdhsa_exception_fp_ieee_div_zero 0
		.amdhsa_exception_fp_ieee_overflow 0
		.amdhsa_exception_fp_ieee_underflow 0
		.amdhsa_exception_fp_ieee_inexact 0
		.amdhsa_exception_int_div_zero 0
	.end_amdhsa_kernel
	.section	.text._ZN9rocsolver6v33100L38stedc_mergePrepare_DeflateCount_kernelIdEEviiPT_lS3_Pi,"axG",@progbits,_ZN9rocsolver6v33100L38stedc_mergePrepare_DeflateCount_kernelIdEEviiPT_lS3_Pi,comdat
.Lfunc_end40:
	.size	_ZN9rocsolver6v33100L38stedc_mergePrepare_DeflateCount_kernelIdEEviiPT_lS3_Pi, .Lfunc_end40-_ZN9rocsolver6v33100L38stedc_mergePrepare_DeflateCount_kernelIdEEviiPT_lS3_Pi
                                        ; -- End function
	.set _ZN9rocsolver6v33100L38stedc_mergePrepare_DeflateCount_kernelIdEEviiPT_lS3_Pi.num_vgpr, 20
	.set _ZN9rocsolver6v33100L38stedc_mergePrepare_DeflateCount_kernelIdEEviiPT_lS3_Pi.num_agpr, 0
	.set _ZN9rocsolver6v33100L38stedc_mergePrepare_DeflateCount_kernelIdEEviiPT_lS3_Pi.numbered_sgpr, 28
	.set _ZN9rocsolver6v33100L38stedc_mergePrepare_DeflateCount_kernelIdEEviiPT_lS3_Pi.num_named_barrier, 0
	.set _ZN9rocsolver6v33100L38stedc_mergePrepare_DeflateCount_kernelIdEEviiPT_lS3_Pi.private_seg_size, 0
	.set _ZN9rocsolver6v33100L38stedc_mergePrepare_DeflateCount_kernelIdEEviiPT_lS3_Pi.uses_vcc, 1
	.set _ZN9rocsolver6v33100L38stedc_mergePrepare_DeflateCount_kernelIdEEviiPT_lS3_Pi.uses_flat_scratch, 0
	.set _ZN9rocsolver6v33100L38stedc_mergePrepare_DeflateCount_kernelIdEEviiPT_lS3_Pi.has_dyn_sized_stack, 0
	.set _ZN9rocsolver6v33100L38stedc_mergePrepare_DeflateCount_kernelIdEEviiPT_lS3_Pi.has_recursion, 0
	.set _ZN9rocsolver6v33100L38stedc_mergePrepare_DeflateCount_kernelIdEEviiPT_lS3_Pi.has_indirect_call, 0
	.section	.AMDGPU.csdata,"",@progbits
; Kernel info:
; codeLenInByte = 1376
; TotalNumSgprs: 30
; NumVgprs: 20
; ScratchSize: 0
; MemoryBound: 0
; FloatMode: 240
; IeeeMode: 1
; LDSByteSize: 49152 bytes/workgroup (compile time only)
; SGPRBlocks: 0
; VGPRBlocks: 21
; NumSGPRsForWavesPerEU: 30
; NumVGPRsForWavesPerEU: 169
; Occupancy: 8
; WaveLimiterHint : 0
; COMPUTE_PGM_RSRC2:SCRATCH_EN: 0
; COMPUTE_PGM_RSRC2:USER_SGPR: 2
; COMPUTE_PGM_RSRC2:TRAP_HANDLER: 0
; COMPUTE_PGM_RSRC2:TGID_X_EN: 1
; COMPUTE_PGM_RSRC2:TGID_Y_EN: 1
; COMPUTE_PGM_RSRC2:TGID_Z_EN: 0
; COMPUTE_PGM_RSRC2:TIDIG_COMP_CNT: 0
	.section	.text._ZN9rocsolver6v33100L38stedc_mergePrepare_DeflateApply_kernelIdEEviiPT_lS3_Pi,"axG",@progbits,_ZN9rocsolver6v33100L38stedc_mergePrepare_DeflateApply_kernelIdEEviiPT_lS3_Pi,comdat
	.globl	_ZN9rocsolver6v33100L38stedc_mergePrepare_DeflateApply_kernelIdEEviiPT_lS3_Pi ; -- Begin function _ZN9rocsolver6v33100L38stedc_mergePrepare_DeflateApply_kernelIdEEviiPT_lS3_Pi
	.p2align	8
	.type	_ZN9rocsolver6v33100L38stedc_mergePrepare_DeflateApply_kernelIdEEviiPT_lS3_Pi,@function
_ZN9rocsolver6v33100L38stedc_mergePrepare_DeflateApply_kernelIdEEviiPT_lS3_Pi: ; @_ZN9rocsolver6v33100L38stedc_mergePrepare_DeflateApply_kernelIdEEviiPT_lS3_Pi
; %bb.0:
	s_clause 0x2
	s_load_b32 s10, s[0:1], 0x4
	s_load_b32 s5, s[0:1], 0x34
	s_load_b128 s[0:3], s[0:1], 0x18
	s_wait_kmcnt 0x0
	s_mul_i32 s18, ttmp7, s10
	s_and_b32 s17, s5, 0xffff
	s_mul_i32 s6, s18, 13
	s_mul_i32 s16, ttmp9, s17
	s_lshl_b32 s4, s10, 3
	v_add_nc_u32_e32 v1, s16, v0
	s_ashr_i32 s7, s6, 31
	s_ashr_i32 s5, s4, 31
	s_lshl_b64 s[8:9], s[6:7], 2
	s_lshl_b64 s[14:15], s[4:5], 2
	v_ashrrev_i32_e32 v2, 31, v1
	s_add_nc_u64 s[4:5], s[2:3], s[8:9]
	s_ashr_i32 s11, s10, 31
	s_add_nc_u64 s[4:5], s[4:5], s[14:15]
	s_lshl_b64 s[12:13], s[10:11], 3
	s_mov_b32 s6, exec_lo
	v_cmpx_le_i32_e64 s10, v1
	s_xor_b32 s6, exec_lo, s6
	s_delay_alu instid0(SALU_CYCLE_1)
	s_or_saveexec_b32 s19, s6
	v_mov_b32_e32 v19, 0
	s_add_nc_u64 s[6:7], s[4:5], s[12:13]
	s_xor_b32 exec_lo, exec_lo, s19
	s_cbranch_execz .LBB41_2
; %bb.1:
	s_lshl_b64 s[20:21], s[10:11], 2
	v_lshlrev_b64_e32 v[3:4], 2, v[1:2]
	s_sub_nc_u64 s[20:21], 0, s[20:21]
	s_delay_alu instid0(SALU_CYCLE_1)
	s_add_nc_u64 s[20:21], s[6:7], s[20:21]
	s_delay_alu instid0(VALU_DEP_1) | instid1(SALU_CYCLE_1)
	v_add_co_u32 v3, vcc_lo, s20, v3
	s_delay_alu instid0(VALU_DEP_1)
	v_add_co_ci_u32_e64 v4, null, s21, v4, vcc_lo
	global_load_b32 v19, v[3:4], off
.LBB41_2:
	s_or_b32 exec_lo, exec_lo, s19
	s_mul_i32 s18, s18, 10
	s_add_nc_u64 s[20:21], s[12:13], s[8:9]
	s_ashr_i32 s19, s18, 31
	v_lshlrev_b64_e32 v[1:2], 2, v[1:2]
	s_lshl_b64 s[8:9], s[18:19], 3
	v_dual_mov_b32 v9, v0 :: v_dual_lshlrev_b32 v20, 2, v0
	s_add_nc_u64 s[8:9], s[0:1], s[8:9]
	s_wait_alu 0xfffe
	s_add_nc_u64 s[0:1], s[20:21], s[14:15]
	v_lshlrev_b32_e32 v6, 3, v0
	s_add_nc_u64 s[0:1], s[2:3], s[0:1]
	v_or_b32_e32 v7, 0x8000, v20
	v_add_co_u32 v1, vcc_lo, s0, v1
	s_wait_alu 0xfffd
	v_add_co_ci_u32_e64 v2, null, s1, v2, vcc_lo
	v_mov_b32_e32 v8, v6
	s_lshl_b32 s2, s17, 2
	s_mov_b32 s1, 0
	s_lshl_b32 s3, s17, 3
	s_branch .LBB41_4
.LBB41_3:                               ;   in Loop: Header=BB41_4 Depth=1
	s_wait_alu 0xfffe
	s_or_b32 exec_lo, exec_lo, s0
	v_add_nc_u32_e32 v9, s17, v9
	v_add_co_u32 v1, s0, v1, s2
	ds_store_b32 v7, v3
	s_wait_loadcnt 0x0
	ds_store_b64 v8, v[4:5]
	v_add_nc_u32_e32 v7, s2, v7
	v_cmp_lt_u32_e32 vcc_lo, 0xfff, v9
	s_wait_alu 0xf1ff
	v_add_co_ci_u32_e64 v2, null, 0, v2, s0
	v_add_nc_u32_e32 v8, s3, v8
	s_or_b32 s1, vcc_lo, s1
	s_wait_alu 0xfffe
	s_and_not1_b32 exec_lo, exec_lo, s1
	s_cbranch_execz .LBB41_6
.LBB41_4:                               ; =>This Inner Loop Header: Depth=1
	v_dual_mov_b32 v4, 0 :: v_dual_add_nc_u32 v3, s16, v9
	v_mov_b32_e32 v5, 0
	s_delay_alu instid0(VALU_DEP_2)
	v_cmp_gt_i32_e32 vcc_lo, s10, v3
	v_mov_b32_e32 v3, 0
	s_and_saveexec_b32 s0, vcc_lo
	s_cbranch_execz .LBB41_3
; %bb.5:                                ;   in Loop: Header=BB41_4 Depth=1
	global_load_b32 v3, v[1:2], off
	s_wait_loadcnt 0x0
	v_ashrrev_i32_e32 v4, 31, v3
	s_delay_alu instid0(VALU_DEP_1) | instskip(NEXT) | instid1(VALU_DEP_1)
	v_lshlrev_b64_e32 v[4:5], 3, v[3:4]
	v_add_co_u32 v4, vcc_lo, s8, v4
	s_wait_alu 0xfffd
	s_delay_alu instid0(VALU_DEP_2)
	v_add_co_ci_u32_e64 v5, null, s9, v5, vcc_lo
	global_load_b64 v[4:5], v[4:5], off
	s_branch .LBB41_3
.LBB41_6:
	s_or_b32 exec_lo, exec_lo, s1
	s_wait_dscnt 0x0
	s_barrier_signal -1
	s_barrier_wait -1
	global_inv scope:SCOPE_SE
	s_mov_b32 s0, exec_lo
	v_cmpx_ne_u32_e32 0, v19
	s_cbranch_execz .LBB41_22
; %bb.7:
	v_lshlrev_b32_e32 v1, 3, v0
	s_mov_b32 s14, exec_lo
	ds_load_b64 v[1:2], v1
	v_cmpx_lt_i32_e32 0, v19
	s_cbranch_execz .LBB41_21
; %bb.8:
	s_lshl_b32 s2, s10, 1
	v_dual_mov_b32 v3, 0 :: v_dual_add_nc_u32 v22, 0x8004, v20
	s_wait_alu 0xfffe
	s_ashr_i32 s3, s2, 31
	v_add_nc_u32_e32 v21, 8, v6
	s_wait_alu 0xfffe
	s_lshl_b64 s[2:3], s[2:3], 3
	v_add_nc_u32_e32 v0, 1, v0
	v_mov_b32_e32 v4, v3
	s_wait_alu 0xfffe
	s_add_nc_u64 s[2:3], s[8:9], s[2:3]
	s_mov_b64 s[0:1], src_shared_base
	s_wait_alu 0xfffe
	s_add_nc_u64 s[10:11], s[2:3], s[12:13]
	s_mov_b32 s12, 0
	s_branch .LBB41_11
.LBB41_9:                               ;   in Loop: Header=BB41_11 Depth=1
	s_or_b32 exec_lo, exec_lo, s13
	s_delay_alu instid0(VALU_DEP_1)
	v_dual_mov_b32 v1, v17 :: v_dual_mov_b32 v2, v18
.LBB41_10:                              ;   in Loop: Header=BB41_11 Depth=1
	s_wait_alu 0xfffe
	s_or_b32 exec_lo, exec_lo, s0
	v_lshlrev_b64_e32 v[9:10], 2, v[9:10]
	v_add_nc_u32_e32 v19, -1, v19
	v_add_nc_u32_e32 v21, 8, v21
	v_add_nc_u32_e32 v22, 4, v22
	;; [unrolled: 1-line block ×3, first 2 shown]
	global_store_b64 v[5:6], v[3:4], off
	v_add_co_u32 v9, vcc_lo, s4, v9
	s_wait_alu 0xfffd
	v_add_co_ci_u32_e64 v10, null, s5, v10, vcc_lo
	v_add_co_u32 v11, vcc_lo, s2, v7
	s_wait_alu 0xfffd
	v_add_co_ci_u32_e64 v12, null, s3, v8, vcc_lo
	;; [unrolled: 3-line block ×3, first 2 shown]
	v_cmp_eq_u32_e32 vcc_lo, 0, v19
	global_store_b32 v[9:10], v3, off
	s_clause 0x1
	global_store_b64 v[11:12], v[15:16], off
	global_store_b64 v[7:8], v[13:14], off
	s_or_b32 s12, vcc_lo, s12
	s_delay_alu instid0(SALU_CYCLE_1)
	s_and_not1_b32 exec_lo, exec_lo, s12
	s_cbranch_execz .LBB41_20
.LBB41_11:                              ; =>This Inner Loop Header: Depth=1
	v_add_nc_u32_e32 v5, s16, v0
	v_mov_b32_e32 v13, 0
	v_dual_mov_b32 v14, 0 :: v_dual_mov_b32 v15, 0
	v_mov_b32_e32 v16, 0x3ff00000
	s_delay_alu instid0(VALU_DEP_4) | instskip(NEXT) | instid1(VALU_DEP_1)
	v_ashrrev_i32_e32 v6, 31, v5
	v_lshlrev_b64_e32 v[5:6], 2, v[5:6]
	s_delay_alu instid0(VALU_DEP_1) | instskip(SKIP_1) | instid1(VALU_DEP_2)
	v_add_co_u32 v5, vcc_lo, s6, v5
	s_wait_alu 0xfffd
	v_add_co_ci_u32_e64 v6, null, s7, v6, vcc_lo
	v_cmp_gt_i32_e32 vcc_lo, 0x1000, v0
	s_wait_alu 0xfffd
	s_delay_alu instid0(VALU_DEP_2) | instskip(SKIP_4) | instid1(VALU_DEP_1)
	v_cndmask_b32_e64 v6, v6, s1, vcc_lo
	v_cndmask_b32_e32 v5, v5, v22, vcc_lo
	flat_load_b32 v9, v[5:6]
	s_wait_loadcnt_dscnt 0x0
	v_ashrrev_i32_e32 v10, 31, v9
	v_lshlrev_b64_e32 v[7:8], 3, v[9:10]
	s_delay_alu instid0(VALU_DEP_1) | instskip(SKIP_1) | instid1(VALU_DEP_2)
	v_add_co_u32 v5, s0, s8, v7
	s_wait_alu 0xf1ff
	v_add_co_ci_u32_e64 v6, null, s9, v8, s0
	s_mov_b32 s0, exec_lo
	v_cndmask_b32_e32 v11, v5, v21, vcc_lo
	v_cndmask_b32_e64 v12, v6, s1, vcc_lo
	flat_load_b64 v[11:12], v[11:12]
	s_wait_loadcnt_dscnt 0x0
	v_cmpx_neq_f64_e32 0, v[11:12]
	s_cbranch_execz .LBB41_10
; %bb.12:                               ;   in Loop: Header=BB41_11 Depth=1
	v_xor_b32_e32 v18, 0x80000000, v12
	v_mov_b32_e32 v17, v11
	s_mov_b32 s13, exec_lo
                                        ; implicit-def: $vgpr15_vgpr16
                                        ; implicit-def: $vgpr13_vgpr14
	v_cmpx_neq_f64_e32 0, v[1:2]
	s_xor_b32 s13, exec_lo, s13
	s_cbranch_execz .LBB41_18
; %bb.13:                               ;   in Loop: Header=BB41_11 Depth=1
	v_cmp_ngt_f64_e64 s15, |v[11:12]|, |v[1:2]|
                                        ; implicit-def: $vgpr15_vgpr16
                                        ; implicit-def: $vgpr13_vgpr14
	s_and_saveexec_b32 s17, s15
	s_wait_alu 0xfffe
	s_xor_b32 s15, exec_lo, s17
	s_cbranch_execz .LBB41_15
; %bb.14:                               ;   in Loop: Header=BB41_11 Depth=1
	v_div_scale_f64 v[13:14], null, v[1:2], v[1:2], -v[11:12]
	v_div_scale_f64 v[23:24], vcc_lo, -v[11:12], v[1:2], -v[11:12]
	s_delay_alu instid0(VALU_DEP_2) | instskip(NEXT) | instid1(TRANS32_DEP_1)
	v_rcp_f64_e32 v[15:16], v[13:14]
	v_fma_f64 v[17:18], -v[13:14], v[15:16], 1.0
	s_delay_alu instid0(VALU_DEP_1) | instskip(NEXT) | instid1(VALU_DEP_1)
	v_fma_f64 v[15:16], v[15:16], v[17:18], v[15:16]
	v_fma_f64 v[17:18], -v[13:14], v[15:16], 1.0
	s_delay_alu instid0(VALU_DEP_1) | instskip(NEXT) | instid1(VALU_DEP_1)
	v_fma_f64 v[15:16], v[15:16], v[17:18], v[15:16]
	v_mul_f64_e32 v[17:18], v[23:24], v[15:16]
	s_delay_alu instid0(VALU_DEP_1) | instskip(SKIP_1) | instid1(VALU_DEP_1)
	v_fma_f64 v[13:14], -v[13:14], v[17:18], v[23:24]
	s_wait_alu 0xfffd
	v_div_fmas_f64 v[13:14], v[13:14], v[15:16], v[17:18]
	s_delay_alu instid0(VALU_DEP_1) | instskip(NEXT) | instid1(VALU_DEP_1)
	v_div_fixup_f64 v[13:14], v[13:14], v[1:2], -v[11:12]
	v_fma_f64 v[15:16], v[13:14], v[13:14], 1.0
	s_delay_alu instid0(VALU_DEP_1) | instskip(SKIP_2) | instid1(VALU_DEP_1)
	v_cmp_gt_f64_e32 vcc_lo, 0x10000000, v[15:16]
	s_wait_alu 0xfffd
	v_cndmask_b32_e64 v17, 0, 0x100, vcc_lo
	v_ldexp_f64 v[15:16], v[15:16], v17
	s_delay_alu instid0(VALU_DEP_1) | instskip(NEXT) | instid1(TRANS32_DEP_1)
	v_rsq_f64_e32 v[17:18], v[15:16]
	v_mul_f64_e32 v[23:24], v[15:16], v[17:18]
	v_mul_f64_e32 v[17:18], 0.5, v[17:18]
	s_delay_alu instid0(VALU_DEP_1) | instskip(NEXT) | instid1(VALU_DEP_1)
	v_fma_f64 v[25:26], -v[17:18], v[23:24], 0.5
	v_fma_f64 v[23:24], v[23:24], v[25:26], v[23:24]
	v_fma_f64 v[17:18], v[17:18], v[25:26], v[17:18]
	s_delay_alu instid0(VALU_DEP_2) | instskip(NEXT) | instid1(VALU_DEP_1)
	v_fma_f64 v[25:26], -v[23:24], v[23:24], v[15:16]
	v_fma_f64 v[23:24], v[25:26], v[17:18], v[23:24]
	s_delay_alu instid0(VALU_DEP_1) | instskip(NEXT) | instid1(VALU_DEP_1)
	v_fma_f64 v[25:26], -v[23:24], v[23:24], v[15:16]
	v_fma_f64 v[17:18], v[25:26], v[17:18], v[23:24]
	v_cndmask_b32_e64 v23, 0, 0xffffff80, vcc_lo
	v_cmp_class_f64_e64 vcc_lo, v[15:16], 0x260
	s_delay_alu instid0(VALU_DEP_2) | instskip(SKIP_1) | instid1(VALU_DEP_1)
	v_ldexp_f64 v[17:18], v[17:18], v23
	s_wait_alu 0xfffd
	v_dual_cndmask_b32 v16, v18, v16 :: v_dual_cndmask_b32 v15, v17, v15
	s_delay_alu instid0(VALU_DEP_1) | instskip(NEXT) | instid1(VALU_DEP_1)
	v_div_scale_f64 v[17:18], null, v[15:16], v[15:16], 1.0
	v_rcp_f64_e32 v[23:24], v[17:18]
	s_delay_alu instid0(TRANS32_DEP_1) | instskip(NEXT) | instid1(VALU_DEP_1)
	v_fma_f64 v[25:26], -v[17:18], v[23:24], 1.0
	v_fma_f64 v[23:24], v[23:24], v[25:26], v[23:24]
	s_delay_alu instid0(VALU_DEP_1) | instskip(NEXT) | instid1(VALU_DEP_1)
	v_fma_f64 v[25:26], -v[17:18], v[23:24], 1.0
	v_fma_f64 v[23:24], v[23:24], v[25:26], v[23:24]
	v_div_scale_f64 v[25:26], vcc_lo, 1.0, v[15:16], 1.0
	s_delay_alu instid0(VALU_DEP_1) | instskip(NEXT) | instid1(VALU_DEP_1)
	v_mul_f64_e32 v[27:28], v[25:26], v[23:24]
	v_fma_f64 v[17:18], -v[17:18], v[27:28], v[25:26]
	s_wait_alu 0xfffd
	s_delay_alu instid0(VALU_DEP_1) | instskip(NEXT) | instid1(VALU_DEP_1)
	v_div_fmas_f64 v[17:18], v[17:18], v[23:24], v[27:28]
	v_div_fixup_f64 v[15:16], v[17:18], v[15:16], 1.0
	s_delay_alu instid0(VALU_DEP_1)
	v_mul_f64_e32 v[13:14], v[13:14], v[15:16]
.LBB41_15:                              ;   in Loop: Header=BB41_11 Depth=1
	s_and_not1_saveexec_b32 s15, s15
	s_cbranch_execz .LBB41_17
; %bb.16:                               ;   in Loop: Header=BB41_11 Depth=1
	v_div_scale_f64 v[13:14], null, v[11:12], v[11:12], -v[1:2]
	v_div_scale_f64 v[23:24], vcc_lo, -v[1:2], v[11:12], -v[1:2]
	s_delay_alu instid0(VALU_DEP_2) | instskip(NEXT) | instid1(TRANS32_DEP_1)
	v_rcp_f64_e32 v[15:16], v[13:14]
	v_fma_f64 v[17:18], -v[13:14], v[15:16], 1.0
	s_delay_alu instid0(VALU_DEP_1) | instskip(NEXT) | instid1(VALU_DEP_1)
	v_fma_f64 v[15:16], v[15:16], v[17:18], v[15:16]
	v_fma_f64 v[17:18], -v[13:14], v[15:16], 1.0
	s_delay_alu instid0(VALU_DEP_1) | instskip(NEXT) | instid1(VALU_DEP_1)
	v_fma_f64 v[15:16], v[15:16], v[17:18], v[15:16]
	v_mul_f64_e32 v[17:18], v[23:24], v[15:16]
	s_delay_alu instid0(VALU_DEP_1) | instskip(SKIP_1) | instid1(VALU_DEP_1)
	v_fma_f64 v[13:14], -v[13:14], v[17:18], v[23:24]
	s_wait_alu 0xfffd
	v_div_fmas_f64 v[13:14], v[13:14], v[15:16], v[17:18]
	s_delay_alu instid0(VALU_DEP_1) | instskip(NEXT) | instid1(VALU_DEP_1)
	v_div_fixup_f64 v[15:16], v[13:14], v[11:12], -v[1:2]
	v_fma_f64 v[13:14], v[15:16], v[15:16], 1.0
	s_delay_alu instid0(VALU_DEP_1) | instskip(SKIP_2) | instid1(VALU_DEP_1)
	v_cmp_gt_f64_e32 vcc_lo, 0x10000000, v[13:14]
	s_wait_alu 0xfffd
	v_cndmask_b32_e64 v17, 0, 0x100, vcc_lo
	v_ldexp_f64 v[13:14], v[13:14], v17
	s_delay_alu instid0(VALU_DEP_1) | instskip(NEXT) | instid1(TRANS32_DEP_1)
	v_rsq_f64_e32 v[17:18], v[13:14]
	v_mul_f64_e32 v[23:24], v[13:14], v[17:18]
	v_mul_f64_e32 v[17:18], 0.5, v[17:18]
	s_delay_alu instid0(VALU_DEP_1) | instskip(NEXT) | instid1(VALU_DEP_1)
	v_fma_f64 v[25:26], -v[17:18], v[23:24], 0.5
	v_fma_f64 v[23:24], v[23:24], v[25:26], v[23:24]
	v_fma_f64 v[17:18], v[17:18], v[25:26], v[17:18]
	s_delay_alu instid0(VALU_DEP_2) | instskip(NEXT) | instid1(VALU_DEP_1)
	v_fma_f64 v[25:26], -v[23:24], v[23:24], v[13:14]
	v_fma_f64 v[23:24], v[25:26], v[17:18], v[23:24]
	s_delay_alu instid0(VALU_DEP_1) | instskip(NEXT) | instid1(VALU_DEP_1)
	v_fma_f64 v[25:26], -v[23:24], v[23:24], v[13:14]
	v_fma_f64 v[17:18], v[25:26], v[17:18], v[23:24]
	v_cndmask_b32_e64 v23, 0, 0xffffff80, vcc_lo
	v_cmp_class_f64_e64 vcc_lo, v[13:14], 0x260
	s_delay_alu instid0(VALU_DEP_2) | instskip(SKIP_1) | instid1(VALU_DEP_1)
	v_ldexp_f64 v[17:18], v[17:18], v23
	s_wait_alu 0xfffd
	v_dual_cndmask_b32 v14, v18, v14 :: v_dual_cndmask_b32 v13, v17, v13
	s_delay_alu instid0(VALU_DEP_1) | instskip(NEXT) | instid1(VALU_DEP_1)
	v_div_scale_f64 v[17:18], null, v[13:14], v[13:14], 1.0
	v_rcp_f64_e32 v[23:24], v[17:18]
	s_delay_alu instid0(TRANS32_DEP_1) | instskip(NEXT) | instid1(VALU_DEP_1)
	v_fma_f64 v[25:26], -v[17:18], v[23:24], 1.0
	v_fma_f64 v[23:24], v[23:24], v[25:26], v[23:24]
	s_delay_alu instid0(VALU_DEP_1) | instskip(NEXT) | instid1(VALU_DEP_1)
	v_fma_f64 v[25:26], -v[17:18], v[23:24], 1.0
	v_fma_f64 v[23:24], v[23:24], v[25:26], v[23:24]
	v_div_scale_f64 v[25:26], vcc_lo, 1.0, v[13:14], 1.0
	s_delay_alu instid0(VALU_DEP_1) | instskip(NEXT) | instid1(VALU_DEP_1)
	v_mul_f64_e32 v[27:28], v[25:26], v[23:24]
	v_fma_f64 v[17:18], -v[17:18], v[27:28], v[25:26]
	s_wait_alu 0xfffd
	s_delay_alu instid0(VALU_DEP_1) | instskip(NEXT) | instid1(VALU_DEP_1)
	v_div_fmas_f64 v[17:18], v[17:18], v[23:24], v[27:28]
	v_div_fixup_f64 v[13:14], v[17:18], v[13:14], 1.0
	s_delay_alu instid0(VALU_DEP_1)
	v_mul_f64_e32 v[15:16], v[15:16], v[13:14]
.LBB41_17:                              ;   in Loop: Header=BB41_11 Depth=1
	s_or_b32 exec_lo, exec_lo, s15
	s_delay_alu instid0(VALU_DEP_1) | instskip(NEXT) | instid1(VALU_DEP_1)
	v_mul_f64_e32 v[11:12], v[11:12], v[13:14]
	v_fma_f64 v[17:18], v[1:2], v[15:16], -v[11:12]
.LBB41_18:                              ;   in Loop: Header=BB41_11 Depth=1
	s_and_not1_saveexec_b32 s13, s13
	s_cbranch_execz .LBB41_9
; %bb.19:                               ;   in Loop: Header=BB41_11 Depth=1
	v_mov_b32_e32 v13, 0
	v_dual_mov_b32 v14, 0x3ff00000 :: v_dual_mov_b32 v15, 0
	v_mov_b32_e32 v16, 0
	s_branch .LBB41_9
.LBB41_20:
	s_or_b32 exec_lo, exec_lo, s12
.LBB41_21:
	s_delay_alu instid0(SALU_CYCLE_1) | instskip(SKIP_3) | instid1(VALU_DEP_1)
	s_or_b32 exec_lo, exec_lo, s14
	ds_load_b32 v3, v20 offset:32768
	s_wait_dscnt 0x0
	v_ashrrev_i32_e32 v4, 31, v3
	v_lshlrev_b64_e32 v[3:4], 3, v[3:4]
	s_delay_alu instid0(VALU_DEP_1) | instskip(SKIP_1) | instid1(VALU_DEP_2)
	v_add_co_u32 v3, vcc_lo, s8, v3
	s_wait_alu 0xfffd
	v_add_co_ci_u32_e64 v4, null, s9, v4, vcc_lo
	global_store_b64 v[3:4], v[1:2], off
.LBB41_22:
	s_endpgm
	.section	.rodata,"a",@progbits
	.p2align	6, 0x0
	.amdhsa_kernel _ZN9rocsolver6v33100L38stedc_mergePrepare_DeflateApply_kernelIdEEviiPT_lS3_Pi
		.amdhsa_group_segment_fixed_size 49152
		.amdhsa_private_segment_fixed_size 0
		.amdhsa_kernarg_size 296
		.amdhsa_user_sgpr_count 2
		.amdhsa_user_sgpr_dispatch_ptr 0
		.amdhsa_user_sgpr_queue_ptr 0
		.amdhsa_user_sgpr_kernarg_segment_ptr 1
		.amdhsa_user_sgpr_dispatch_id 0
		.amdhsa_user_sgpr_private_segment_size 0
		.amdhsa_wavefront_size32 1
		.amdhsa_uses_dynamic_stack 0
		.amdhsa_enable_private_segment 0
		.amdhsa_system_sgpr_workgroup_id_x 1
		.amdhsa_system_sgpr_workgroup_id_y 1
		.amdhsa_system_sgpr_workgroup_id_z 0
		.amdhsa_system_sgpr_workgroup_info 0
		.amdhsa_system_vgpr_workitem_id 0
		.amdhsa_next_free_vgpr 169
		.amdhsa_next_free_sgpr 22
		.amdhsa_reserve_vcc 1
		.amdhsa_float_round_mode_32 0
		.amdhsa_float_round_mode_16_64 0
		.amdhsa_float_denorm_mode_32 3
		.amdhsa_float_denorm_mode_16_64 3
		.amdhsa_fp16_overflow 0
		.amdhsa_workgroup_processor_mode 1
		.amdhsa_memory_ordered 1
		.amdhsa_forward_progress 1
		.amdhsa_inst_pref_size 16
		.amdhsa_round_robin_scheduling 0
		.amdhsa_exception_fp_ieee_invalid_op 0
		.amdhsa_exception_fp_denorm_src 0
		.amdhsa_exception_fp_ieee_div_zero 0
		.amdhsa_exception_fp_ieee_overflow 0
		.amdhsa_exception_fp_ieee_underflow 0
		.amdhsa_exception_fp_ieee_inexact 0
		.amdhsa_exception_int_div_zero 0
	.end_amdhsa_kernel
	.section	.text._ZN9rocsolver6v33100L38stedc_mergePrepare_DeflateApply_kernelIdEEviiPT_lS3_Pi,"axG",@progbits,_ZN9rocsolver6v33100L38stedc_mergePrepare_DeflateApply_kernelIdEEviiPT_lS3_Pi,comdat
.Lfunc_end41:
	.size	_ZN9rocsolver6v33100L38stedc_mergePrepare_DeflateApply_kernelIdEEviiPT_lS3_Pi, .Lfunc_end41-_ZN9rocsolver6v33100L38stedc_mergePrepare_DeflateApply_kernelIdEEviiPT_lS3_Pi
                                        ; -- End function
	.set _ZN9rocsolver6v33100L38stedc_mergePrepare_DeflateApply_kernelIdEEviiPT_lS3_Pi.num_vgpr, 29
	.set _ZN9rocsolver6v33100L38stedc_mergePrepare_DeflateApply_kernelIdEEviiPT_lS3_Pi.num_agpr, 0
	.set _ZN9rocsolver6v33100L38stedc_mergePrepare_DeflateApply_kernelIdEEviiPT_lS3_Pi.numbered_sgpr, 22
	.set _ZN9rocsolver6v33100L38stedc_mergePrepare_DeflateApply_kernelIdEEviiPT_lS3_Pi.num_named_barrier, 0
	.set _ZN9rocsolver6v33100L38stedc_mergePrepare_DeflateApply_kernelIdEEviiPT_lS3_Pi.private_seg_size, 0
	.set _ZN9rocsolver6v33100L38stedc_mergePrepare_DeflateApply_kernelIdEEviiPT_lS3_Pi.uses_vcc, 1
	.set _ZN9rocsolver6v33100L38stedc_mergePrepare_DeflateApply_kernelIdEEviiPT_lS3_Pi.uses_flat_scratch, 0
	.set _ZN9rocsolver6v33100L38stedc_mergePrepare_DeflateApply_kernelIdEEviiPT_lS3_Pi.has_dyn_sized_stack, 0
	.set _ZN9rocsolver6v33100L38stedc_mergePrepare_DeflateApply_kernelIdEEviiPT_lS3_Pi.has_recursion, 0
	.set _ZN9rocsolver6v33100L38stedc_mergePrepare_DeflateApply_kernelIdEEviiPT_lS3_Pi.has_indirect_call, 0
	.section	.AMDGPU.csdata,"",@progbits
; Kernel info:
; codeLenInByte = 1932
; TotalNumSgprs: 24
; NumVgprs: 29
; ScratchSize: 0
; MemoryBound: 0
; FloatMode: 240
; IeeeMode: 1
; LDSByteSize: 49152 bytes/workgroup (compile time only)
; SGPRBlocks: 0
; VGPRBlocks: 21
; NumSGPRsForWavesPerEU: 24
; NumVGPRsForWavesPerEU: 169
; Occupancy: 8
; WaveLimiterHint : 1
; COMPUTE_PGM_RSRC2:SCRATCH_EN: 0
; COMPUTE_PGM_RSRC2:USER_SGPR: 2
; COMPUTE_PGM_RSRC2:TRAP_HANDLER: 0
; COMPUTE_PGM_RSRC2:TGID_X_EN: 1
; COMPUTE_PGM_RSRC2:TGID_Y_EN: 1
; COMPUTE_PGM_RSRC2:TGID_Z_EN: 0
; COMPUTE_PGM_RSRC2:TIDIG_COMP_CNT: 0
	.section	.text._ZN9rocsolver6v33100L24stedc_mergeRotate_kernelIdEEviiPT_iilS3_Pi,"axG",@progbits,_ZN9rocsolver6v33100L24stedc_mergeRotate_kernelIdEEviiPT_iilS3_Pi,comdat
	.globl	_ZN9rocsolver6v33100L24stedc_mergeRotate_kernelIdEEviiPT_iilS3_Pi ; -- Begin function _ZN9rocsolver6v33100L24stedc_mergeRotate_kernelIdEEviiPT_iilS3_Pi
	.p2align	8
	.type	_ZN9rocsolver6v33100L24stedc_mergeRotate_kernelIdEEviiPT_iilS3_Pi,@function
_ZN9rocsolver6v33100L24stedc_mergeRotate_kernelIdEEviiPT_iilS3_Pi: ; @_ZN9rocsolver6v33100L24stedc_mergeRotate_kernelIdEEviiPT_iilS3_Pi
; %bb.0:
	s_clause 0x2
	s_load_b32 s24, s[0:1], 0x4
	s_load_b64 s[2:3], s[0:1], 0x28
	s_load_b32 s18, s[0:1], 0x3c
	s_mov_b32 s10, ttmp9
	s_ashr_i32 s11, ttmp9, 31
	s_delay_alu instid0(SALU_CYCLE_1)
	s_lshl_b64 s[10:11], s[10:11], 2
	s_wait_kmcnt 0x0
	s_mul_i32 s4, ttmp7, s24
	s_mul_i32 s8, s24, 10
	s_mul_i32 s4, s4, 13
	s_ashr_i32 s25, s24, 31
	s_ashr_i32 s5, s4, 31
	s_ashr_i32 s9, s8, 31
	s_lshl_b64 s[6:7], s[4:5], 2
	s_lshl_b64 s[12:13], s[24:25], 2
	;; [unrolled: 1-line block ×3, first 2 shown]
	s_add_nc_u64 s[14:15], s[2:3], s[6:7]
	s_sub_nc_u64 s[16:17], 0, s[12:13]
	s_add_nc_u64 s[12:13], s[14:15], s[4:5]
	s_and_b32 s33, s18, 0xffff
	s_add_nc_u64 s[14:15], s[12:13], s[16:17]
	s_lshl_b32 s37, s33, 4
	s_add_nc_u64 s[14:15], s[14:15], s[10:11]
	s_cvt_f32_u32 s9, s37
	s_load_b32 s36, s[14:15], 0x0
	s_mov_b32 s15, 0
	s_delay_alu instid0(SALU_CYCLE_1) | instskip(NEXT) | instid1(TRANS32_DEP_1)
	v_rcp_iflag_f32_e32 v1, s9
	v_readfirstlane_b32 s9, v1
	s_wait_kmcnt 0x0
	s_cmp_eq_u32 s36, 0
	s_cbranch_scc1 .LBB42_136
; %bb.1:
	s_mul_f32 s9, s9, 0x4f7ffffe
	s_sub_co_i32 s14, 0, s37
	s_add_co_i32 s18, s24, -1
	s_mov_b32 s17, s15
	s_wait_alu 0xfffe
	s_cvt_u32_f32 s9, s9
	s_wait_alu 0xfffe
	s_delay_alu instid0(SALU_CYCLE_2) | instskip(NEXT) | instid1(SALU_CYCLE_1)
	s_mul_i32 s14, s14, s9
	s_mul_hi_u32 s16, s9, s14
	s_abs_i32 s14, s18
	s_add_co_i32 s16, s9, s16
	s_delay_alu instid0(SALU_CYCLE_1)
	s_mul_u64 s[16:17], s[14:15], s[16:17]
	s_ashr_i32 s15, s18, 31
	s_mul_i32 s9, s17, s37
	s_wait_alu 0xfffe
	s_sub_co_i32 s9, s14, s9
	s_add_co_i32 s14, s17, 1
	s_wait_alu 0xfffe
	s_sub_co_i32 s16, s9, s37
	s_cmp_ge_u32 s9, s37
	s_cselect_b32 s14, s14, s17
	s_cselect_b32 s9, s16, s9
	s_add_co_i32 s16, s14, 1
	s_wait_alu 0xfffe
	s_cmp_ge_u32 s9, s37
	s_cselect_b32 s9, s16, s14
	s_wait_alu 0xfffe
	s_xor_b32 s9, s9, s15
	s_wait_alu 0xfffe
	s_sub_co_i32 s38, s9, s15
	s_delay_alu instid0(SALU_CYCLE_1)
	s_cmp_lt_i32 s38, 0
	s_cbranch_scc1 .LBB42_136
; %bb.2:
	s_load_b256 s[16:23], s[0:1], 0x8
	s_add_nc_u64 s[0:1], s[12:13], s[10:11]
	v_mov_b32_e32 v1, 0
	s_load_b32 s26, s[0:1], 0x0
	s_mul_i32 s0, s8, ttmp7
	s_mov_b32 s14, ttmp7
	s_ashr_i32 s15, ttmp7, 31
	s_lshl_b32 s8, s24, 1
	s_ashr_i32 s1, s0, 31
	s_wait_alu 0xfffe
	s_ashr_i32 s9, s8, 31
	s_lshl_b64 s[0:1], s[0:1], 3
	s_add_nc_u64 s[6:7], s[10:11], s[6:7]
	s_wait_alu 0xfffe
	s_lshl_b64 s[8:9], s[8:9], 3
	v_mov_b32_e32 v32, v1
	v_dual_mov_b32 v2, v1 :: v_dual_mov_b32 v3, v1
	v_dual_mov_b32 v4, v1 :: v_dual_mov_b32 v5, v1
	;; [unrolled: 1-line block ×3, first 2 shown]
	s_wait_kmcnt 0x0
	s_mul_u64 s[14:15], s[20:21], s[14:15]
	s_ashr_i32 s11, s18, 31
	s_mov_b32 s10, s18
	s_add_nc_u64 s[0:1], s[22:23], s[0:1]
	s_lshl_b64 s[14:15], s[14:15], 3
	s_mul_i32 s22, s26, s19
	v_dual_mov_b32 v8, v1 :: v_dual_mov_b32 v9, v1
	v_dual_mov_b32 v10, v1 :: v_dual_mov_b32 v11, v1
	;; [unrolled: 1-line block ×12, first 2 shown]
	s_lshl_b64 s[10:11], s[10:11], 3
	s_wait_alu 0xfffe
	s_add_nc_u64 s[20:21], s[0:1], s[8:9]
	s_add_nc_u64 s[0:1], s[16:17], s[14:15]
	s_ashr_i32 s23, s22, 31
	s_add_nc_u64 s[16:17], s[0:1], s[10:11]
	s_lshl_b64 s[0:1], s[22:23], 3
	v_dual_mov_b32 v65, v32 :: v_dual_mov_b32 v64, v31
	s_add_nc_u64 s[26:27], s[16:17], s[0:1]
	s_add_nc_u64 s[0:1], s[6:7], s[4:5]
	v_dual_mov_b32 v63, v30 :: v_dual_mov_b32 v62, v29
	v_dual_mov_b32 v61, v28 :: v_dual_mov_b32 v60, v27
	;; [unrolled: 1-line block ×15, first 2 shown]
	v_mov_b32_e32 v33, v32
	s_lshl_b64 s[12:13], s[24:25], 3
	v_mov_b32_e32 v32, v31
	v_mov_b32_e32 v31, v30
	;; [unrolled: 1-line block ×31, first 2 shown]
	s_cmp_gt_i32 s36, 0
	s_add_nc_u64 s[0:1], s[2:3], s[0:1]
	s_mov_b32 s25, 0
	s_add_nc_u64 s[22:23], s[20:21], s[12:13]
	s_cselect_b32 s18, -1, 0
	s_add_nc_u64 s[28:29], s[0:1], 4
	s_branch .LBB42_4
.LBB42_3:                               ;   in Loop: Header=BB42_4 Depth=1
	s_or_b32 exec_lo, exec_lo, s0
	s_add_co_i32 s0, s25, 1
	s_cmp_lg_u32 s25, s38
	s_mov_b32 s25, s0
	s_cbranch_scc0 .LBB42_136
.LBB42_4:                               ; =>This Loop Header: Depth=1
                                        ;     Child Loop BB42_39 Depth 2
	s_wait_alu 0xfffe
	v_mad_co_u64_u32 v[98:99], null, s25, s37, v[0:1]
	s_delay_alu instid0(VALU_DEP_1)
	v_cmp_gt_i32_e64 s0, s24, v98
	v_ashrrev_i32_e32 v99, 31, v98
	s_and_saveexec_b32 s1, s0
	s_cbranch_execz .LBB42_6
; %bb.5:                                ;   in Loop: Header=BB42_4 Depth=1
	s_wait_loadcnt 0x0
	s_delay_alu instid0(VALU_DEP_1) | instskip(NEXT) | instid1(VALU_DEP_1)
	v_lshlrev_b64_e32 v[2:3], 3, v[98:99]
	v_add_co_u32 v2, vcc_lo, s26, v2
	s_wait_alu 0xfffd
	s_delay_alu instid0(VALU_DEP_2)
	v_add_co_ci_u32_e64 v3, null, s27, v3, vcc_lo
	global_load_b64 v[2:3], v[2:3], off
.LBB42_6:                               ;   in Loop: Header=BB42_4 Depth=1
	s_or_b32 exec_lo, exec_lo, s1
	v_add_nc_u32_e32 v100, s33, v98
	s_delay_alu instid0(VALU_DEP_1)
	v_cmp_gt_i32_e64 s1, s24, v100
	v_ashrrev_i32_e32 v101, 31, v100
	s_and_saveexec_b32 s2, s1
	s_cbranch_execz .LBB42_8
; %bb.7:                                ;   in Loop: Header=BB42_4 Depth=1
	s_wait_loadcnt 0x0
	s_delay_alu instid0(VALU_DEP_1) | instskip(NEXT) | instid1(VALU_DEP_1)
	v_lshlrev_b64_e32 v[4:5], 3, v[100:101]
	v_add_co_u32 v4, vcc_lo, s26, v4
	s_wait_alu 0xfffd
	s_delay_alu instid0(VALU_DEP_2)
	v_add_co_ci_u32_e64 v5, null, s27, v5, vcc_lo
	global_load_b64 v[4:5], v[4:5], off
.LBB42_8:                               ;   in Loop: Header=BB42_4 Depth=1
	s_or_b32 exec_lo, exec_lo, s2
	v_add_nc_u32_e32 v102, s33, v100
	s_delay_alu instid0(VALU_DEP_1)
	v_cmp_gt_i32_e64 s2, s24, v102
	v_ashrrev_i32_e32 v103, 31, v102
	s_and_saveexec_b32 s3, s2
	s_cbranch_execz .LBB42_10
; %bb.9:                                ;   in Loop: Header=BB42_4 Depth=1
	s_wait_loadcnt 0x0
	s_delay_alu instid0(VALU_DEP_1) | instskip(NEXT) | instid1(VALU_DEP_1)
	v_lshlrev_b64_e32 v[6:7], 3, v[102:103]
	v_add_co_u32 v6, vcc_lo, s26, v6
	s_wait_alu 0xfffd
	s_delay_alu instid0(VALU_DEP_2)
	v_add_co_ci_u32_e64 v7, null, s27, v7, vcc_lo
	global_load_b64 v[6:7], v[6:7], off
.LBB42_10:                              ;   in Loop: Header=BB42_4 Depth=1
	s_or_b32 exec_lo, exec_lo, s3
	v_add_nc_u32_e32 v104, s33, v102
	s_delay_alu instid0(VALU_DEP_1)
	v_cmp_gt_i32_e64 s3, s24, v104
	v_ashrrev_i32_e32 v105, 31, v104
	s_and_saveexec_b32 s4, s3
	s_cbranch_execz .LBB42_12
; %bb.11:                               ;   in Loop: Header=BB42_4 Depth=1
	s_wait_loadcnt 0x0
	s_delay_alu instid0(VALU_DEP_1) | instskip(NEXT) | instid1(VALU_DEP_1)
	v_lshlrev_b64_e32 v[8:9], 3, v[104:105]
	v_add_co_u32 v8, vcc_lo, s26, v8
	s_wait_alu 0xfffd
	s_delay_alu instid0(VALU_DEP_2)
	v_add_co_ci_u32_e64 v9, null, s27, v9, vcc_lo
	global_load_b64 v[8:9], v[8:9], off
.LBB42_12:                              ;   in Loop: Header=BB42_4 Depth=1
	s_or_b32 exec_lo, exec_lo, s4
	v_add_nc_u32_e32 v106, s33, v104
	s_delay_alu instid0(VALU_DEP_1)
	v_cmp_gt_i32_e64 s4, s24, v106
	v_ashrrev_i32_e32 v107, 31, v106
	s_and_saveexec_b32 s5, s4
	s_cbranch_execz .LBB42_14
; %bb.13:                               ;   in Loop: Header=BB42_4 Depth=1
	s_wait_loadcnt 0x0
	s_delay_alu instid0(VALU_DEP_1) | instskip(NEXT) | instid1(VALU_DEP_1)
	v_lshlrev_b64_e32 v[10:11], 3, v[106:107]
	v_add_co_u32 v10, vcc_lo, s26, v10
	s_wait_alu 0xfffd
	s_delay_alu instid0(VALU_DEP_2)
	v_add_co_ci_u32_e64 v11, null, s27, v11, vcc_lo
	global_load_b64 v[10:11], v[10:11], off
.LBB42_14:                              ;   in Loop: Header=BB42_4 Depth=1
	s_or_b32 exec_lo, exec_lo, s5
	v_add_nc_u32_e32 v108, s33, v106
	s_delay_alu instid0(VALU_DEP_1)
	v_cmp_gt_i32_e64 s5, s24, v108
	v_ashrrev_i32_e32 v109, 31, v108
	s_and_saveexec_b32 s6, s5
	s_cbranch_execz .LBB42_16
; %bb.15:                               ;   in Loop: Header=BB42_4 Depth=1
	s_wait_loadcnt 0x0
	s_delay_alu instid0(VALU_DEP_1) | instskip(NEXT) | instid1(VALU_DEP_1)
	v_lshlrev_b64_e32 v[12:13], 3, v[108:109]
	v_add_co_u32 v12, vcc_lo, s26, v12
	s_wait_alu 0xfffd
	s_delay_alu instid0(VALU_DEP_2)
	v_add_co_ci_u32_e64 v13, null, s27, v13, vcc_lo
	global_load_b64 v[12:13], v[12:13], off
.LBB42_16:                              ;   in Loop: Header=BB42_4 Depth=1
	s_or_b32 exec_lo, exec_lo, s6
	v_add_nc_u32_e32 v110, s33, v108
	s_delay_alu instid0(VALU_DEP_1)
	v_cmp_gt_i32_e64 s6, s24, v110
	v_ashrrev_i32_e32 v111, 31, v110
	s_and_saveexec_b32 s7, s6
	s_cbranch_execz .LBB42_18
; %bb.17:                               ;   in Loop: Header=BB42_4 Depth=1
	s_wait_loadcnt 0x0
	s_delay_alu instid0(VALU_DEP_1) | instskip(NEXT) | instid1(VALU_DEP_1)
	v_lshlrev_b64_e32 v[14:15], 3, v[110:111]
	v_add_co_u32 v14, vcc_lo, s26, v14
	s_wait_alu 0xfffd
	s_delay_alu instid0(VALU_DEP_2)
	v_add_co_ci_u32_e64 v15, null, s27, v15, vcc_lo
	global_load_b64 v[14:15], v[14:15], off
.LBB42_18:                              ;   in Loop: Header=BB42_4 Depth=1
	s_or_b32 exec_lo, exec_lo, s7
	v_add_nc_u32_e32 v112, s33, v110
	s_delay_alu instid0(VALU_DEP_1)
	v_cmp_gt_i32_e64 s7, s24, v112
	v_ashrrev_i32_e32 v113, 31, v112
	s_and_saveexec_b32 s8, s7
	s_cbranch_execz .LBB42_20
; %bb.19:                               ;   in Loop: Header=BB42_4 Depth=1
	s_wait_loadcnt 0x0
	s_delay_alu instid0(VALU_DEP_1) | instskip(NEXT) | instid1(VALU_DEP_1)
	v_lshlrev_b64_e32 v[16:17], 3, v[112:113]
	v_add_co_u32 v16, vcc_lo, s26, v16
	s_wait_alu 0xfffd
	s_delay_alu instid0(VALU_DEP_2)
	v_add_co_ci_u32_e64 v17, null, s27, v17, vcc_lo
	global_load_b64 v[16:17], v[16:17], off
.LBB42_20:                              ;   in Loop: Header=BB42_4 Depth=1
	s_wait_alu 0xfffe
	s_or_b32 exec_lo, exec_lo, s8
	v_add_nc_u32_e32 v114, s33, v112
	s_delay_alu instid0(VALU_DEP_1)
	v_cmp_gt_i32_e64 s8, s24, v114
	v_ashrrev_i32_e32 v115, 31, v114
	s_and_saveexec_b32 s9, s8
	s_cbranch_execz .LBB42_22
; %bb.21:                               ;   in Loop: Header=BB42_4 Depth=1
	s_wait_loadcnt 0x0
	s_delay_alu instid0(VALU_DEP_1) | instskip(NEXT) | instid1(VALU_DEP_1)
	v_lshlrev_b64_e32 v[18:19], 3, v[114:115]
	v_add_co_u32 v18, vcc_lo, s26, v18
	s_wait_alu 0xfffd
	s_delay_alu instid0(VALU_DEP_2)
	v_add_co_ci_u32_e64 v19, null, s27, v19, vcc_lo
	global_load_b64 v[18:19], v[18:19], off
.LBB42_22:                              ;   in Loop: Header=BB42_4 Depth=1
	s_wait_alu 0xfffe
	s_or_b32 exec_lo, exec_lo, s9
	v_add_nc_u32_e32 v116, s33, v114
	s_delay_alu instid0(VALU_DEP_1)
	v_cmp_gt_i32_e64 s9, s24, v116
	v_ashrrev_i32_e32 v117, 31, v116
	s_and_saveexec_b32 s10, s9
	s_cbranch_execz .LBB42_24
; %bb.23:                               ;   in Loop: Header=BB42_4 Depth=1
	s_wait_loadcnt 0x0
	s_delay_alu instid0(VALU_DEP_1) | instskip(NEXT) | instid1(VALU_DEP_1)
	v_lshlrev_b64_e32 v[20:21], 3, v[116:117]
	v_add_co_u32 v20, vcc_lo, s26, v20
	s_wait_alu 0xfffd
	s_delay_alu instid0(VALU_DEP_2)
	v_add_co_ci_u32_e64 v21, null, s27, v21, vcc_lo
	global_load_b64 v[20:21], v[20:21], off
.LBB42_24:                              ;   in Loop: Header=BB42_4 Depth=1
	s_or_b32 exec_lo, exec_lo, s10
	v_add_nc_u32_e32 v118, s33, v116
	s_delay_alu instid0(VALU_DEP_1)
	v_cmp_gt_i32_e64 s10, s24, v118
	v_ashrrev_i32_e32 v119, 31, v118
	s_and_saveexec_b32 s11, s10
	s_cbranch_execz .LBB42_26
; %bb.25:                               ;   in Loop: Header=BB42_4 Depth=1
	s_wait_loadcnt 0x0
	s_delay_alu instid0(VALU_DEP_1) | instskip(NEXT) | instid1(VALU_DEP_1)
	v_lshlrev_b64_e32 v[22:23], 3, v[118:119]
	v_add_co_u32 v22, vcc_lo, s26, v22
	s_wait_alu 0xfffd
	s_delay_alu instid0(VALU_DEP_2)
	v_add_co_ci_u32_e64 v23, null, s27, v23, vcc_lo
	global_load_b64 v[22:23], v[22:23], off
.LBB42_26:                              ;   in Loop: Header=BB42_4 Depth=1
	;; [unrolled: 17-line block ×7, first 2 shown]
	s_or_b32 exec_lo, exec_lo, s30
	s_delay_alu instid0(SALU_CYCLE_1)
	s_and_b32 vcc_lo, exec_lo, s18
	s_wait_alu 0xfffe
	s_cbranch_vccz .LBB42_104
; %bb.37:                               ;   in Loop: Header=BB42_4 Depth=1
	v_lshlrev_b64_e32 v[130:131], 3, v[98:99]
	v_lshlrev_b64_e32 v[132:133], 3, v[100:101]
	;; [unrolled: 1-line block ×16, first 2 shown]
	s_mov_b32 s39, s36
	s_mov_b64 s[30:31], s[28:29]
	s_branch .LBB42_39
.LBB42_38:                              ;   in Loop: Header=BB42_39 Depth=2
	s_or_b32 exec_lo, exec_lo, s40
	v_mul_f64_e32 v[34:35], v[164:165], v[34:35]
	v_mul_f64_e32 v[36:37], v[164:165], v[36:37]
	;; [unrolled: 1-line block ×16, first 2 shown]
	s_add_co_i32 s39, s39, -1
	s_add_nc_u64 s[30:31], s[30:31], 4
	s_cmp_eq_u32 s39, 0
	s_wait_storecnt 0x0
	s_barrier_signal -1
	s_barrier_wait -1
	global_inv scope:SCOPE_SE
	v_fma_f64 v[2:3], v[162:163], v[2:3], -v[34:35]
	v_fma_f64 v[4:5], v[162:163], v[4:5], -v[36:37]
	;; [unrolled: 1-line block ×16, first 2 shown]
	v_dual_mov_b32 v34, v66 :: v_dual_mov_b32 v35, v67
	v_dual_mov_b32 v36, v68 :: v_dual_mov_b32 v37, v69
	;; [unrolled: 1-line block ×16, first 2 shown]
	s_cbranch_scc1 .LBB42_103
.LBB42_39:                              ;   Parent Loop BB42_4 Depth=1
                                        ; =>  This Inner Loop Header: Depth=2
	global_load_b32 v66, v1, s[30:31]
	s_wait_loadcnt 0x0
	v_ashrrev_i32_e32 v67, 31, v66
	v_readfirstlane_b32 s34, v66
	s_delay_alu instid0(VALU_DEP_2)
	v_lshlrev_b64_e32 v[67:68], 3, v[66:67]
	s_wait_alu 0xfffe
	s_mul_i32 s34, s34, s19
	s_wait_alu 0xfffe
	s_ashr_i32 s35, s34, 31
	s_wait_alu 0xfffe
	s_lshl_b64 s[34:35], s[34:35], 3
	v_add_co_u32 v69, vcc_lo, s20, v67
	s_wait_alu 0xfffd
	v_add_co_ci_u32_e64 v70, null, s21, v68, vcc_lo
	v_add_co_u32 v67, vcc_lo, s22, v67
	s_wait_alu 0xfffd
	v_add_co_ci_u32_e64 v68, null, s23, v68, vcc_lo
	s_clause 0x1
	global_load_b64 v[162:163], v[69:70], off
	global_load_b64 v[164:165], v[67:68], off
	s_wait_alu 0xfffe
	s_add_nc_u64 s[34:35], s[16:17], s[34:35]
	s_and_saveexec_b32 s40, s0
	s_cbranch_execnz .LBB42_88
; %bb.40:                               ;   in Loop: Header=BB42_39 Depth=2
	s_or_b32 exec_lo, exec_lo, s40
	s_and_saveexec_b32 s40, s1
	s_cbranch_execnz .LBB42_89
.LBB42_41:                              ;   in Loop: Header=BB42_39 Depth=2
	s_or_b32 exec_lo, exec_lo, s40
	s_and_saveexec_b32 s40, s2
	s_cbranch_execnz .LBB42_90
.LBB42_42:                              ;   in Loop: Header=BB42_39 Depth=2
	s_or_b32 exec_lo, exec_lo, s40
	s_and_saveexec_b32 s40, s3
	s_cbranch_execnz .LBB42_91
.LBB42_43:                              ;   in Loop: Header=BB42_39 Depth=2
	s_or_b32 exec_lo, exec_lo, s40
	s_and_saveexec_b32 s40, s4
	s_cbranch_execnz .LBB42_92
.LBB42_44:                              ;   in Loop: Header=BB42_39 Depth=2
	s_or_b32 exec_lo, exec_lo, s40
	s_and_saveexec_b32 s40, s5
	s_cbranch_execnz .LBB42_93
.LBB42_45:                              ;   in Loop: Header=BB42_39 Depth=2
	s_or_b32 exec_lo, exec_lo, s40
	s_and_saveexec_b32 s40, s6
	s_cbranch_execnz .LBB42_94
.LBB42_46:                              ;   in Loop: Header=BB42_39 Depth=2
	s_or_b32 exec_lo, exec_lo, s40
	s_and_saveexec_b32 s40, s7
	s_cbranch_execnz .LBB42_95
.LBB42_47:                              ;   in Loop: Header=BB42_39 Depth=2
	s_or_b32 exec_lo, exec_lo, s40
	s_and_saveexec_b32 s40, s8
	s_cbranch_execnz .LBB42_96
.LBB42_48:                              ;   in Loop: Header=BB42_39 Depth=2
	s_or_b32 exec_lo, exec_lo, s40
	s_and_saveexec_b32 s40, s9
	s_cbranch_execnz .LBB42_97
.LBB42_49:                              ;   in Loop: Header=BB42_39 Depth=2
	s_or_b32 exec_lo, exec_lo, s40
	s_and_saveexec_b32 s40, s10
	s_cbranch_execnz .LBB42_98
.LBB42_50:                              ;   in Loop: Header=BB42_39 Depth=2
	s_or_b32 exec_lo, exec_lo, s40
	s_and_saveexec_b32 s40, s11
	s_cbranch_execnz .LBB42_99
.LBB42_51:                              ;   in Loop: Header=BB42_39 Depth=2
	s_or_b32 exec_lo, exec_lo, s40
	s_and_saveexec_b32 s40, s12
	s_cbranch_execnz .LBB42_100
.LBB42_52:                              ;   in Loop: Header=BB42_39 Depth=2
	s_or_b32 exec_lo, exec_lo, s40
	s_and_saveexec_b32 s40, s13
	s_cbranch_execnz .LBB42_101
.LBB42_53:                              ;   in Loop: Header=BB42_39 Depth=2
	s_or_b32 exec_lo, exec_lo, s40
	s_and_saveexec_b32 s40, s14
	s_cbranch_execnz .LBB42_102
.LBB42_54:                              ;   in Loop: Header=BB42_39 Depth=2
	s_or_b32 exec_lo, exec_lo, s40
	s_and_saveexec_b32 s40, s15
	s_cbranch_execz .LBB42_56
.LBB42_55:                              ;   in Loop: Header=BB42_39 Depth=2
	s_wait_alu 0xfffe
	v_add_co_u32 v64, vcc_lo, s34, v160
	s_wait_alu 0xfffd
	v_add_co_ci_u32_e64 v65, null, s35, v161, vcc_lo
	global_load_b64 v[64:65], v[64:65], off
.LBB42_56:                              ;   in Loop: Header=BB42_39 Depth=2
	s_or_b32 exec_lo, exec_lo, s40
	s_wait_loadcnt 0x0
	v_mul_f64_e32 v[66:67], v[162:163], v[34:35]
	s_delay_alu instid0(VALU_DEP_1)
	v_fma_f64 v[66:67], v[164:165], v[2:3], v[66:67]
	s_and_saveexec_b32 s40, s0
	s_cbranch_execz .LBB42_58
; %bb.57:                               ;   in Loop: Header=BB42_39 Depth=2
	s_wait_alu 0xfffe
	v_add_co_u32 v68, vcc_lo, s34, v130
	s_wait_alu 0xfffd
	v_add_co_ci_u32_e64 v69, null, s35, v131, vcc_lo
	global_store_b64 v[68:69], v[66:67], off
.LBB42_58:                              ;   in Loop: Header=BB42_39 Depth=2
	s_or_b32 exec_lo, exec_lo, s40
	v_mul_f64_e32 v[68:69], v[162:163], v[36:37]
	s_delay_alu instid0(VALU_DEP_1)
	v_fma_f64 v[68:69], v[164:165], v[4:5], v[68:69]
	s_and_saveexec_b32 s40, s1
	s_cbranch_execz .LBB42_60
; %bb.59:                               ;   in Loop: Header=BB42_39 Depth=2
	s_wait_alu 0xfffe
	v_add_co_u32 v70, vcc_lo, s34, v132
	s_wait_alu 0xfffd
	v_add_co_ci_u32_e64 v71, null, s35, v133, vcc_lo
	global_store_b64 v[70:71], v[68:69], off
.LBB42_60:                              ;   in Loop: Header=BB42_39 Depth=2
	s_or_b32 exec_lo, exec_lo, s40
	v_mul_f64_e32 v[70:71], v[162:163], v[38:39]
	s_delay_alu instid0(VALU_DEP_1)
	v_fma_f64 v[70:71], v[164:165], v[6:7], v[70:71]
	s_and_saveexec_b32 s40, s2
	s_cbranch_execz .LBB42_62
; %bb.61:                               ;   in Loop: Header=BB42_39 Depth=2
	s_wait_alu 0xfffe
	v_add_co_u32 v72, vcc_lo, s34, v134
	s_wait_alu 0xfffd
	v_add_co_ci_u32_e64 v73, null, s35, v135, vcc_lo
	global_store_b64 v[72:73], v[70:71], off
.LBB42_62:                              ;   in Loop: Header=BB42_39 Depth=2
	s_or_b32 exec_lo, exec_lo, s40
	v_mul_f64_e32 v[72:73], v[162:163], v[40:41]
	s_delay_alu instid0(VALU_DEP_1)
	v_fma_f64 v[72:73], v[164:165], v[8:9], v[72:73]
	s_and_saveexec_b32 s40, s3
	s_cbranch_execz .LBB42_64
; %bb.63:                               ;   in Loop: Header=BB42_39 Depth=2
	s_wait_alu 0xfffe
	v_add_co_u32 v74, vcc_lo, s34, v136
	s_wait_alu 0xfffd
	v_add_co_ci_u32_e64 v75, null, s35, v137, vcc_lo
	global_store_b64 v[74:75], v[72:73], off
.LBB42_64:                              ;   in Loop: Header=BB42_39 Depth=2
	s_or_b32 exec_lo, exec_lo, s40
	v_mul_f64_e32 v[74:75], v[162:163], v[42:43]
	s_delay_alu instid0(VALU_DEP_1)
	v_fma_f64 v[74:75], v[164:165], v[10:11], v[74:75]
	s_and_saveexec_b32 s40, s4
	s_cbranch_execz .LBB42_66
; %bb.65:                               ;   in Loop: Header=BB42_39 Depth=2
	s_wait_alu 0xfffe
	v_add_co_u32 v76, vcc_lo, s34, v138
	s_wait_alu 0xfffd
	v_add_co_ci_u32_e64 v77, null, s35, v139, vcc_lo
	global_store_b64 v[76:77], v[74:75], off
.LBB42_66:                              ;   in Loop: Header=BB42_39 Depth=2
	s_or_b32 exec_lo, exec_lo, s40
	v_mul_f64_e32 v[76:77], v[162:163], v[44:45]
	s_delay_alu instid0(VALU_DEP_1)
	v_fma_f64 v[76:77], v[164:165], v[12:13], v[76:77]
	s_and_saveexec_b32 s40, s5
	s_cbranch_execz .LBB42_68
; %bb.67:                               ;   in Loop: Header=BB42_39 Depth=2
	s_wait_alu 0xfffe
	v_add_co_u32 v78, vcc_lo, s34, v140
	s_wait_alu 0xfffd
	v_add_co_ci_u32_e64 v79, null, s35, v141, vcc_lo
	global_store_b64 v[78:79], v[76:77], off
.LBB42_68:                              ;   in Loop: Header=BB42_39 Depth=2
	s_or_b32 exec_lo, exec_lo, s40
	v_mul_f64_e32 v[78:79], v[162:163], v[46:47]
	s_delay_alu instid0(VALU_DEP_1)
	v_fma_f64 v[78:79], v[164:165], v[14:15], v[78:79]
	s_and_saveexec_b32 s40, s6
	s_cbranch_execz .LBB42_70
; %bb.69:                               ;   in Loop: Header=BB42_39 Depth=2
	s_wait_alu 0xfffe
	v_add_co_u32 v80, vcc_lo, s34, v142
	s_wait_alu 0xfffd
	v_add_co_ci_u32_e64 v81, null, s35, v143, vcc_lo
	global_store_b64 v[80:81], v[78:79], off
.LBB42_70:                              ;   in Loop: Header=BB42_39 Depth=2
	s_or_b32 exec_lo, exec_lo, s40
	v_mul_f64_e32 v[80:81], v[162:163], v[48:49]
	s_delay_alu instid0(VALU_DEP_1)
	v_fma_f64 v[80:81], v[164:165], v[16:17], v[80:81]
	s_and_saveexec_b32 s40, s7
	s_cbranch_execz .LBB42_72
; %bb.71:                               ;   in Loop: Header=BB42_39 Depth=2
	s_wait_alu 0xfffe
	v_add_co_u32 v82, vcc_lo, s34, v144
	s_wait_alu 0xfffd
	v_add_co_ci_u32_e64 v83, null, s35, v145, vcc_lo
	global_store_b64 v[82:83], v[80:81], off
.LBB42_72:                              ;   in Loop: Header=BB42_39 Depth=2
	s_or_b32 exec_lo, exec_lo, s40
	v_mul_f64_e32 v[82:83], v[162:163], v[50:51]
	s_delay_alu instid0(VALU_DEP_1)
	v_fma_f64 v[82:83], v[164:165], v[18:19], v[82:83]
	s_and_saveexec_b32 s40, s8
	s_cbranch_execz .LBB42_74
; %bb.73:                               ;   in Loop: Header=BB42_39 Depth=2
	s_wait_alu 0xfffe
	v_add_co_u32 v84, vcc_lo, s34, v146
	s_wait_alu 0xfffd
	v_add_co_ci_u32_e64 v85, null, s35, v147, vcc_lo
	global_store_b64 v[84:85], v[82:83], off
.LBB42_74:                              ;   in Loop: Header=BB42_39 Depth=2
	s_or_b32 exec_lo, exec_lo, s40
	v_mul_f64_e32 v[84:85], v[162:163], v[52:53]
	s_delay_alu instid0(VALU_DEP_1)
	v_fma_f64 v[84:85], v[164:165], v[20:21], v[84:85]
	s_and_saveexec_b32 s40, s9
	s_cbranch_execz .LBB42_76
; %bb.75:                               ;   in Loop: Header=BB42_39 Depth=2
	s_wait_alu 0xfffe
	v_add_co_u32 v86, vcc_lo, s34, v148
	s_wait_alu 0xfffd
	v_add_co_ci_u32_e64 v87, null, s35, v149, vcc_lo
	global_store_b64 v[86:87], v[84:85], off
.LBB42_76:                              ;   in Loop: Header=BB42_39 Depth=2
	s_or_b32 exec_lo, exec_lo, s40
	v_mul_f64_e32 v[86:87], v[162:163], v[54:55]
	s_delay_alu instid0(VALU_DEP_1)
	v_fma_f64 v[86:87], v[164:165], v[22:23], v[86:87]
	s_and_saveexec_b32 s40, s10
	s_cbranch_execz .LBB42_78
; %bb.77:                               ;   in Loop: Header=BB42_39 Depth=2
	s_wait_alu 0xfffe
	v_add_co_u32 v88, vcc_lo, s34, v150
	s_wait_alu 0xfffd
	v_add_co_ci_u32_e64 v89, null, s35, v151, vcc_lo
	global_store_b64 v[88:89], v[86:87], off
.LBB42_78:                              ;   in Loop: Header=BB42_39 Depth=2
	s_or_b32 exec_lo, exec_lo, s40
	v_mul_f64_e32 v[88:89], v[162:163], v[56:57]
	s_delay_alu instid0(VALU_DEP_1)
	v_fma_f64 v[88:89], v[164:165], v[24:25], v[88:89]
	s_and_saveexec_b32 s40, s11
	s_cbranch_execz .LBB42_80
; %bb.79:                               ;   in Loop: Header=BB42_39 Depth=2
	s_wait_alu 0xfffe
	v_add_co_u32 v90, vcc_lo, s34, v152
	s_wait_alu 0xfffd
	v_add_co_ci_u32_e64 v91, null, s35, v153, vcc_lo
	global_store_b64 v[90:91], v[88:89], off
.LBB42_80:                              ;   in Loop: Header=BB42_39 Depth=2
	s_or_b32 exec_lo, exec_lo, s40
	v_mul_f64_e32 v[90:91], v[162:163], v[58:59]
	s_delay_alu instid0(VALU_DEP_1)
	v_fma_f64 v[90:91], v[164:165], v[26:27], v[90:91]
	s_and_saveexec_b32 s40, s12
	s_cbranch_execz .LBB42_82
; %bb.81:                               ;   in Loop: Header=BB42_39 Depth=2
	s_wait_alu 0xfffe
	v_add_co_u32 v92, vcc_lo, s34, v154
	s_wait_alu 0xfffd
	v_add_co_ci_u32_e64 v93, null, s35, v155, vcc_lo
	global_store_b64 v[92:93], v[90:91], off
.LBB42_82:                              ;   in Loop: Header=BB42_39 Depth=2
	s_or_b32 exec_lo, exec_lo, s40
	v_mul_f64_e32 v[92:93], v[162:163], v[60:61]
	s_delay_alu instid0(VALU_DEP_1)
	v_fma_f64 v[92:93], v[164:165], v[28:29], v[92:93]
	s_and_saveexec_b32 s40, s13
	s_cbranch_execz .LBB42_84
; %bb.83:                               ;   in Loop: Header=BB42_39 Depth=2
	s_wait_alu 0xfffe
	v_add_co_u32 v94, vcc_lo, s34, v156
	s_wait_alu 0xfffd
	v_add_co_ci_u32_e64 v95, null, s35, v157, vcc_lo
	global_store_b64 v[94:95], v[92:93], off
.LBB42_84:                              ;   in Loop: Header=BB42_39 Depth=2
	s_or_b32 exec_lo, exec_lo, s40
	v_mul_f64_e32 v[94:95], v[162:163], v[62:63]
	s_delay_alu instid0(VALU_DEP_1)
	v_fma_f64 v[94:95], v[164:165], v[30:31], v[94:95]
	s_and_saveexec_b32 s40, s14
	s_cbranch_execz .LBB42_86
; %bb.85:                               ;   in Loop: Header=BB42_39 Depth=2
	s_wait_alu 0xfffe
	v_add_co_u32 v96, vcc_lo, s34, v158
	s_wait_alu 0xfffd
	v_add_co_ci_u32_e64 v97, null, s35, v159, vcc_lo
	global_store_b64 v[96:97], v[94:95], off
.LBB42_86:                              ;   in Loop: Header=BB42_39 Depth=2
	s_or_b32 exec_lo, exec_lo, s40
	v_mul_f64_e32 v[96:97], v[162:163], v[64:65]
	s_delay_alu instid0(VALU_DEP_1)
	v_fma_f64 v[96:97], v[164:165], v[32:33], v[96:97]
	s_and_saveexec_b32 s40, s15
	s_cbranch_execz .LBB42_38
; %bb.87:                               ;   in Loop: Header=BB42_39 Depth=2
	s_wait_alu 0xfffe
	v_add_co_u32 v166, vcc_lo, s34, v160
	s_wait_alu 0xfffd
	v_add_co_ci_u32_e64 v167, null, s35, v161, vcc_lo
	global_store_b64 v[166:167], v[96:97], off
	s_branch .LBB42_38
.LBB42_88:                              ;   in Loop: Header=BB42_39 Depth=2
	s_wait_alu 0xfffe
	v_add_co_u32 v34, vcc_lo, s34, v130
	s_wait_alu 0xfffd
	v_add_co_ci_u32_e64 v35, null, s35, v131, vcc_lo
	global_load_b64 v[34:35], v[34:35], off
	s_or_b32 exec_lo, exec_lo, s40
	s_and_saveexec_b32 s40, s1
	s_cbranch_execz .LBB42_41
.LBB42_89:                              ;   in Loop: Header=BB42_39 Depth=2
	s_wait_alu 0xfffe
	v_add_co_u32 v36, vcc_lo, s34, v132
	s_wait_alu 0xfffd
	v_add_co_ci_u32_e64 v37, null, s35, v133, vcc_lo
	global_load_b64 v[36:37], v[36:37], off
	s_or_b32 exec_lo, exec_lo, s40
	s_and_saveexec_b32 s40, s2
	s_cbranch_execz .LBB42_42
.LBB42_90:                              ;   in Loop: Header=BB42_39 Depth=2
	s_wait_alu 0xfffe
	v_add_co_u32 v38, vcc_lo, s34, v134
	s_wait_alu 0xfffd
	v_add_co_ci_u32_e64 v39, null, s35, v135, vcc_lo
	global_load_b64 v[38:39], v[38:39], off
	s_or_b32 exec_lo, exec_lo, s40
	s_and_saveexec_b32 s40, s3
	s_cbranch_execz .LBB42_43
.LBB42_91:                              ;   in Loop: Header=BB42_39 Depth=2
	s_wait_alu 0xfffe
	v_add_co_u32 v40, vcc_lo, s34, v136
	s_wait_alu 0xfffd
	v_add_co_ci_u32_e64 v41, null, s35, v137, vcc_lo
	global_load_b64 v[40:41], v[40:41], off
	s_or_b32 exec_lo, exec_lo, s40
	s_and_saveexec_b32 s40, s4
	s_cbranch_execz .LBB42_44
.LBB42_92:                              ;   in Loop: Header=BB42_39 Depth=2
	s_wait_alu 0xfffe
	v_add_co_u32 v42, vcc_lo, s34, v138
	s_wait_alu 0xfffd
	v_add_co_ci_u32_e64 v43, null, s35, v139, vcc_lo
	global_load_b64 v[42:43], v[42:43], off
	s_or_b32 exec_lo, exec_lo, s40
	s_and_saveexec_b32 s40, s5
	s_cbranch_execz .LBB42_45
.LBB42_93:                              ;   in Loop: Header=BB42_39 Depth=2
	s_wait_alu 0xfffe
	v_add_co_u32 v44, vcc_lo, s34, v140
	s_wait_alu 0xfffd
	v_add_co_ci_u32_e64 v45, null, s35, v141, vcc_lo
	global_load_b64 v[44:45], v[44:45], off
	s_or_b32 exec_lo, exec_lo, s40
	s_and_saveexec_b32 s40, s6
	s_cbranch_execz .LBB42_46
.LBB42_94:                              ;   in Loop: Header=BB42_39 Depth=2
	s_wait_alu 0xfffe
	v_add_co_u32 v46, vcc_lo, s34, v142
	s_wait_alu 0xfffd
	v_add_co_ci_u32_e64 v47, null, s35, v143, vcc_lo
	global_load_b64 v[46:47], v[46:47], off
	s_or_b32 exec_lo, exec_lo, s40
	s_and_saveexec_b32 s40, s7
	s_cbranch_execz .LBB42_47
.LBB42_95:                              ;   in Loop: Header=BB42_39 Depth=2
	s_wait_alu 0xfffe
	v_add_co_u32 v48, vcc_lo, s34, v144
	s_wait_alu 0xfffd
	v_add_co_ci_u32_e64 v49, null, s35, v145, vcc_lo
	global_load_b64 v[48:49], v[48:49], off
	s_or_b32 exec_lo, exec_lo, s40
	s_and_saveexec_b32 s40, s8
	s_cbranch_execz .LBB42_48
.LBB42_96:                              ;   in Loop: Header=BB42_39 Depth=2
	s_wait_alu 0xfffe
	v_add_co_u32 v50, vcc_lo, s34, v146
	s_wait_alu 0xfffd
	v_add_co_ci_u32_e64 v51, null, s35, v147, vcc_lo
	global_load_b64 v[50:51], v[50:51], off
	s_or_b32 exec_lo, exec_lo, s40
	s_and_saveexec_b32 s40, s9
	s_cbranch_execz .LBB42_49
.LBB42_97:                              ;   in Loop: Header=BB42_39 Depth=2
	s_wait_alu 0xfffe
	v_add_co_u32 v52, vcc_lo, s34, v148
	s_wait_alu 0xfffd
	v_add_co_ci_u32_e64 v53, null, s35, v149, vcc_lo
	global_load_b64 v[52:53], v[52:53], off
	s_or_b32 exec_lo, exec_lo, s40
	s_and_saveexec_b32 s40, s10
	s_cbranch_execz .LBB42_50
.LBB42_98:                              ;   in Loop: Header=BB42_39 Depth=2
	s_wait_alu 0xfffe
	v_add_co_u32 v54, vcc_lo, s34, v150
	s_wait_alu 0xfffd
	v_add_co_ci_u32_e64 v55, null, s35, v151, vcc_lo
	global_load_b64 v[54:55], v[54:55], off
	s_or_b32 exec_lo, exec_lo, s40
	s_and_saveexec_b32 s40, s11
	s_cbranch_execz .LBB42_51
.LBB42_99:                              ;   in Loop: Header=BB42_39 Depth=2
	s_wait_alu 0xfffe
	v_add_co_u32 v56, vcc_lo, s34, v152
	s_wait_alu 0xfffd
	v_add_co_ci_u32_e64 v57, null, s35, v153, vcc_lo
	global_load_b64 v[56:57], v[56:57], off
	s_or_b32 exec_lo, exec_lo, s40
	s_and_saveexec_b32 s40, s12
	s_cbranch_execz .LBB42_52
.LBB42_100:                             ;   in Loop: Header=BB42_39 Depth=2
	s_wait_alu 0xfffe
	v_add_co_u32 v58, vcc_lo, s34, v154
	s_wait_alu 0xfffd
	v_add_co_ci_u32_e64 v59, null, s35, v155, vcc_lo
	global_load_b64 v[58:59], v[58:59], off
	s_or_b32 exec_lo, exec_lo, s40
	s_and_saveexec_b32 s40, s13
	s_cbranch_execz .LBB42_53
.LBB42_101:                             ;   in Loop: Header=BB42_39 Depth=2
	s_wait_alu 0xfffe
	v_add_co_u32 v60, vcc_lo, s34, v156
	s_wait_alu 0xfffd
	v_add_co_ci_u32_e64 v61, null, s35, v157, vcc_lo
	global_load_b64 v[60:61], v[60:61], off
	s_or_b32 exec_lo, exec_lo, s40
	s_and_saveexec_b32 s40, s14
	s_cbranch_execz .LBB42_54
.LBB42_102:                             ;   in Loop: Header=BB42_39 Depth=2
	s_wait_alu 0xfffe
	v_add_co_u32 v62, vcc_lo, s34, v158
	s_wait_alu 0xfffd
	v_add_co_ci_u32_e64 v63, null, s35, v159, vcc_lo
	global_load_b64 v[62:63], v[62:63], off
	s_or_b32 exec_lo, exec_lo, s40
	s_and_saveexec_b32 s40, s15
	s_cbranch_execnz .LBB42_55
	s_branch .LBB42_56
.LBB42_103:                             ;   in Loop: Header=BB42_4 Depth=1
	v_dual_mov_b32 v34, v66 :: v_dual_mov_b32 v35, v67
	v_dual_mov_b32 v36, v68 :: v_dual_mov_b32 v37, v69
	;; [unrolled: 1-line block ×16, first 2 shown]
.LBB42_104:                             ;   in Loop: Header=BB42_4 Depth=1
	s_and_saveexec_b32 s30, s0
	s_cbranch_execnz .LBB42_120
; %bb.105:                              ;   in Loop: Header=BB42_4 Depth=1
	s_or_b32 exec_lo, exec_lo, s30
	s_and_saveexec_b32 s0, s1
	s_cbranch_execnz .LBB42_121
.LBB42_106:                             ;   in Loop: Header=BB42_4 Depth=1
	s_or_b32 exec_lo, exec_lo, s0
	s_and_saveexec_b32 s0, s2
	s_cbranch_execnz .LBB42_122
.LBB42_107:                             ;   in Loop: Header=BB42_4 Depth=1
	s_or_b32 exec_lo, exec_lo, s0
	s_and_saveexec_b32 s0, s3
	s_cbranch_execnz .LBB42_123
.LBB42_108:                             ;   in Loop: Header=BB42_4 Depth=1
	s_or_b32 exec_lo, exec_lo, s0
	s_and_saveexec_b32 s0, s4
	s_cbranch_execnz .LBB42_124
.LBB42_109:                             ;   in Loop: Header=BB42_4 Depth=1
	s_or_b32 exec_lo, exec_lo, s0
	s_and_saveexec_b32 s0, s5
	s_cbranch_execnz .LBB42_125
.LBB42_110:                             ;   in Loop: Header=BB42_4 Depth=1
	s_or_b32 exec_lo, exec_lo, s0
	s_and_saveexec_b32 s0, s6
	s_cbranch_execnz .LBB42_126
.LBB42_111:                             ;   in Loop: Header=BB42_4 Depth=1
	s_or_b32 exec_lo, exec_lo, s0
	s_and_saveexec_b32 s0, s7
	s_cbranch_execnz .LBB42_127
.LBB42_112:                             ;   in Loop: Header=BB42_4 Depth=1
	s_or_b32 exec_lo, exec_lo, s0
	s_and_saveexec_b32 s0, s8
	s_cbranch_execnz .LBB42_128
.LBB42_113:                             ;   in Loop: Header=BB42_4 Depth=1
	s_or_b32 exec_lo, exec_lo, s0
	s_and_saveexec_b32 s0, s9
	s_cbranch_execnz .LBB42_129
.LBB42_114:                             ;   in Loop: Header=BB42_4 Depth=1
	s_or_b32 exec_lo, exec_lo, s0
	s_and_saveexec_b32 s0, s10
	s_cbranch_execnz .LBB42_130
.LBB42_115:                             ;   in Loop: Header=BB42_4 Depth=1
	s_or_b32 exec_lo, exec_lo, s0
	s_and_saveexec_b32 s0, s11
	s_cbranch_execnz .LBB42_131
.LBB42_116:                             ;   in Loop: Header=BB42_4 Depth=1
	s_or_b32 exec_lo, exec_lo, s0
	s_and_saveexec_b32 s0, s12
	s_cbranch_execnz .LBB42_132
.LBB42_117:                             ;   in Loop: Header=BB42_4 Depth=1
	s_or_b32 exec_lo, exec_lo, s0
	s_and_saveexec_b32 s0, s13
	s_cbranch_execnz .LBB42_133
.LBB42_118:                             ;   in Loop: Header=BB42_4 Depth=1
	s_or_b32 exec_lo, exec_lo, s0
	s_and_saveexec_b32 s0, s14
	s_cbranch_execnz .LBB42_134
.LBB42_119:                             ;   in Loop: Header=BB42_4 Depth=1
	s_or_b32 exec_lo, exec_lo, s0
	s_and_saveexec_b32 s0, s15
	s_cbranch_execz .LBB42_3
	s_branch .LBB42_135
.LBB42_120:                             ;   in Loop: Header=BB42_4 Depth=1
	v_lshlrev_b64_e32 v[66:67], 3, v[98:99]
	s_delay_alu instid0(VALU_DEP_1) | instskip(SKIP_1) | instid1(VALU_DEP_2)
	v_add_co_u32 v66, vcc_lo, s26, v66
	s_wait_alu 0xfffd
	v_add_co_ci_u32_e64 v67, null, s27, v67, vcc_lo
	s_wait_loadcnt 0x0
	global_store_b64 v[66:67], v[2:3], off
	s_or_b32 exec_lo, exec_lo, s30
	s_and_saveexec_b32 s0, s1
	s_cbranch_execz .LBB42_106
.LBB42_121:                             ;   in Loop: Header=BB42_4 Depth=1
	v_lshlrev_b64_e32 v[66:67], 3, v[100:101]
	s_delay_alu instid0(VALU_DEP_1) | instskip(SKIP_1) | instid1(VALU_DEP_2)
	v_add_co_u32 v66, vcc_lo, s26, v66
	s_wait_alu 0xfffd
	v_add_co_ci_u32_e64 v67, null, s27, v67, vcc_lo
	s_wait_loadcnt 0x0
	global_store_b64 v[66:67], v[4:5], off
	s_or_b32 exec_lo, exec_lo, s0
	s_and_saveexec_b32 s0, s2
	s_cbranch_execz .LBB42_107
.LBB42_122:                             ;   in Loop: Header=BB42_4 Depth=1
	v_lshlrev_b64_e32 v[66:67], 3, v[102:103]
	s_delay_alu instid0(VALU_DEP_1) | instskip(SKIP_1) | instid1(VALU_DEP_2)
	v_add_co_u32 v66, vcc_lo, s26, v66
	s_wait_alu 0xfffd
	v_add_co_ci_u32_e64 v67, null, s27, v67, vcc_lo
	s_wait_loadcnt 0x0
	global_store_b64 v[66:67], v[6:7], off
	s_or_b32 exec_lo, exec_lo, s0
	s_and_saveexec_b32 s0, s3
	s_cbranch_execz .LBB42_108
.LBB42_123:                             ;   in Loop: Header=BB42_4 Depth=1
	v_lshlrev_b64_e32 v[66:67], 3, v[104:105]
	s_delay_alu instid0(VALU_DEP_1) | instskip(SKIP_1) | instid1(VALU_DEP_2)
	v_add_co_u32 v66, vcc_lo, s26, v66
	s_wait_alu 0xfffd
	v_add_co_ci_u32_e64 v67, null, s27, v67, vcc_lo
	s_wait_loadcnt 0x0
	global_store_b64 v[66:67], v[8:9], off
	s_or_b32 exec_lo, exec_lo, s0
	s_and_saveexec_b32 s0, s4
	s_cbranch_execz .LBB42_109
.LBB42_124:                             ;   in Loop: Header=BB42_4 Depth=1
	v_lshlrev_b64_e32 v[66:67], 3, v[106:107]
	s_delay_alu instid0(VALU_DEP_1) | instskip(SKIP_1) | instid1(VALU_DEP_2)
	v_add_co_u32 v66, vcc_lo, s26, v66
	s_wait_alu 0xfffd
	v_add_co_ci_u32_e64 v67, null, s27, v67, vcc_lo
	s_wait_loadcnt 0x0
	global_store_b64 v[66:67], v[10:11], off
	s_or_b32 exec_lo, exec_lo, s0
	s_and_saveexec_b32 s0, s5
	s_cbranch_execz .LBB42_110
.LBB42_125:                             ;   in Loop: Header=BB42_4 Depth=1
	v_lshlrev_b64_e32 v[66:67], 3, v[108:109]
	s_delay_alu instid0(VALU_DEP_1) | instskip(SKIP_1) | instid1(VALU_DEP_2)
	v_add_co_u32 v66, vcc_lo, s26, v66
	s_wait_alu 0xfffd
	v_add_co_ci_u32_e64 v67, null, s27, v67, vcc_lo
	s_wait_loadcnt 0x0
	global_store_b64 v[66:67], v[12:13], off
	s_or_b32 exec_lo, exec_lo, s0
	s_and_saveexec_b32 s0, s6
	s_cbranch_execz .LBB42_111
.LBB42_126:                             ;   in Loop: Header=BB42_4 Depth=1
	v_lshlrev_b64_e32 v[66:67], 3, v[110:111]
	s_delay_alu instid0(VALU_DEP_1) | instskip(SKIP_1) | instid1(VALU_DEP_2)
	v_add_co_u32 v66, vcc_lo, s26, v66
	s_wait_alu 0xfffd
	v_add_co_ci_u32_e64 v67, null, s27, v67, vcc_lo
	s_wait_loadcnt 0x0
	global_store_b64 v[66:67], v[14:15], off
	s_or_b32 exec_lo, exec_lo, s0
	s_and_saveexec_b32 s0, s7
	s_cbranch_execz .LBB42_112
.LBB42_127:                             ;   in Loop: Header=BB42_4 Depth=1
	v_lshlrev_b64_e32 v[66:67], 3, v[112:113]
	s_delay_alu instid0(VALU_DEP_1) | instskip(SKIP_1) | instid1(VALU_DEP_2)
	v_add_co_u32 v66, vcc_lo, s26, v66
	s_wait_alu 0xfffd
	v_add_co_ci_u32_e64 v67, null, s27, v67, vcc_lo
	s_wait_loadcnt 0x0
	global_store_b64 v[66:67], v[16:17], off
	s_or_b32 exec_lo, exec_lo, s0
	s_and_saveexec_b32 s0, s8
	s_cbranch_execz .LBB42_113
.LBB42_128:                             ;   in Loop: Header=BB42_4 Depth=1
	v_lshlrev_b64_e32 v[66:67], 3, v[114:115]
	s_delay_alu instid0(VALU_DEP_1) | instskip(SKIP_1) | instid1(VALU_DEP_2)
	v_add_co_u32 v66, vcc_lo, s26, v66
	s_wait_alu 0xfffd
	v_add_co_ci_u32_e64 v67, null, s27, v67, vcc_lo
	s_wait_loadcnt 0x0
	global_store_b64 v[66:67], v[18:19], off
	s_or_b32 exec_lo, exec_lo, s0
	s_and_saveexec_b32 s0, s9
	s_cbranch_execz .LBB42_114
.LBB42_129:                             ;   in Loop: Header=BB42_4 Depth=1
	v_lshlrev_b64_e32 v[66:67], 3, v[116:117]
	s_delay_alu instid0(VALU_DEP_1) | instskip(SKIP_1) | instid1(VALU_DEP_2)
	v_add_co_u32 v66, vcc_lo, s26, v66
	s_wait_alu 0xfffd
	v_add_co_ci_u32_e64 v67, null, s27, v67, vcc_lo
	s_wait_loadcnt 0x0
	global_store_b64 v[66:67], v[20:21], off
	s_or_b32 exec_lo, exec_lo, s0
	s_and_saveexec_b32 s0, s10
	s_cbranch_execz .LBB42_115
.LBB42_130:                             ;   in Loop: Header=BB42_4 Depth=1
	v_lshlrev_b64_e32 v[66:67], 3, v[118:119]
	s_delay_alu instid0(VALU_DEP_1) | instskip(SKIP_1) | instid1(VALU_DEP_2)
	v_add_co_u32 v66, vcc_lo, s26, v66
	s_wait_alu 0xfffd
	v_add_co_ci_u32_e64 v67, null, s27, v67, vcc_lo
	s_wait_loadcnt 0x0
	global_store_b64 v[66:67], v[22:23], off
	s_or_b32 exec_lo, exec_lo, s0
	s_and_saveexec_b32 s0, s11
	s_cbranch_execz .LBB42_116
.LBB42_131:                             ;   in Loop: Header=BB42_4 Depth=1
	v_lshlrev_b64_e32 v[66:67], 3, v[120:121]
	s_delay_alu instid0(VALU_DEP_1) | instskip(SKIP_1) | instid1(VALU_DEP_2)
	v_add_co_u32 v66, vcc_lo, s26, v66
	s_wait_alu 0xfffd
	v_add_co_ci_u32_e64 v67, null, s27, v67, vcc_lo
	s_wait_loadcnt 0x0
	global_store_b64 v[66:67], v[24:25], off
	s_or_b32 exec_lo, exec_lo, s0
	s_and_saveexec_b32 s0, s12
	s_cbranch_execz .LBB42_117
.LBB42_132:                             ;   in Loop: Header=BB42_4 Depth=1
	v_lshlrev_b64_e32 v[66:67], 3, v[122:123]
	s_delay_alu instid0(VALU_DEP_1) | instskip(SKIP_1) | instid1(VALU_DEP_2)
	v_add_co_u32 v66, vcc_lo, s26, v66
	s_wait_alu 0xfffd
	v_add_co_ci_u32_e64 v67, null, s27, v67, vcc_lo
	s_wait_loadcnt 0x0
	global_store_b64 v[66:67], v[26:27], off
	s_or_b32 exec_lo, exec_lo, s0
	s_and_saveexec_b32 s0, s13
	s_cbranch_execz .LBB42_118
.LBB42_133:                             ;   in Loop: Header=BB42_4 Depth=1
	v_lshlrev_b64_e32 v[66:67], 3, v[124:125]
	s_delay_alu instid0(VALU_DEP_1) | instskip(SKIP_1) | instid1(VALU_DEP_2)
	v_add_co_u32 v66, vcc_lo, s26, v66
	s_wait_alu 0xfffd
	v_add_co_ci_u32_e64 v67, null, s27, v67, vcc_lo
	s_wait_loadcnt 0x0
	global_store_b64 v[66:67], v[28:29], off
	s_or_b32 exec_lo, exec_lo, s0
	s_and_saveexec_b32 s0, s14
	s_cbranch_execz .LBB42_119
.LBB42_134:                             ;   in Loop: Header=BB42_4 Depth=1
	v_lshlrev_b64_e32 v[66:67], 3, v[126:127]
	s_delay_alu instid0(VALU_DEP_1) | instskip(SKIP_1) | instid1(VALU_DEP_2)
	v_add_co_u32 v66, vcc_lo, s26, v66
	s_wait_alu 0xfffd
	v_add_co_ci_u32_e64 v67, null, s27, v67, vcc_lo
	s_wait_loadcnt 0x0
	global_store_b64 v[66:67], v[30:31], off
	s_or_b32 exec_lo, exec_lo, s0
	s_and_saveexec_b32 s0, s15
	s_cbranch_execz .LBB42_3
.LBB42_135:                             ;   in Loop: Header=BB42_4 Depth=1
	v_lshlrev_b64_e32 v[66:67], 3, v[128:129]
	s_delay_alu instid0(VALU_DEP_1) | instskip(SKIP_1) | instid1(VALU_DEP_2)
	v_add_co_u32 v66, vcc_lo, s26, v66
	s_wait_alu 0xfffd
	v_add_co_ci_u32_e64 v67, null, s27, v67, vcc_lo
	s_wait_loadcnt 0x0
	global_store_b64 v[66:67], v[32:33], off
	s_branch .LBB42_3
.LBB42_136:
	s_nop 0
	s_sendmsg sendmsg(MSG_DEALLOC_VGPRS)
	s_endpgm
	.section	.rodata,"a",@progbits
	.p2align	6, 0x0
	.amdhsa_kernel _ZN9rocsolver6v33100L24stedc_mergeRotate_kernelIdEEviiPT_iilS3_Pi
		.amdhsa_group_segment_fixed_size 0
		.amdhsa_private_segment_fixed_size 0
		.amdhsa_kernarg_size 304
		.amdhsa_user_sgpr_count 2
		.amdhsa_user_sgpr_dispatch_ptr 0
		.amdhsa_user_sgpr_queue_ptr 0
		.amdhsa_user_sgpr_kernarg_segment_ptr 1
		.amdhsa_user_sgpr_dispatch_id 0
		.amdhsa_user_sgpr_private_segment_size 0
		.amdhsa_wavefront_size32 1
		.amdhsa_uses_dynamic_stack 0
		.amdhsa_enable_private_segment 0
		.amdhsa_system_sgpr_workgroup_id_x 1
		.amdhsa_system_sgpr_workgroup_id_y 1
		.amdhsa_system_sgpr_workgroup_id_z 0
		.amdhsa_system_sgpr_workgroup_info 0
		.amdhsa_system_vgpr_workitem_id 0
		.amdhsa_next_free_vgpr 168
		.amdhsa_next_free_sgpr 41
		.amdhsa_reserve_vcc 1
		.amdhsa_float_round_mode_32 0
		.amdhsa_float_round_mode_16_64 0
		.amdhsa_float_denorm_mode_32 3
		.amdhsa_float_denorm_mode_16_64 3
		.amdhsa_fp16_overflow 0
		.amdhsa_workgroup_processor_mode 1
		.amdhsa_memory_ordered 1
		.amdhsa_forward_progress 1
		.amdhsa_inst_pref_size 47
		.amdhsa_round_robin_scheduling 0
		.amdhsa_exception_fp_ieee_invalid_op 0
		.amdhsa_exception_fp_denorm_src 0
		.amdhsa_exception_fp_ieee_div_zero 0
		.amdhsa_exception_fp_ieee_overflow 0
		.amdhsa_exception_fp_ieee_underflow 0
		.amdhsa_exception_fp_ieee_inexact 0
		.amdhsa_exception_int_div_zero 0
	.end_amdhsa_kernel
	.section	.text._ZN9rocsolver6v33100L24stedc_mergeRotate_kernelIdEEviiPT_iilS3_Pi,"axG",@progbits,_ZN9rocsolver6v33100L24stedc_mergeRotate_kernelIdEEviiPT_iilS3_Pi,comdat
.Lfunc_end42:
	.size	_ZN9rocsolver6v33100L24stedc_mergeRotate_kernelIdEEviiPT_iilS3_Pi, .Lfunc_end42-_ZN9rocsolver6v33100L24stedc_mergeRotate_kernelIdEEviiPT_iilS3_Pi
                                        ; -- End function
	.set _ZN9rocsolver6v33100L24stedc_mergeRotate_kernelIdEEviiPT_iilS3_Pi.num_vgpr, 168
	.set _ZN9rocsolver6v33100L24stedc_mergeRotate_kernelIdEEviiPT_iilS3_Pi.num_agpr, 0
	.set _ZN9rocsolver6v33100L24stedc_mergeRotate_kernelIdEEviiPT_iilS3_Pi.numbered_sgpr, 41
	.set _ZN9rocsolver6v33100L24stedc_mergeRotate_kernelIdEEviiPT_iilS3_Pi.num_named_barrier, 0
	.set _ZN9rocsolver6v33100L24stedc_mergeRotate_kernelIdEEviiPT_iilS3_Pi.private_seg_size, 0
	.set _ZN9rocsolver6v33100L24stedc_mergeRotate_kernelIdEEviiPT_iilS3_Pi.uses_vcc, 1
	.set _ZN9rocsolver6v33100L24stedc_mergeRotate_kernelIdEEviiPT_iilS3_Pi.uses_flat_scratch, 0
	.set _ZN9rocsolver6v33100L24stedc_mergeRotate_kernelIdEEviiPT_iilS3_Pi.has_dyn_sized_stack, 0
	.set _ZN9rocsolver6v33100L24stedc_mergeRotate_kernelIdEEviiPT_iilS3_Pi.has_recursion, 0
	.set _ZN9rocsolver6v33100L24stedc_mergeRotate_kernelIdEEviiPT_iilS3_Pi.has_indirect_call, 0
	.section	.AMDGPU.csdata,"",@progbits
; Kernel info:
; codeLenInByte = 5948
; TotalNumSgprs: 43
; NumVgprs: 168
; ScratchSize: 0
; MemoryBound: 0
; FloatMode: 240
; IeeeMode: 1
; LDSByteSize: 0 bytes/workgroup (compile time only)
; SGPRBlocks: 0
; VGPRBlocks: 20
; NumSGPRsForWavesPerEU: 43
; NumVGPRsForWavesPerEU: 168
; Occupancy: 9
; WaveLimiterHint : 1
; COMPUTE_PGM_RSRC2:SCRATCH_EN: 0
; COMPUTE_PGM_RSRC2:USER_SGPR: 2
; COMPUTE_PGM_RSRC2:TRAP_HANDLER: 0
; COMPUTE_PGM_RSRC2:TGID_X_EN: 1
; COMPUTE_PGM_RSRC2:TGID_Y_EN: 1
; COMPUTE_PGM_RSRC2:TGID_Z_EN: 0
; COMPUTE_PGM_RSRC2:TIDIG_COMP_CNT: 0
	.section	.text._ZN9rocsolver6v33100L31stedc_mergeValues_SortDZ_kernelIdEEviiPT_lS3_Pi,"axG",@progbits,_ZN9rocsolver6v33100L31stedc_mergeValues_SortDZ_kernelIdEEviiPT_lS3_Pi,comdat
	.globl	_ZN9rocsolver6v33100L31stedc_mergeValues_SortDZ_kernelIdEEviiPT_lS3_Pi ; -- Begin function _ZN9rocsolver6v33100L31stedc_mergeValues_SortDZ_kernelIdEEviiPT_lS3_Pi
	.p2align	8
	.type	_ZN9rocsolver6v33100L31stedc_mergeValues_SortDZ_kernelIdEEviiPT_lS3_Pi,@function
_ZN9rocsolver6v33100L31stedc_mergeValues_SortDZ_kernelIdEEviiPT_lS3_Pi: ; @_ZN9rocsolver6v33100L31stedc_mergeValues_SortDZ_kernelIdEEviiPT_lS3_Pi
; %bb.0:
	s_clause 0x1
	s_load_b32 s14, s[0:1], 0x4
	s_load_b256 s[4:11], s[0:1], 0x8
	s_mov_b32 s2, ttmp9
	s_ashr_i32 s3, ttmp9, 31
	s_load_b32 s31, s[0:1], 0x34
	s_mov_b32 s20, ttmp7
	s_ashr_i32 s21, ttmp7, 31
	s_mov_b32 s33, 0xbff00000
	s_movk_i32 s0, 0xffec
	s_mov_b32 s1, -1
	s_mov_b32 s36, 0
	v_mov_b32_e32 v2, 0
	v_mov_b32_e32 v44, 0
	s_wait_kmcnt 0x0
	s_mul_i32 s28, s14, ttmp7
	s_mul_i32 s16, s14, 7
	s_mul_i32 s12, s28, 10
	s_ashr_i32 s17, s16, 31
	s_ashr_i32 s13, s12, 31
	;; [unrolled: 1-line block ×3, first 2 shown]
	s_lshl_b64 s[12:13], s[12:13], 3
	s_lshl_b64 s[16:17], s[16:17], 3
	s_add_nc_u64 s[8:9], s[8:9], s[12:13]
	s_lshl_b64 s[26:27], s[14:15], 3
	s_add_nc_u64 s[12:13], s[8:9], s[16:17]
	;; [unrolled: 2-line block ×3, first 2 shown]
	s_mul_u64 s[6:7], s[6:7], s[20:21]
	s_add_nc_u64 s[22:23], s[18:19], s[26:27]
	s_mul_i32 s28, s28, 13
	s_add_nc_u64 s[24:25], s[22:23], s[16:17]
	s_lshl_b32 s20, s14, 3
	s_load_b64 s[24:25], s[24:25], 0x0
	s_lshl_b64 s[6:7], s[6:7], 3
	s_ashr_i32 s29, s28, 31
	s_ashr_i32 s21, s20, 31
	s_add_nc_u64 s[34:35], s[4:5], s[6:7]
	s_lshl_b64 s[6:7], s[28:29], 2
	s_lshl_b64 s[4:5], s[20:21], 2
	s_add_nc_u64 s[20:21], s[34:35], s[16:17]
	s_add_nc_u64 s[6:7], s[10:11], s[6:7]
	s_load_b64 s[20:21], s[20:21], 0x0
	s_add_nc_u64 s[38:39], s[6:7], s[4:5]
	s_mul_u64 s[0:1], s[14:15], s[0:1]
	s_add_nc_u64 s[26:27], s[38:39], s[26:27]
	s_delay_alu instid0(SALU_CYCLE_1)
	s_add_nc_u64 s[4:5], s[26:27], s[0:1]
	s_wait_kmcnt 0x0
	v_cmp_lt_f64_e64 s30, s[24:25], 0
	s_lshl_b64 s[24:25], s[14:15], 2
	s_and_b32 s10, s30, exec_lo
	s_cselect_b32 s37, s33, 0x3ff00000
	s_and_b32 s33, s31, 0xffff
	s_lshl_b64 s[0:1], s[2:3], 2
	s_lshl_b32 s40, s33, 3
	s_add_nc_u64 s[2:3], s[4:5], s[0:1]
	s_cvt_f32_u32 s6, s40
	s_load_b32 s41, s[2:3], 0x0
	v_mul_f64_e64 v[10:11], s[20:21], s[36:37]
	s_add_nc_u64 s[30:31], s[4:5], s[24:25]
	v_rcp_iflag_f32_e32 v1, s6
	s_sub_co_i32 s5, 0, s40
	s_delay_alu instid0(TRANS32_DEP_1) | instskip(SKIP_3) | instid1(SALU_CYCLE_1)
	v_readfirstlane_b32 s2, v1
	s_mul_f32 s2, s2, 0x4f7ffffe
	s_wait_kmcnt 0x0
	s_add_co_i32 s6, s41, -1
	s_cvt_u32_f32 s4, s2
	s_add_nc_u64 s[2:3], s[30:31], s[0:1]
	s_load_b32 s11, s[2:3], 0x0
	s_delay_alu instid0(SALU_CYCLE_1) | instskip(NEXT) | instid1(SALU_CYCLE_1)
	s_mul_i32 s5, s5, s4
	s_mul_hi_u32 s2, s4, s5
	s_abs_i32 s5, s6
	s_add_co_i32 s4, s4, s2
	s_add_nc_u64 s[2:3], s[8:9], s[16:17]
	s_mul_hi_u32 s4, s5, s4
	s_load_b64 s[28:29], s[2:3], 0x0
	s_mul_i32 s2, s4, s40
	s_ashr_i32 s3, s6, 31
	s_sub_co_i32 s2, s5, s2
	s_add_co_i32 s5, s4, 1
	s_sub_co_i32 s6, s2, s40
	s_cmp_ge_u32 s2, s40
	s_cselect_b32 s4, s5, s4
	s_wait_alu 0xfffe
	s_cselect_b32 s2, s6, s2
	s_add_co_i32 s5, s4, 1
	s_cmp_ge_u32 s2, s40
	s_cselect_b32 s2, s5, s4
	s_delay_alu instid0(SALU_CYCLE_1) | instskip(NEXT) | instid1(SALU_CYCLE_1)
	s_xor_b32 s2, s2, s3
	s_sub_co_i32 s3, s2, s3
	s_mov_b32 s2, -1
	s_cmp_lt_i32 s3, 0
	s_cbranch_scc1 .LBB43_36
; %bb.1:
	s_add_nc_u64 s[0:1], s[38:39], s[0:1]
	v_mov_b32_e32 v1, 0
	s_load_b32 s43, s[0:1], 0x0
	s_lshl_b32 s0, s33, 1
	s_mul_i32 s1, s33, 3
	s_wait_kmcnt 0x0
	s_add_co_i32 s44, s11, s0
	v_dual_mov_b32 v8, v1 :: v_dual_mov_b32 v13, v1
	v_dual_mov_b32 v2, v1 :: v_dual_mov_b32 v3, v1
	;; [unrolled: 1-line block ×4, first 2 shown]
	s_add_co_i32 s45, s11, s1
	s_lshl_b32 s0, s33, 2
	s_mul_i32 s1, s33, 5
	v_dual_mov_b32 v44, v1 :: v_dual_mov_b32 v9, v8
	v_dual_mov_b32 v12, v1 :: v_dual_mov_b32 v15, v1
	;; [unrolled: 1-line block ×10, first 2 shown]
	v_mov_b32_e32 v8, v7
	v_mov_b32_e32 v7, v6
	;; [unrolled: 1-line block ×7, first 2 shown]
	s_add_co_i32 s46, s11, s0
	s_add_co_i32 s47, s11, s1
	s_mul_i32 s0, s33, 6
	s_mul_i32 s1, s33, 7
	s_add_co_i32 s42, s3, 1
	s_add_co_i32 s48, s11, s0
	s_add_co_i32 s49, s11, s1
	s_add_co_i32 s50, s11, s33
	s_branch .LBB43_3
.LBB43_2:                               ;   in Loop: Header=BB43_3 Depth=1
	s_wait_alu 0xfffe
	s_or_b32 exec_lo, exec_lo, s4
	v_add_nc_u32_e32 v45, s40, v45
	s_add_co_i32 s42, s42, -1
	s_wait_alu 0xfffe
	s_cmp_eq_u32 s42, 0
	s_cbranch_scc1 .LBB43_35
.LBB43_3:                               ; =>This Inner Loop Header: Depth=1
	v_cmp_gt_i32_e64 s6, s41, v45
	v_add_nc_u32_e32 v42, s11, v45
	s_and_saveexec_b32 s0, s6
	s_cbranch_execz .LBB43_5
; %bb.4:                                ;   in Loop: Header=BB43_3 Depth=1
	s_delay_alu instid0(VALU_DEP_1) | instskip(NEXT) | instid1(VALU_DEP_1)
	v_ashrrev_i32_e32 v43, 31, v42
	v_lshlrev_b64_e32 v[12:13], 3, v[42:43]
	v_lshlrev_b64_e32 v[28:29], 2, v[42:43]
	s_delay_alu instid0(VALU_DEP_2) | instskip(SKIP_1) | instid1(VALU_DEP_3)
	v_add_co_u32 v12, vcc_lo, s34, v12
	s_wait_alu 0xfffd
	v_add_co_ci_u32_e64 v13, null, s35, v13, vcc_lo
	s_delay_alu instid0(VALU_DEP_3)
	v_add_co_u32 v28, vcc_lo, s38, v28
	s_wait_alu 0xfffd
	v_add_co_ci_u32_e64 v29, null, s39, v29, vcc_lo
	global_load_b64 v[12:13], v[12:13], off
	s_wait_loadcnt 0x1
	global_load_b32 v2, v[28:29], off
	s_wait_loadcnt 0x1
	v_mul_f64_e32 v[12:13], s[36:37], v[12:13]
.LBB43_5:                               ;   in Loop: Header=BB43_3 Depth=1
	s_wait_alu 0xfffe
	s_or_b32 exec_lo, exec_lo, s0
	v_add_nc_u32_e32 v28, s33, v45
	v_add_nc_u32_e32 v40, s50, v45
	s_delay_alu instid0(VALU_DEP_2)
	v_cmp_gt_i32_e64 s5, s41, v28
	s_and_saveexec_b32 s0, s5
	s_cbranch_execz .LBB43_7
; %bb.6:                                ;   in Loop: Header=BB43_3 Depth=1
	v_ashrrev_i32_e32 v41, 31, v40
	s_delay_alu instid0(VALU_DEP_1) | instskip(SKIP_1) | instid1(VALU_DEP_2)
	v_lshlrev_b64_e32 v[14:15], 3, v[40:41]
	v_lshlrev_b64_e32 v[29:30], 2, v[40:41]
	v_add_co_u32 v14, vcc_lo, s34, v14
	s_wait_alu 0xfffd
	s_delay_alu instid0(VALU_DEP_3) | instskip(NEXT) | instid1(VALU_DEP_3)
	v_add_co_ci_u32_e64 v15, null, s35, v15, vcc_lo
	v_add_co_u32 v29, vcc_lo, s38, v29
	s_wait_alu 0xfffd
	v_add_co_ci_u32_e64 v30, null, s39, v30, vcc_lo
	global_load_b64 v[14:15], v[14:15], off
	s_wait_loadcnt 0x1
	global_load_b32 v3, v[29:30], off
	s_wait_loadcnt 0x1
	v_mul_f64_e32 v[14:15], s[36:37], v[14:15]
.LBB43_7:                               ;   in Loop: Header=BB43_3 Depth=1
	s_wait_alu 0xfffe
	s_or_b32 exec_lo, exec_lo, s0
	v_add_nc_u32_e32 v28, s33, v28
	v_add_nc_u32_e32 v38, s44, v45
	s_delay_alu instid0(VALU_DEP_2)
	v_cmp_gt_i32_e64 s4, s41, v28
	s_and_saveexec_b32 s0, s4
	s_cbranch_execz .LBB43_9
; %bb.8:                                ;   in Loop: Header=BB43_3 Depth=1
	v_ashrrev_i32_e32 v39, 31, v38
	s_delay_alu instid0(VALU_DEP_1) | instskip(SKIP_1) | instid1(VALU_DEP_2)
	v_lshlrev_b64_e32 v[16:17], 3, v[38:39]
	v_lshlrev_b64_e32 v[29:30], 2, v[38:39]
	v_add_co_u32 v16, vcc_lo, s34, v16
	s_wait_alu 0xfffd
	s_delay_alu instid0(VALU_DEP_3) | instskip(NEXT) | instid1(VALU_DEP_3)
	v_add_co_ci_u32_e64 v17, null, s35, v17, vcc_lo
	v_add_co_u32 v29, vcc_lo, s38, v29
	s_wait_alu 0xfffd
	v_add_co_ci_u32_e64 v30, null, s39, v30, vcc_lo
	global_load_b64 v[16:17], v[16:17], off
	s_wait_loadcnt 0x1
	global_load_b32 v4, v[29:30], off
	s_wait_loadcnt 0x1
	v_mul_f64_e32 v[16:17], s[36:37], v[16:17]
.LBB43_9:                               ;   in Loop: Header=BB43_3 Depth=1
	s_wait_alu 0xfffe
	s_or_b32 exec_lo, exec_lo, s0
	v_add_nc_u32_e32 v28, s33, v28
	v_add_nc_u32_e32 v36, s45, v45
	s_delay_alu instid0(VALU_DEP_2)
	v_cmp_gt_i32_e64 s3, s41, v28
	s_and_saveexec_b32 s0, s3
	s_cbranch_execz .LBB43_11
; %bb.10:                               ;   in Loop: Header=BB43_3 Depth=1
	v_ashrrev_i32_e32 v37, 31, v36
	s_delay_alu instid0(VALU_DEP_1) | instskip(SKIP_1) | instid1(VALU_DEP_2)
	v_lshlrev_b64_e32 v[18:19], 3, v[36:37]
	v_lshlrev_b64_e32 v[29:30], 2, v[36:37]
	v_add_co_u32 v18, vcc_lo, s34, v18
	s_wait_alu 0xfffd
	s_delay_alu instid0(VALU_DEP_3) | instskip(NEXT) | instid1(VALU_DEP_3)
	v_add_co_ci_u32_e64 v19, null, s35, v19, vcc_lo
	v_add_co_u32 v29, vcc_lo, s38, v29
	s_wait_alu 0xfffd
	v_add_co_ci_u32_e64 v30, null, s39, v30, vcc_lo
	global_load_b64 v[18:19], v[18:19], off
	s_wait_loadcnt 0x1
	global_load_b32 v5, v[29:30], off
	s_wait_loadcnt 0x1
	v_mul_f64_e32 v[18:19], s[36:37], v[18:19]
.LBB43_11:                              ;   in Loop: Header=BB43_3 Depth=1
	s_wait_alu 0xfffe
	s_or_b32 exec_lo, exec_lo, s0
	v_add_nc_u32_e32 v28, s33, v28
	v_add_nc_u32_e32 v34, s46, v45
	s_delay_alu instid0(VALU_DEP_2)
	v_cmp_gt_i32_e64 s2, s41, v28
	s_and_saveexec_b32 s0, s2
	s_cbranch_execz .LBB43_13
; %bb.12:                               ;   in Loop: Header=BB43_3 Depth=1
	v_ashrrev_i32_e32 v35, 31, v34
	s_delay_alu instid0(VALU_DEP_1) | instskip(SKIP_1) | instid1(VALU_DEP_2)
	v_lshlrev_b64_e32 v[20:21], 3, v[34:35]
	v_lshlrev_b64_e32 v[29:30], 2, v[34:35]
	v_add_co_u32 v20, vcc_lo, s34, v20
	s_wait_alu 0xfffd
	s_delay_alu instid0(VALU_DEP_3) | instskip(NEXT) | instid1(VALU_DEP_3)
	v_add_co_ci_u32_e64 v21, null, s35, v21, vcc_lo
	v_add_co_u32 v29, vcc_lo, s38, v29
	s_wait_alu 0xfffd
	v_add_co_ci_u32_e64 v30, null, s39, v30, vcc_lo
	global_load_b64 v[20:21], v[20:21], off
	s_wait_loadcnt 0x1
	global_load_b32 v6, v[29:30], off
	s_wait_loadcnt 0x1
	v_mul_f64_e32 v[20:21], s[36:37], v[20:21]
.LBB43_13:                              ;   in Loop: Header=BB43_3 Depth=1
	s_wait_alu 0xfffe
	s_or_b32 exec_lo, exec_lo, s0
	v_add_nc_u32_e32 v28, s33, v28
	v_add_nc_u32_e32 v32, s47, v45
	s_delay_alu instid0(VALU_DEP_2)
	v_cmp_gt_i32_e64 s1, s41, v28
	s_and_saveexec_b32 s0, s1
	s_cbranch_execz .LBB43_15
; %bb.14:                               ;   in Loop: Header=BB43_3 Depth=1
	v_ashrrev_i32_e32 v33, 31, v32
	s_delay_alu instid0(VALU_DEP_1) | instskip(SKIP_1) | instid1(VALU_DEP_2)
	v_lshlrev_b64_e32 v[22:23], 3, v[32:33]
	v_lshlrev_b64_e32 v[29:30], 2, v[32:33]
	v_add_co_u32 v22, vcc_lo, s34, v22
	s_wait_alu 0xfffd
	s_delay_alu instid0(VALU_DEP_3) | instskip(NEXT) | instid1(VALU_DEP_3)
	v_add_co_ci_u32_e64 v23, null, s35, v23, vcc_lo
	v_add_co_u32 v29, vcc_lo, s38, v29
	s_wait_alu 0xfffd
	v_add_co_ci_u32_e64 v30, null, s39, v30, vcc_lo
	global_load_b64 v[22:23], v[22:23], off
	s_wait_loadcnt 0x1
	global_load_b32 v7, v[29:30], off
	s_wait_loadcnt 0x1
	v_mul_f64_e32 v[22:23], s[36:37], v[22:23]
.LBB43_15:                              ;   in Loop: Header=BB43_3 Depth=1
	s_wait_alu 0xfffe
	s_or_b32 exec_lo, exec_lo, s0
	v_add_nc_u32_e32 v28, s33, v28
	v_add_nc_u32_e32 v30, s48, v45
	s_delay_alu instid0(VALU_DEP_2)
	v_cmp_gt_i32_e64 s0, s41, v28
	s_and_saveexec_b32 s7, s0
	s_cbranch_execz .LBB43_17
; %bb.16:                               ;   in Loop: Header=BB43_3 Depth=1
	v_ashrrev_i32_e32 v31, 31, v30
	s_delay_alu instid0(VALU_DEP_1) | instskip(SKIP_1) | instid1(VALU_DEP_2)
	v_lshlrev_b64_e32 v[24:25], 3, v[30:31]
	v_lshlrev_b64_e32 v[48:49], 2, v[30:31]
	v_add_co_u32 v24, vcc_lo, s34, v24
	s_wait_alu 0xfffd
	s_delay_alu instid0(VALU_DEP_3) | instskip(NEXT) | instid1(VALU_DEP_3)
	v_add_co_ci_u32_e64 v25, null, s35, v25, vcc_lo
	v_add_co_u32 v48, vcc_lo, s38, v48
	s_wait_alu 0xfffd
	v_add_co_ci_u32_e64 v49, null, s39, v49, vcc_lo
	global_load_b64 v[24:25], v[24:25], off
	s_wait_loadcnt 0x1
	global_load_b32 v8, v[48:49], off
	s_wait_loadcnt 0x1
	v_mul_f64_e32 v[24:25], s[36:37], v[24:25]
.LBB43_17:                              ;   in Loop: Header=BB43_3 Depth=1
	s_wait_alu 0xfffe
	s_or_b32 exec_lo, exec_lo, s7
	v_add_nc_u32_e32 v28, s33, v28
	s_delay_alu instid0(VALU_DEP_1)
	v_cmp_gt_i32_e32 vcc_lo, s41, v28
	v_add_nc_u32_e32 v28, s49, v45
	s_and_saveexec_b32 s8, vcc_lo
	s_cbranch_execnz .LBB43_26
; %bb.18:                               ;   in Loop: Header=BB43_3 Depth=1
	s_wait_alu 0xfffe
	s_or_b32 exec_lo, exec_lo, s8
	s_and_saveexec_b32 s51, s6
	s_cbranch_execnz .LBB43_27
.LBB43_19:                              ;   in Loop: Header=BB43_3 Depth=1
	s_wait_alu 0xfffe
	s_or_b32 exec_lo, exec_lo, s51
	s_and_saveexec_b32 s10, s5
	s_cbranch_execnz .LBB43_28
.LBB43_20:                              ;   in Loop: Header=BB43_3 Depth=1
	s_wait_alu 0xfffe
	s_or_b32 exec_lo, exec_lo, s10
	s_and_saveexec_b32 s9, s4
	s_cbranch_execnz .LBB43_29
.LBB43_21:                              ;   in Loop: Header=BB43_3 Depth=1
	s_wait_alu 0xfffe
	s_or_b32 exec_lo, exec_lo, s9
	s_and_saveexec_b32 s8, s3
	s_cbranch_execnz .LBB43_30
.LBB43_22:                              ;   in Loop: Header=BB43_3 Depth=1
	s_wait_alu 0xfffe
	s_or_b32 exec_lo, exec_lo, s8
	s_and_saveexec_b32 s7, s2
	s_cbranch_execnz .LBB43_31
.LBB43_23:                              ;   in Loop: Header=BB43_3 Depth=1
	s_wait_alu 0xfffe
	s_or_b32 exec_lo, exec_lo, s7
	s_and_saveexec_b32 s6, s1
	s_cbranch_execnz .LBB43_32
.LBB43_24:                              ;   in Loop: Header=BB43_3 Depth=1
	s_wait_alu 0xfffe
	s_or_b32 exec_lo, exec_lo, s6
	s_and_saveexec_b32 s5, s0
	s_cbranch_execnz .LBB43_33
.LBB43_25:                              ;   in Loop: Header=BB43_3 Depth=1
	s_wait_alu 0xfffe
	s_or_b32 exec_lo, exec_lo, s5
	s_and_saveexec_b32 s4, vcc_lo
	s_cbranch_execz .LBB43_2
	s_branch .LBB43_34
.LBB43_26:                              ;   in Loop: Header=BB43_3 Depth=1
	s_delay_alu instid0(VALU_DEP_1) | instskip(NEXT) | instid1(VALU_DEP_1)
	v_ashrrev_i32_e32 v29, 31, v28
	v_lshlrev_b64_e32 v[26:27], 3, v[28:29]
	v_lshlrev_b64_e32 v[48:49], 2, v[28:29]
	s_delay_alu instid0(VALU_DEP_2) | instskip(SKIP_1) | instid1(VALU_DEP_3)
	v_add_co_u32 v26, s7, s34, v26
	s_wait_alu 0xf1ff
	v_add_co_ci_u32_e64 v27, null, s35, v27, s7
	s_delay_alu instid0(VALU_DEP_3)
	v_add_co_u32 v48, s7, s38, v48
	s_wait_alu 0xf1ff
	v_add_co_ci_u32_e64 v49, null, s39, v49, s7
	global_load_b64 v[26:27], v[26:27], off
	s_wait_loadcnt 0x1
	global_load_b32 v9, v[48:49], off
	s_wait_loadcnt 0x1
	v_mul_f64_e32 v[26:27], s[36:37], v[26:27]
	s_wait_alu 0xfffe
	s_or_b32 exec_lo, exec_lo, s8
	s_and_saveexec_b32 s51, s6
	s_cbranch_execz .LBB43_19
.LBB43_27:                              ;   in Loop: Header=BB43_3 Depth=1
	v_cmp_u_f64_e64 s8, v[12:13], v[12:13]
	v_cmp_lt_f64_e64 s6, v[12:13], v[10:11]
	v_cmp_eq_f64_e64 s7, v[12:13], v[10:11]
	s_wait_loadcnt 0x0
	v_cmp_lt_i32_e64 s10, 0, v2
	v_cmp_eq_u32_e64 s9, s43, v2
	s_wait_alu 0xf1ff
	s_delay_alu instid0(VALU_DEP_2)
	v_add_co_ci_u32_e64 v44, null, 0, v44, s10
	v_cmp_gt_i32_e64 s10, ttmp9, v42
	v_add_co_ci_u32_e64 v1, null, 0, v1, s8
	v_cmp_lt_i32_e64 s8, s43, v2
	s_and_b32 s6, s9, s6
	s_and_b32 s7, s9, s7
	s_wait_alu 0xfffe
	s_or_b32 s6, s8, s6
	s_wait_alu 0xfffe
	v_add_co_ci_u32_e64 v46, null, 0, v46, s6
	s_and_b32 s6, s7, s10
	s_wait_alu 0xfffe
	v_add_co_ci_u32_e64 v47, null, 0, v47, s6
	s_or_b32 exec_lo, exec_lo, s51
	s_and_saveexec_b32 s10, s5
	s_cbranch_execz .LBB43_20
.LBB43_28:                              ;   in Loop: Header=BB43_3 Depth=1
	v_cmp_u_f64_e64 s7, v[14:15], v[14:15]
	v_cmp_lt_f64_e64 s5, v[14:15], v[10:11]
	v_cmp_eq_f64_e64 s6, v[14:15], v[10:11]
	s_wait_loadcnt 0x0
	v_cmp_lt_i32_e64 s9, 0, v3
	v_cmp_eq_u32_e64 s8, s43, v3
	s_wait_alu 0xf1ff
	s_delay_alu instid0(VALU_DEP_2)
	v_add_co_ci_u32_e64 v44, null, 0, v44, s9
	v_cmp_gt_i32_e64 s9, ttmp9, v40
	v_add_co_ci_u32_e64 v1, null, 0, v1, s7
	v_cmp_lt_i32_e64 s7, s43, v3
	s_and_b32 s5, s8, s5
	s_and_b32 s6, s8, s6
	s_wait_alu 0xfffe
	s_or_b32 s5, s7, s5
	s_wait_alu 0xfffe
	v_add_co_ci_u32_e64 v46, null, 0, v46, s5
	s_and_b32 s5, s6, s9
	s_wait_alu 0xfffe
	v_add_co_ci_u32_e64 v47, null, 0, v47, s5
	s_or_b32 exec_lo, exec_lo, s10
	s_and_saveexec_b32 s9, s4
	s_cbranch_execz .LBB43_21
.LBB43_29:                              ;   in Loop: Header=BB43_3 Depth=1
	v_cmp_u_f64_e64 s6, v[16:17], v[16:17]
	v_cmp_lt_f64_e64 s4, v[16:17], v[10:11]
	v_cmp_eq_f64_e64 s5, v[16:17], v[10:11]
	s_wait_loadcnt 0x0
	v_cmp_lt_i32_e64 s8, 0, v4
	v_cmp_eq_u32_e64 s7, s43, v4
	s_wait_alu 0xf1ff
	s_delay_alu instid0(VALU_DEP_2)
	v_add_co_ci_u32_e64 v44, null, 0, v44, s8
	v_cmp_gt_i32_e64 s8, ttmp9, v38
	v_add_co_ci_u32_e64 v1, null, 0, v1, s6
	v_cmp_lt_i32_e64 s6, s43, v4
	s_and_b32 s4, s7, s4
	s_and_b32 s5, s7, s5
	s_wait_alu 0xfffe
	s_or_b32 s4, s6, s4
	s_wait_alu 0xfffe
	v_add_co_ci_u32_e64 v46, null, 0, v46, s4
	s_and_b32 s4, s5, s8
	s_wait_alu 0xfffe
	v_add_co_ci_u32_e64 v47, null, 0, v47, s4
	s_or_b32 exec_lo, exec_lo, s9
	s_and_saveexec_b32 s8, s3
	s_cbranch_execz .LBB43_22
.LBB43_30:                              ;   in Loop: Header=BB43_3 Depth=1
	v_cmp_u_f64_e64 s5, v[18:19], v[18:19]
	v_cmp_lt_f64_e64 s3, v[18:19], v[10:11]
	v_cmp_eq_f64_e64 s4, v[18:19], v[10:11]
	s_wait_loadcnt 0x0
	v_cmp_lt_i32_e64 s7, 0, v5
	v_cmp_eq_u32_e64 s6, s43, v5
	s_wait_alu 0xf1ff
	s_delay_alu instid0(VALU_DEP_2)
	v_add_co_ci_u32_e64 v44, null, 0, v44, s7
	v_cmp_gt_i32_e64 s7, ttmp9, v36
	v_add_co_ci_u32_e64 v1, null, 0, v1, s5
	v_cmp_lt_i32_e64 s5, s43, v5
	s_and_b32 s3, s6, s3
	s_and_b32 s4, s6, s4
	s_wait_alu 0xfffe
	s_or_b32 s3, s5, s3
	s_wait_alu 0xfffe
	v_add_co_ci_u32_e64 v46, null, 0, v46, s3
	s_and_b32 s3, s4, s7
	s_wait_alu 0xfffe
	v_add_co_ci_u32_e64 v47, null, 0, v47, s3
	s_or_b32 exec_lo, exec_lo, s8
	s_and_saveexec_b32 s7, s2
	s_cbranch_execz .LBB43_23
.LBB43_31:                              ;   in Loop: Header=BB43_3 Depth=1
	v_cmp_u_f64_e64 s4, v[20:21], v[20:21]
	v_cmp_lt_f64_e64 s2, v[20:21], v[10:11]
	v_cmp_eq_f64_e64 s3, v[20:21], v[10:11]
	s_wait_loadcnt 0x0
	v_cmp_lt_i32_e64 s6, 0, v6
	v_cmp_eq_u32_e64 s5, s43, v6
	s_wait_alu 0xf1ff
	s_delay_alu instid0(VALU_DEP_2)
	v_add_co_ci_u32_e64 v44, null, 0, v44, s6
	v_cmp_gt_i32_e64 s6, ttmp9, v34
	v_add_co_ci_u32_e64 v1, null, 0, v1, s4
	v_cmp_lt_i32_e64 s4, s43, v6
	s_and_b32 s2, s5, s2
	s_and_b32 s3, s5, s3
	s_wait_alu 0xfffe
	s_or_b32 s2, s4, s2
	s_wait_alu 0xfffe
	v_add_co_ci_u32_e64 v46, null, 0, v46, s2
	s_and_b32 s2, s3, s6
	s_wait_alu 0xfffe
	v_add_co_ci_u32_e64 v47, null, 0, v47, s2
	s_or_b32 exec_lo, exec_lo, s7
	s_and_saveexec_b32 s6, s1
	s_cbranch_execz .LBB43_24
.LBB43_32:                              ;   in Loop: Header=BB43_3 Depth=1
	v_cmp_u_f64_e64 s3, v[22:23], v[22:23]
	v_cmp_lt_f64_e64 s1, v[22:23], v[10:11]
	v_cmp_eq_f64_e64 s2, v[22:23], v[10:11]
	s_wait_loadcnt 0x0
	v_cmp_lt_i32_e64 s5, 0, v7
	v_cmp_eq_u32_e64 s4, s43, v7
	s_wait_alu 0xf1ff
	s_delay_alu instid0(VALU_DEP_2)
	v_add_co_ci_u32_e64 v44, null, 0, v44, s5
	v_cmp_gt_i32_e64 s5, ttmp9, v32
	v_add_co_ci_u32_e64 v1, null, 0, v1, s3
	v_cmp_lt_i32_e64 s3, s43, v7
	s_and_b32 s1, s4, s1
	s_and_b32 s2, s4, s2
	s_wait_alu 0xfffe
	s_or_b32 s1, s3, s1
	s_wait_alu 0xfffe
	v_add_co_ci_u32_e64 v46, null, 0, v46, s1
	s_and_b32 s1, s2, s5
	s_wait_alu 0xfffe
	v_add_co_ci_u32_e64 v47, null, 0, v47, s1
	s_or_b32 exec_lo, exec_lo, s6
	s_and_saveexec_b32 s5, s0
	s_cbranch_execz .LBB43_25
.LBB43_33:                              ;   in Loop: Header=BB43_3 Depth=1
	s_delay_alu instid0(VALU_DEP_4)
	v_cmp_u_f64_e64 s2, v[24:25], v[24:25]
	v_cmp_lt_f64_e64 s0, v[24:25], v[10:11]
	v_cmp_eq_f64_e64 s1, v[24:25], v[10:11]
	s_wait_loadcnt 0x0
	v_cmp_lt_i32_e64 s4, 0, v8
	v_cmp_eq_u32_e64 s3, s43, v8
	s_wait_alu 0xf1ff
	s_delay_alu instid0(VALU_DEP_2)
	v_add_co_ci_u32_e64 v44, null, 0, v44, s4
	v_cmp_gt_i32_e64 s4, ttmp9, v30
	v_add_co_ci_u32_e64 v1, null, 0, v1, s2
	v_cmp_lt_i32_e64 s2, s43, v8
	s_and_b32 s0, s3, s0
	s_and_b32 s1, s3, s1
	s_wait_alu 0xfffe
	s_or_b32 s0, s2, s0
	s_wait_alu 0xfffe
	v_add_co_ci_u32_e64 v46, null, 0, v46, s0
	s_and_b32 s0, s1, s4
	s_wait_alu 0xfffe
	v_add_co_ci_u32_e64 v47, null, 0, v47, s0
	s_or_b32 exec_lo, exec_lo, s5
	s_and_saveexec_b32 s4, vcc_lo
	s_cbranch_execz .LBB43_2
.LBB43_34:                              ;   in Loop: Header=BB43_3 Depth=1
	s_delay_alu instid0(VALU_DEP_1)
	v_cmp_u_f64_e64 s1, v[26:27], v[26:27]
	v_cmp_lt_f64_e32 vcc_lo, v[26:27], v[10:11]
	v_cmp_eq_f64_e64 s0, v[26:27], v[10:11]
	s_wait_loadcnt 0x0
	v_cmp_lt_i32_e64 s3, 0, v9
	v_cmp_eq_u32_e64 s2, s43, v9
	s_wait_alu 0xf1ff
	s_delay_alu instid0(VALU_DEP_2)
	v_add_co_ci_u32_e64 v44, null, 0, v44, s3
	v_cmp_gt_i32_e64 s3, ttmp9, v28
	v_add_co_ci_u32_e64 v1, null, 0, v1, s1
	v_cmp_lt_i32_e64 s1, s43, v9
	s_and_b32 s5, s2, vcc_lo
	s_and_b32 s0, s2, s0
	s_wait_alu 0xfffe
	s_or_b32 vcc_lo, s1, s5
	s_wait_alu 0xfffe
	v_add_co_ci_u32_e64 v46, null, 0, v46, vcc_lo
	s_and_b32 vcc_lo, s0, s3
	s_wait_alu 0xfffe
	v_add_co_ci_u32_e64 v47, null, 0, v47, vcc_lo
	s_branch .LBB43_2
.LBB43_35:
	s_wait_loadcnt 0x0
	v_add_nc_u32_e32 v2, v46, v47
	v_cmp_eq_u32_e64 s2, 0, v1
.LBB43_36:
	v_lshlrev_b32_e32 v1, 2, v0
	s_cmp_lt_u32 s33, 2
	ds_store_2addr_stride64_b32 v1, v44, v2 offset1:8
	s_wait_dscnt 0x0
	s_barrier_signal -1
	s_barrier_wait -1
	global_inv scope:SCOPE_SE
	s_cbranch_scc1 .LBB43_41
; %bb.37:
	v_or_b32_e32 v3, 0x800, v1
	s_lshr_b32 s0, s33, 1
	s_mov_b32 s1, exec_lo
	s_wait_alu 0xfffe
	v_cmpx_gt_u32_e64 s0, v0
	s_cbranch_execz .LBB43_39
.LBB43_38:
	s_lshl_b32 s3, s0, 2
	s_wait_alu 0xfffe
	v_add_nc_u32_e32 v4, s3, v3
	v_add_nc_u32_e32 v5, s3, v1
	ds_load_b32 v4, v4
	ds_load_b32 v5, v5
	s_wait_dscnt 0x1
	v_add_nc_u32_e32 v2, v4, v2
	s_wait_dscnt 0x0
	v_add_nc_u32_e32 v44, v5, v44
	ds_store_b32 v3, v2
	ds_store_b32 v1, v44
.LBB43_39:                              ; =>This Inner Loop Header: Depth=1
	s_or_b32 exec_lo, exec_lo, s1
	s_cmp_gt_u32 s33, 3
	s_wait_loadcnt_dscnt 0x0
	s_barrier_signal -1
	s_barrier_wait -1
	global_inv scope:SCOPE_SE
	s_cbranch_scc0 .LBB43_41
; %bb.40:                               ;   in Loop: Header=BB43_39 Depth=1
	s_mov_b32 s33, s0
	s_wait_alu 0xfffe
	s_lshr_b32 s0, s33, 1
	s_mov_b32 s1, exec_lo
	s_wait_alu 0xfffe
	v_cmpx_gt_u32_e64 s0, v0
	s_cbranch_execnz .LBB43_38
	s_branch .LBB43_39
.LBB43_41:
	s_xor_b32 s0, s2, -1
	s_mov_b32 s1, exec_lo
	v_cmpx_eq_u32_e32 0, v0
	s_cbranch_execz .LBB43_43
; %bb.42:
	s_wait_kmcnt 0x0
	v_add_nc_u32_e32 v0, s11, v2
	v_dual_mov_b32 v14, s20 :: v_dual_mov_b32 v15, s21
	s_add_nc_u64 s[4:5], s[30:31], s[24:25]
	s_lshl_b64 s[2:3], s[14:15], 6
	s_delay_alu instid0(VALU_DEP_2)
	v_ashrrev_i32_e32 v1, 31, v0
	s_wait_alu 0xfffe
	s_sub_nc_u64 s[2:3], 0, s[2:3]
	v_mov_b32_e32 v16, ttmp9
	s_wait_alu 0xfffe
	s_add_nc_u64 s[2:3], s[22:23], s[2:3]
	v_mov_b32_e32 v12, s28
	v_lshlrev_b64_e32 v[2:3], 2, v[0:1]
	v_lshlrev_b64_e32 v[0:1], 3, v[0:1]
	v_mov_b32_e32 v13, s29
	s_delay_alu instid0(VALU_DEP_3) | instskip(SKIP_1) | instid1(VALU_DEP_4)
	v_add_co_u32 v4, vcc_lo, s4, v2
	s_wait_alu 0xfffd
	v_add_co_ci_u32_e64 v5, null, s5, v3, vcc_lo
	v_add_co_u32 v2, vcc_lo, s26, v2
	s_wait_alu 0xfffd
	v_add_co_ci_u32_e64 v3, null, s27, v3, vcc_lo
	;; [unrolled: 3-line block ×4, first 2 shown]
	s_wait_alu 0xfffe
	v_add_co_u32 v0, vcc_lo, s2, v0
	s_wait_alu 0xfffd
	v_add_co_ci_u32_e64 v1, null, s3, v1, vcc_lo
	s_clause 0x1
	global_store_b32 v[4:5], v44, off
	global_store_b32 v[2:3], v16, off
	s_clause 0x2
	global_store_b64 v[6:7], v[10:11], off
	global_store_b64 v[8:9], v[12:13], off
	;; [unrolled: 1-line block ×3, first 2 shown]
.LBB43_43:
	s_wait_alu 0xfffe
	s_or_b32 exec_lo, exec_lo, s1
	s_wait_loadcnt 0x0
	s_wait_storecnt 0x0
	s_barrier_signal -1
	s_barrier_wait -1
	global_inv scope:SCOPE_SE
	s_and_saveexec_b32 s1, s0
	s_cbranch_execz .LBB43_45
; %bb.44:
	v_dual_mov_b32 v0, 0 :: v_dual_mov_b32 v1, 0x7ff80000
	s_add_nc_u64 s[0:1], s[12:13], s[16:17]
	global_store_b64 v0, v[0:1], s[0:1]
.LBB43_45:
	s_endpgm
	.section	.rodata,"a",@progbits
	.p2align	6, 0x0
	.amdhsa_kernel _ZN9rocsolver6v33100L31stedc_mergeValues_SortDZ_kernelIdEEviiPT_lS3_Pi
		.amdhsa_group_segment_fixed_size 4096
		.amdhsa_private_segment_fixed_size 0
		.amdhsa_kernarg_size 296
		.amdhsa_user_sgpr_count 2
		.amdhsa_user_sgpr_dispatch_ptr 0
		.amdhsa_user_sgpr_queue_ptr 0
		.amdhsa_user_sgpr_kernarg_segment_ptr 1
		.amdhsa_user_sgpr_dispatch_id 0
		.amdhsa_user_sgpr_private_segment_size 0
		.amdhsa_wavefront_size32 1
		.amdhsa_uses_dynamic_stack 0
		.amdhsa_enable_private_segment 0
		.amdhsa_system_sgpr_workgroup_id_x 1
		.amdhsa_system_sgpr_workgroup_id_y 1
		.amdhsa_system_sgpr_workgroup_id_z 0
		.amdhsa_system_sgpr_workgroup_info 0
		.amdhsa_system_vgpr_workitem_id 0
		.amdhsa_next_free_vgpr 50
		.amdhsa_next_free_sgpr 52
		.amdhsa_reserve_vcc 1
		.amdhsa_float_round_mode_32 0
		.amdhsa_float_round_mode_16_64 0
		.amdhsa_float_denorm_mode_32 3
		.amdhsa_float_denorm_mode_16_64 3
		.amdhsa_fp16_overflow 0
		.amdhsa_workgroup_processor_mode 1
		.amdhsa_memory_ordered 1
		.amdhsa_forward_progress 1
		.amdhsa_inst_pref_size 28
		.amdhsa_round_robin_scheduling 0
		.amdhsa_exception_fp_ieee_invalid_op 0
		.amdhsa_exception_fp_denorm_src 0
		.amdhsa_exception_fp_ieee_div_zero 0
		.amdhsa_exception_fp_ieee_overflow 0
		.amdhsa_exception_fp_ieee_underflow 0
		.amdhsa_exception_fp_ieee_inexact 0
		.amdhsa_exception_int_div_zero 0
	.end_amdhsa_kernel
	.section	.text._ZN9rocsolver6v33100L31stedc_mergeValues_SortDZ_kernelIdEEviiPT_lS3_Pi,"axG",@progbits,_ZN9rocsolver6v33100L31stedc_mergeValues_SortDZ_kernelIdEEviiPT_lS3_Pi,comdat
.Lfunc_end43:
	.size	_ZN9rocsolver6v33100L31stedc_mergeValues_SortDZ_kernelIdEEviiPT_lS3_Pi, .Lfunc_end43-_ZN9rocsolver6v33100L31stedc_mergeValues_SortDZ_kernelIdEEviiPT_lS3_Pi
                                        ; -- End function
	.set _ZN9rocsolver6v33100L31stedc_mergeValues_SortDZ_kernelIdEEviiPT_lS3_Pi.num_vgpr, 50
	.set _ZN9rocsolver6v33100L31stedc_mergeValues_SortDZ_kernelIdEEviiPT_lS3_Pi.num_agpr, 0
	.set _ZN9rocsolver6v33100L31stedc_mergeValues_SortDZ_kernelIdEEviiPT_lS3_Pi.numbered_sgpr, 52
	.set _ZN9rocsolver6v33100L31stedc_mergeValues_SortDZ_kernelIdEEviiPT_lS3_Pi.num_named_barrier, 0
	.set _ZN9rocsolver6v33100L31stedc_mergeValues_SortDZ_kernelIdEEviiPT_lS3_Pi.private_seg_size, 0
	.set _ZN9rocsolver6v33100L31stedc_mergeValues_SortDZ_kernelIdEEviiPT_lS3_Pi.uses_vcc, 1
	.set _ZN9rocsolver6v33100L31stedc_mergeValues_SortDZ_kernelIdEEviiPT_lS3_Pi.uses_flat_scratch, 0
	.set _ZN9rocsolver6v33100L31stedc_mergeValues_SortDZ_kernelIdEEviiPT_lS3_Pi.has_dyn_sized_stack, 0
	.set _ZN9rocsolver6v33100L31stedc_mergeValues_SortDZ_kernelIdEEviiPT_lS3_Pi.has_recursion, 0
	.set _ZN9rocsolver6v33100L31stedc_mergeValues_SortDZ_kernelIdEEviiPT_lS3_Pi.has_indirect_call, 0
	.section	.AMDGPU.csdata,"",@progbits
; Kernel info:
; codeLenInByte = 3564
; TotalNumSgprs: 54
; NumVgprs: 50
; ScratchSize: 0
; MemoryBound: 0
; FloatMode: 240
; IeeeMode: 1
; LDSByteSize: 4096 bytes/workgroup (compile time only)
; SGPRBlocks: 0
; VGPRBlocks: 6
; NumSGPRsForWavesPerEU: 54
; NumVGPRsForWavesPerEU: 50
; Occupancy: 16
; WaveLimiterHint : 1
; COMPUTE_PGM_RSRC2:SCRATCH_EN: 0
; COMPUTE_PGM_RSRC2:USER_SGPR: 2
; COMPUTE_PGM_RSRC2:TRAP_HANDLER: 0
; COMPUTE_PGM_RSRC2:TGID_X_EN: 1
; COMPUTE_PGM_RSRC2:TGID_Y_EN: 1
; COMPUTE_PGM_RSRC2:TGID_Z_EN: 0
; COMPUTE_PGM_RSRC2:TIDIG_COMP_CNT: 0
	.section	.text._ZN9rocsolver6v33100L30stedc_mergeValues_copyD_kernelIdEEviiPT_lS3_S3_Pi,"axG",@progbits,_ZN9rocsolver6v33100L30stedc_mergeValues_copyD_kernelIdEEviiPT_lS3_S3_Pi,comdat
	.globl	_ZN9rocsolver6v33100L30stedc_mergeValues_copyD_kernelIdEEviiPT_lS3_S3_Pi ; -- Begin function _ZN9rocsolver6v33100L30stedc_mergeValues_copyD_kernelIdEEviiPT_lS3_S3_Pi
	.p2align	8
	.type	_ZN9rocsolver6v33100L30stedc_mergeValues_copyD_kernelIdEEviiPT_lS3_S3_Pi,@function
_ZN9rocsolver6v33100L30stedc_mergeValues_copyD_kernelIdEEviiPT_lS3_S3_Pi: ; @_ZN9rocsolver6v33100L30stedc_mergeValues_copyD_kernelIdEEviiPT_lS3_S3_Pi
; %bb.0:
	s_clause 0x3
	s_load_b32 s2, s[0:1], 0x4
	s_load_b64 s[14:15], s[0:1], 0x28
	s_load_b256 s[4:11], s[0:1], 0x8
	s_load_b32 s1, s[0:1], 0x3c
	s_mov_b32 s12, ttmp9
	s_ashr_i32 s13, ttmp9, 31
	s_delay_alu instid0(SALU_CYCLE_1)
	s_lshl_b64 s[12:13], s[12:13], 2
	s_wait_kmcnt 0x0
	s_mul_i32 s0, s2, ttmp7
	s_mul_i32 s16, s2, 7
	s_mul_i32 s18, s0, 13
	s_ashr_i32 s3, s2, 31
	s_ashr_i32 s19, s18, 31
	;; [unrolled: 1-line block ×3, first 2 shown]
	s_lshl_b64 s[18:19], s[18:19], 2
	s_lshl_b64 s[20:21], s[16:17], 2
	s_add_nc_u64 s[14:15], s[14:15], s[18:19]
	s_lshl_b64 s[18:19], s[2:3], 2
	s_add_nc_u64 s[14:15], s[14:15], s[20:21]
	s_sub_nc_u64 s[18:19], 0, s[18:19]
	s_lshl_b64 s[16:17], s[16:17], 3
	s_add_nc_u64 s[18:19], s[14:15], s[18:19]
	s_add_nc_u64 s[14:15], s[14:15], s[12:13]
	;; [unrolled: 1-line block ×3, first 2 shown]
	s_clause 0x1
	s_load_b32 s12, s[14:15], 0x0
	s_load_b32 s13, s[18:19], 0x0
	s_and_b32 s14, s1, 0xffff
	s_mul_i32 s18, s0, 10
	v_mad_co_u64_u32 v[1:2], null, ttmp9, s14, v[0:1]
	s_ashr_i32 s19, s18, 31
	s_mov_b32 s1, exec_lo
	s_lshl_b64 s[18:19], s[18:19], 3
	s_delay_alu instid0(SALU_CYCLE_1) | instskip(NEXT) | instid1(SALU_CYCLE_1)
	s_add_nc_u64 s[8:9], s[8:9], s[18:19]
	s_add_nc_u64 s[8:9], s[8:9], s[16:17]
	v_cmpx_gt_i32_e64 s2, v1
	s_cbranch_execz .LBB44_2
; %bb.1:
	v_ashrrev_i32_e32 v2, 31, v1
	s_movk_i32 s18, 0xffd0
	s_mov_b32 s19, -1
	s_mov_b32 s16, ttmp7
	s_mul_u64 s[18:19], s[2:3], s[18:19]
	v_lshlrev_b64_e32 v[1:2], 3, v[1:2]
	s_add_nc_u64 s[18:19], s[8:9], s[18:19]
	s_ashr_i32 s17, ttmp7, 31
	s_delay_alu instid0(SALU_CYCLE_1) | instskip(NEXT) | instid1(SALU_CYCLE_1)
	s_mul_u64 s[6:7], s[6:7], s[16:17]
	s_lshl_b64 s[6:7], s[6:7], 3
	s_delay_alu instid0(VALU_DEP_1) | instskip(NEXT) | instid1(VALU_DEP_1)
	v_add_co_u32 v3, vcc_lo, s18, v1
	v_add_co_ci_u32_e64 v4, null, s19, v2, vcc_lo
	s_add_nc_u64 s[4:5], s[4:5], s[6:7]
	s_delay_alu instid0(SALU_CYCLE_1)
	v_add_co_u32 v1, vcc_lo, s4, v1
	global_load_b64 v[3:4], v[3:4], off
	s_wait_alu 0xfffd
	v_add_co_ci_u32_e64 v2, null, s5, v2, vcc_lo
	s_wait_loadcnt 0x0
	global_store_b64 v[1:2], v[3:4], off
.LBB44_2:
	s_wait_alu 0xfffe
	s_or_b32 exec_lo, exec_lo, s1
	s_delay_alu instid0(SALU_CYCLE_1)
	s_mov_b32 s1, exec_lo
	s_wait_kmcnt 0x0
	v_cmpx_gt_i32_e64 s12, v0
	s_cbranch_execz .LBB44_5
; %bb.3:
	s_mul_i32 s0, s0, s2
	s_mov_b32 s1, 0
	s_wait_alu 0xfffe
	s_lshl_b32 s4, s0, 1
	s_mul_i32 s0, s2, s2
	s_wait_alu 0xfffe
	s_ashr_i32 s5, s4, 31
	s_lshl_b64 s[6:7], s[0:1], 3
	s_wait_alu 0xfffe
	s_lshl_b64 s[4:5], s[4:5], 3
	s_mul_i32 s2, s2, ttmp9
	s_wait_alu 0xfffe
	s_add_nc_u64 s[4:5], s[10:11], s[4:5]
	s_wait_alu 0xfffe
	s_add_nc_u64 s[4:5], s[4:5], s[6:7]
.LBB44_4:                               ; =>This Inner Loop Header: Depth=1
	v_add_nc_u32_e32 v1, s13, v0
	v_add_nc_u32_e32 v3, s2, v0
	;; [unrolled: 1-line block ×3, first 2 shown]
	s_delay_alu instid0(VALU_DEP_3) | instskip(NEXT) | instid1(VALU_DEP_3)
	v_ashrrev_i32_e32 v2, 31, v1
	v_ashrrev_i32_e32 v4, 31, v3
	s_delay_alu instid0(VALU_DEP_2) | instskip(NEXT) | instid1(VALU_DEP_2)
	v_lshlrev_b64_e32 v[1:2], 3, v[1:2]
	v_lshlrev_b64_e32 v[3:4], 3, v[3:4]
	s_delay_alu instid0(VALU_DEP_2) | instskip(SKIP_1) | instid1(VALU_DEP_3)
	v_add_co_u32 v1, vcc_lo, s8, v1
	s_wait_alu 0xfffd
	v_add_co_ci_u32_e64 v2, null, s9, v2, vcc_lo
	v_cmp_le_i32_e32 vcc_lo, s12, v0
	s_wait_alu 0xfffe
	v_add_co_u32 v3, s0, s4, v3
	global_load_b64 v[1:2], v[1:2], off
	s_wait_alu 0xf1ff
	v_add_co_ci_u32_e64 v4, null, s5, v4, s0
	s_or_b32 s1, vcc_lo, s1
	s_wait_loadcnt 0x0
	global_store_b64 v[3:4], v[1:2], off
	s_wait_alu 0xfffe
	s_and_not1_b32 exec_lo, exec_lo, s1
	s_cbranch_execnz .LBB44_4
.LBB44_5:
	s_endpgm
	.section	.rodata,"a",@progbits
	.p2align	6, 0x0
	.amdhsa_kernel _ZN9rocsolver6v33100L30stedc_mergeValues_copyD_kernelIdEEviiPT_lS3_S3_Pi
		.amdhsa_group_segment_fixed_size 0
		.amdhsa_private_segment_fixed_size 0
		.amdhsa_kernarg_size 304
		.amdhsa_user_sgpr_count 2
		.amdhsa_user_sgpr_dispatch_ptr 0
		.amdhsa_user_sgpr_queue_ptr 0
		.amdhsa_user_sgpr_kernarg_segment_ptr 1
		.amdhsa_user_sgpr_dispatch_id 0
		.amdhsa_user_sgpr_private_segment_size 0
		.amdhsa_wavefront_size32 1
		.amdhsa_uses_dynamic_stack 0
		.amdhsa_enable_private_segment 0
		.amdhsa_system_sgpr_workgroup_id_x 1
		.amdhsa_system_sgpr_workgroup_id_y 1
		.amdhsa_system_sgpr_workgroup_id_z 0
		.amdhsa_system_sgpr_workgroup_info 0
		.amdhsa_system_vgpr_workitem_id 0
		.amdhsa_next_free_vgpr 5
		.amdhsa_next_free_sgpr 22
		.amdhsa_reserve_vcc 1
		.amdhsa_float_round_mode_32 0
		.amdhsa_float_round_mode_16_64 0
		.amdhsa_float_denorm_mode_32 3
		.amdhsa_float_denorm_mode_16_64 3
		.amdhsa_fp16_overflow 0
		.amdhsa_workgroup_processor_mode 1
		.amdhsa_memory_ordered 1
		.amdhsa_forward_progress 1
		.amdhsa_inst_pref_size 5
		.amdhsa_round_robin_scheduling 0
		.amdhsa_exception_fp_ieee_invalid_op 0
		.amdhsa_exception_fp_denorm_src 0
		.amdhsa_exception_fp_ieee_div_zero 0
		.amdhsa_exception_fp_ieee_overflow 0
		.amdhsa_exception_fp_ieee_underflow 0
		.amdhsa_exception_fp_ieee_inexact 0
		.amdhsa_exception_int_div_zero 0
	.end_amdhsa_kernel
	.section	.text._ZN9rocsolver6v33100L30stedc_mergeValues_copyD_kernelIdEEviiPT_lS3_S3_Pi,"axG",@progbits,_ZN9rocsolver6v33100L30stedc_mergeValues_copyD_kernelIdEEviiPT_lS3_S3_Pi,comdat
.Lfunc_end44:
	.size	_ZN9rocsolver6v33100L30stedc_mergeValues_copyD_kernelIdEEviiPT_lS3_S3_Pi, .Lfunc_end44-_ZN9rocsolver6v33100L30stedc_mergeValues_copyD_kernelIdEEviiPT_lS3_S3_Pi
                                        ; -- End function
	.set _ZN9rocsolver6v33100L30stedc_mergeValues_copyD_kernelIdEEviiPT_lS3_S3_Pi.num_vgpr, 5
	.set _ZN9rocsolver6v33100L30stedc_mergeValues_copyD_kernelIdEEviiPT_lS3_S3_Pi.num_agpr, 0
	.set _ZN9rocsolver6v33100L30stedc_mergeValues_copyD_kernelIdEEviiPT_lS3_S3_Pi.numbered_sgpr, 22
	.set _ZN9rocsolver6v33100L30stedc_mergeValues_copyD_kernelIdEEviiPT_lS3_S3_Pi.num_named_barrier, 0
	.set _ZN9rocsolver6v33100L30stedc_mergeValues_copyD_kernelIdEEviiPT_lS3_S3_Pi.private_seg_size, 0
	.set _ZN9rocsolver6v33100L30stedc_mergeValues_copyD_kernelIdEEviiPT_lS3_S3_Pi.uses_vcc, 1
	.set _ZN9rocsolver6v33100L30stedc_mergeValues_copyD_kernelIdEEviiPT_lS3_S3_Pi.uses_flat_scratch, 0
	.set _ZN9rocsolver6v33100L30stedc_mergeValues_copyD_kernelIdEEviiPT_lS3_S3_Pi.has_dyn_sized_stack, 0
	.set _ZN9rocsolver6v33100L30stedc_mergeValues_copyD_kernelIdEEviiPT_lS3_S3_Pi.has_recursion, 0
	.set _ZN9rocsolver6v33100L30stedc_mergeValues_copyD_kernelIdEEviiPT_lS3_S3_Pi.has_indirect_call, 0
	.section	.AMDGPU.csdata,"",@progbits
; Kernel info:
; codeLenInByte = 544
; TotalNumSgprs: 24
; NumVgprs: 5
; ScratchSize: 0
; MemoryBound: 0
; FloatMode: 240
; IeeeMode: 1
; LDSByteSize: 0 bytes/workgroup (compile time only)
; SGPRBlocks: 0
; VGPRBlocks: 0
; NumSGPRsForWavesPerEU: 24
; NumVGPRsForWavesPerEU: 5
; Occupancy: 16
; WaveLimiterHint : 1
; COMPUTE_PGM_RSRC2:SCRATCH_EN: 0
; COMPUTE_PGM_RSRC2:USER_SGPR: 2
; COMPUTE_PGM_RSRC2:TRAP_HANDLER: 0
; COMPUTE_PGM_RSRC2:TGID_X_EN: 1
; COMPUTE_PGM_RSRC2:TGID_Y_EN: 1
; COMPUTE_PGM_RSRC2:TGID_Z_EN: 0
; COMPUTE_PGM_RSRC2:TIDIG_COMP_CNT: 0
	.section	.text._ZN9rocsolver6v33100L11stedc_copyCIdPdS2_EEviT0_iilT1_iil,"axG",@progbits,_ZN9rocsolver6v33100L11stedc_copyCIdPdS2_EEviT0_iilT1_iil,comdat
	.globl	_ZN9rocsolver6v33100L11stedc_copyCIdPdS2_EEviT0_iilT1_iil ; -- Begin function _ZN9rocsolver6v33100L11stedc_copyCIdPdS2_EEviT0_iilT1_iil
	.p2align	8
	.type	_ZN9rocsolver6v33100L11stedc_copyCIdPdS2_EEviT0_iilT1_iil,@function
_ZN9rocsolver6v33100L11stedc_copyCIdPdS2_EEviT0_iilT1_iil: ; @_ZN9rocsolver6v33100L11stedc_copyCIdPdS2_EEviT0_iilT1_iil
; %bb.0:
	s_clause 0x1
	s_load_b32 s2, s[0:1], 0x44
	s_load_b32 s22, s[0:1], 0x0
	s_wait_kmcnt 0x0
	s_and_b32 s20, s2, 0xffff
	s_add_co_i32 s4, s22, -1
	s_lshl_b32 s21, s20, 4
	s_abs_i32 s5, s4
	s_cvt_f32_u32 s2, s21
	s_sub_co_i32 s3, 0, s21
	s_ashr_i32 s4, s4, 31
	s_delay_alu instid0(SALU_CYCLE_1) | instskip(NEXT) | instid1(TRANS32_DEP_1)
	v_rcp_iflag_f32_e32 v1, s2
	v_readfirstlane_b32 s2, v1
	s_mul_f32 s2, s2, 0x4f7ffffe
	s_wait_alu 0xfffe
	s_delay_alu instid0(SALU_CYCLE_2) | instskip(SKIP_1) | instid1(SALU_CYCLE_2)
	s_cvt_u32_f32 s2, s2
	s_wait_alu 0xfffe
	s_mul_i32 s3, s3, s2
	s_wait_alu 0xfffe
	s_mul_hi_u32 s3, s2, s3
	s_wait_alu 0xfffe
	s_add_co_i32 s2, s2, s3
	s_wait_alu 0xfffe
	s_mul_hi_u32 s2, s5, s2
	s_wait_alu 0xfffe
	s_mul_i32 s3, s2, s21
	s_wait_alu 0xfffe
	s_sub_co_i32 s3, s5, s3
	s_add_co_i32 s5, s2, 1
	s_wait_alu 0xfffe
	s_sub_co_i32 s6, s3, s21
	s_cmp_ge_u32 s3, s21
	s_cselect_b32 s2, s5, s2
	s_cselect_b32 s3, s6, s3
	s_wait_alu 0xfffe
	s_add_co_i32 s5, s2, 1
	s_cmp_ge_u32 s3, s21
	s_cselect_b32 s2, s5, s2
	s_wait_alu 0xfffe
	s_xor_b32 s2, s2, s4
	s_wait_alu 0xfffe
	s_sub_co_i32 s2, s2, s4
	s_wait_alu 0xfffe
	s_cmp_lt_i32 s2, 0
	s_cbranch_scc1 .LBB45_67
; %bb.1:
	s_clause 0x1
	s_load_b256 s[4:11], s[0:1], 0x8
	s_load_b128 s[12:15], s[0:1], 0x28
	s_mov_b32 s16, ttmp7
	s_ashr_i32 s17, ttmp7, 31
	s_add_co_i32 s23, s2, 1
	v_mov_b32_e32 v2, 0
	s_lshl_b32 s24, s20, 1
	s_mul_i32 s25, s20, 3
	s_lshl_b32 s26, s20, 2
	s_mul_i32 s27, s20, 5
	v_dual_mov_b32 v3, v2 :: v_dual_mov_b32 v4, v2
	v_dual_mov_b32 v5, v2 :: v_dual_mov_b32 v6, v2
	;; [unrolled: 1-line block ×5, first 2 shown]
	s_wait_kmcnt 0x0
	s_mul_u64 s[2:3], s[8:9], s[16:17]
	s_mul_u64 s[14:15], s[14:15], s[16:17]
	s_ashr_i32 s1, s6, 31
	s_mov_b32 s0, s6
	s_ashr_i32 s9, s12, 31
	s_mov_b32 s8, s12
	s_mul_i32 s6, s7, ttmp9
	s_mul_i32 s12, s13, ttmp9
	s_wait_alu 0xfffe
	s_lshl_b64 s[2:3], s[2:3], 3
	s_lshl_b64 s[14:15], s[14:15], 3
	;; [unrolled: 1-line block ×4, first 2 shown]
	s_ashr_i32 s7, s6, 31
	s_ashr_i32 s13, s12, 31
	s_wait_alu 0xfffe
	s_add_nc_u64 s[2:3], s[4:5], s[2:3]
	s_add_nc_u64 s[4:5], s[10:11], s[14:15]
	v_dual_mov_b32 v13, v2 :: v_dual_mov_b32 v14, v2
	v_dual_mov_b32 v15, v2 :: v_dual_mov_b32 v16, v2
	;; [unrolled: 1-line block ×10, first 2 shown]
	v_mov_b32_e32 v33, v2
	s_lshl_b64 s[6:7], s[6:7], 3
	s_lshl_b64 s[10:11], s[12:13], 3
	s_wait_alu 0xfffe
	s_add_nc_u64 s[0:1], s[2:3], s[0:1]
	s_add_nc_u64 s[2:3], s[4:5], s[8:9]
	;; [unrolled: 1-line block ×3, first 2 shown]
	s_wait_alu 0xfffe
	s_add_nc_u64 s[18:19], s[2:3], s[10:11]
	s_mul_i32 s28, s20, 6
	s_mul_i32 s29, s20, 7
	s_lshl_b32 s30, s20, 3
	s_mul_i32 s31, s20, 9
	s_mul_i32 s33, s20, 10
	;; [unrolled: 1-line block ×7, first 2 shown]
	s_branch .LBB45_3
.LBB45_2:                               ;   in Loop: Header=BB45_3 Depth=1
	s_wait_alu 0xfffe
	s_or_b32 exec_lo, exec_lo, s0
	v_add_nc_u32_e32 v0, s21, v0
	s_add_co_i32 s23, s23, -1
	s_wait_alu 0xfffe
	s_cmp_eq_u32 s23, 0
	s_cbranch_scc1 .LBB45_67
.LBB45_3:                               ; =>This Inner Loop Header: Depth=1
	v_cmp_gt_i32_e32 vcc_lo, s22, v0
	v_ashrrev_i32_e32 v1, 31, v0
	s_and_saveexec_b32 s1, vcc_lo
	s_cbranch_execz .LBB45_5
; %bb.4:                                ;   in Loop: Header=BB45_3 Depth=1
	s_wait_loadcnt 0x0
	s_delay_alu instid0(VALU_DEP_1) | instskip(NEXT) | instid1(VALU_DEP_1)
	v_lshlrev_b64_e32 v[2:3], 3, v[0:1]
	v_add_co_u32 v2, s0, s16, v2
	s_wait_alu 0xf1ff
	s_delay_alu instid0(VALU_DEP_2)
	v_add_co_ci_u32_e64 v3, null, s17, v3, s0
	global_load_b64 v[2:3], v[2:3], off
.LBB45_5:                               ;   in Loop: Header=BB45_3 Depth=1
	s_wait_alu 0xfffe
	s_or_b32 exec_lo, exec_lo, s1
	v_add_nc_u32_e32 v34, s20, v0
	s_delay_alu instid0(VALU_DEP_1)
	v_cmp_gt_i32_e64 s0, s22, v34
	v_ashrrev_i32_e32 v35, 31, v34
	s_and_saveexec_b32 s2, s0
	s_cbranch_execz .LBB45_7
; %bb.6:                                ;   in Loop: Header=BB45_3 Depth=1
	s_wait_loadcnt 0x0
	s_delay_alu instid0(VALU_DEP_1) | instskip(NEXT) | instid1(VALU_DEP_1)
	v_lshlrev_b64_e32 v[4:5], 3, v[34:35]
	v_add_co_u32 v4, s1, s16, v4
	s_wait_alu 0xf1ff
	s_delay_alu instid0(VALU_DEP_2)
	v_add_co_ci_u32_e64 v5, null, s17, v5, s1
	global_load_b64 v[4:5], v[4:5], off
.LBB45_7:                               ;   in Loop: Header=BB45_3 Depth=1
	s_wait_alu 0xfffe
	s_or_b32 exec_lo, exec_lo, s2
	v_add_nc_u32_e32 v38, s20, v34
	v_add_nc_u32_e32 v36, s24, v0
	s_delay_alu instid0(VALU_DEP_2) | instskip(NEXT) | instid1(VALU_DEP_2)
	v_cmp_gt_i32_e64 s1, s22, v38
	v_ashrrev_i32_e32 v37, 31, v36
	s_and_saveexec_b32 s3, s1
	s_cbranch_execz .LBB45_9
; %bb.8:                                ;   in Loop: Header=BB45_3 Depth=1
	s_wait_loadcnt 0x0
	s_delay_alu instid0(VALU_DEP_1) | instskip(NEXT) | instid1(VALU_DEP_1)
	v_lshlrev_b64_e32 v[6:7], 3, v[36:37]
	v_add_co_u32 v6, s2, s16, v6
	s_wait_alu 0xf1ff
	s_delay_alu instid0(VALU_DEP_2)
	v_add_co_ci_u32_e64 v7, null, s17, v7, s2
	global_load_b64 v[6:7], v[6:7], off
.LBB45_9:                               ;   in Loop: Header=BB45_3 Depth=1
	s_wait_alu 0xfffe
	s_or_b32 exec_lo, exec_lo, s3
	v_add_nc_u32_e32 v40, s20, v38
	v_add_nc_u32_e32 v38, s25, v0
	s_delay_alu instid0(VALU_DEP_2) | instskip(NEXT) | instid1(VALU_DEP_2)
	v_cmp_gt_i32_e64 s2, s22, v40
	v_ashrrev_i32_e32 v39, 31, v38
	s_and_saveexec_b32 s4, s2
	s_cbranch_execz .LBB45_11
; %bb.10:                               ;   in Loop: Header=BB45_3 Depth=1
	s_wait_loadcnt 0x0
	s_delay_alu instid0(VALU_DEP_1) | instskip(NEXT) | instid1(VALU_DEP_1)
	v_lshlrev_b64_e32 v[8:9], 3, v[38:39]
	v_add_co_u32 v8, s3, s16, v8
	s_wait_alu 0xf1ff
	s_delay_alu instid0(VALU_DEP_2)
	v_add_co_ci_u32_e64 v9, null, s17, v9, s3
	global_load_b64 v[8:9], v[8:9], off
.LBB45_11:                              ;   in Loop: Header=BB45_3 Depth=1
	s_wait_alu 0xfffe
	s_or_b32 exec_lo, exec_lo, s4
	v_add_nc_u32_e32 v42, s20, v40
	v_add_nc_u32_e32 v40, s26, v0
	s_delay_alu instid0(VALU_DEP_2) | instskip(NEXT) | instid1(VALU_DEP_2)
	v_cmp_gt_i32_e64 s3, s22, v42
	v_ashrrev_i32_e32 v41, 31, v40
	s_and_saveexec_b32 s5, s3
	s_cbranch_execz .LBB45_13
; %bb.12:                               ;   in Loop: Header=BB45_3 Depth=1
	s_wait_loadcnt 0x0
	s_delay_alu instid0(VALU_DEP_1) | instskip(NEXT) | instid1(VALU_DEP_1)
	v_lshlrev_b64_e32 v[10:11], 3, v[40:41]
	v_add_co_u32 v10, s4, s16, v10
	s_wait_alu 0xf1ff
	s_delay_alu instid0(VALU_DEP_2)
	v_add_co_ci_u32_e64 v11, null, s17, v11, s4
	global_load_b64 v[10:11], v[10:11], off
.LBB45_13:                              ;   in Loop: Header=BB45_3 Depth=1
	;; [unrolled: 19-line block ×12, first 2 shown]
	s_wait_alu 0xfffe
	s_or_b32 exec_lo, exec_lo, s15
	v_add_nc_u32_e32 v63, s20, v62
	v_add_nc_u32_e32 v62, s38, v0
	s_delay_alu instid0(VALU_DEP_2) | instskip(NEXT) | instid1(VALU_DEP_2)
	v_cmp_gt_i32_e64 s14, s22, v63
	v_ashrrev_i32_e32 v63, 31, v62
	s_and_saveexec_b32 s39, s14
	s_cbranch_execnz .LBB45_50
; %bb.34:                               ;   in Loop: Header=BB45_3 Depth=1
	s_wait_alu 0xfffe
	s_or_b32 exec_lo, exec_lo, s39
	s_and_saveexec_b32 s15, vcc_lo
	s_cbranch_execnz .LBB45_51
.LBB45_35:                              ;   in Loop: Header=BB45_3 Depth=1
	s_wait_alu 0xfffe
	s_or_b32 exec_lo, exec_lo, s15
	s_and_saveexec_b32 s15, s0
	s_cbranch_execnz .LBB45_52
.LBB45_36:                              ;   in Loop: Header=BB45_3 Depth=1
	s_wait_alu 0xfffe
	s_or_b32 exec_lo, exec_lo, s15
	s_and_saveexec_b32 s0, s1
	s_cbranch_execnz .LBB45_53
.LBB45_37:                              ;   in Loop: Header=BB45_3 Depth=1
	s_wait_alu 0xfffe
	s_or_b32 exec_lo, exec_lo, s0
	s_and_saveexec_b32 s0, s2
	s_cbranch_execnz .LBB45_54
.LBB45_38:                              ;   in Loop: Header=BB45_3 Depth=1
	s_wait_alu 0xfffe
	s_or_b32 exec_lo, exec_lo, s0
	s_and_saveexec_b32 s0, s3
	s_cbranch_execnz .LBB45_55
.LBB45_39:                              ;   in Loop: Header=BB45_3 Depth=1
	s_wait_alu 0xfffe
	s_or_b32 exec_lo, exec_lo, s0
	s_and_saveexec_b32 s0, s4
	s_cbranch_execnz .LBB45_56
.LBB45_40:                              ;   in Loop: Header=BB45_3 Depth=1
	s_wait_alu 0xfffe
	s_or_b32 exec_lo, exec_lo, s0
	s_and_saveexec_b32 s0, s5
	s_cbranch_execnz .LBB45_57
.LBB45_41:                              ;   in Loop: Header=BB45_3 Depth=1
	s_wait_alu 0xfffe
	s_or_b32 exec_lo, exec_lo, s0
	s_and_saveexec_b32 s0, s6
	s_cbranch_execnz .LBB45_58
.LBB45_42:                              ;   in Loop: Header=BB45_3 Depth=1
	s_wait_alu 0xfffe
	s_or_b32 exec_lo, exec_lo, s0
	s_and_saveexec_b32 s0, s7
	s_cbranch_execnz .LBB45_59
.LBB45_43:                              ;   in Loop: Header=BB45_3 Depth=1
	s_wait_alu 0xfffe
	s_or_b32 exec_lo, exec_lo, s0
	s_and_saveexec_b32 s0, s8
	s_cbranch_execnz .LBB45_60
.LBB45_44:                              ;   in Loop: Header=BB45_3 Depth=1
	s_wait_alu 0xfffe
	s_or_b32 exec_lo, exec_lo, s0
	s_and_saveexec_b32 s0, s9
	s_cbranch_execnz .LBB45_61
.LBB45_45:                              ;   in Loop: Header=BB45_3 Depth=1
	s_wait_alu 0xfffe
	s_or_b32 exec_lo, exec_lo, s0
	s_and_saveexec_b32 s0, s10
	s_cbranch_execnz .LBB45_62
.LBB45_46:                              ;   in Loop: Header=BB45_3 Depth=1
	s_wait_alu 0xfffe
	s_or_b32 exec_lo, exec_lo, s0
	s_and_saveexec_b32 s0, s11
	s_cbranch_execnz .LBB45_63
.LBB45_47:                              ;   in Loop: Header=BB45_3 Depth=1
	s_wait_alu 0xfffe
	s_or_b32 exec_lo, exec_lo, s0
	s_and_saveexec_b32 s0, s12
	s_cbranch_execnz .LBB45_64
.LBB45_48:                              ;   in Loop: Header=BB45_3 Depth=1
	s_wait_alu 0xfffe
	s_or_b32 exec_lo, exec_lo, s0
	s_and_saveexec_b32 s0, s13
	s_cbranch_execnz .LBB45_65
.LBB45_49:                              ;   in Loop: Header=BB45_3 Depth=1
	s_wait_alu 0xfffe
	s_or_b32 exec_lo, exec_lo, s0
	s_and_saveexec_b32 s0, s14
	s_cbranch_execz .LBB45_2
	s_branch .LBB45_66
.LBB45_50:                              ;   in Loop: Header=BB45_3 Depth=1
	s_wait_loadcnt 0x0
	s_delay_alu instid0(VALU_DEP_1) | instskip(NEXT) | instid1(VALU_DEP_1)
	v_lshlrev_b64_e32 v[32:33], 3, v[62:63]
	v_add_co_u32 v32, s15, s16, v32
	s_wait_alu 0xf1ff
	s_delay_alu instid0(VALU_DEP_2)
	v_add_co_ci_u32_e64 v33, null, s17, v33, s15
	global_load_b64 v[32:33], v[32:33], off
	s_wait_alu 0xfffe
	s_or_b32 exec_lo, exec_lo, s39
	s_and_saveexec_b32 s15, vcc_lo
	s_cbranch_execz .LBB45_35
.LBB45_51:                              ;   in Loop: Header=BB45_3 Depth=1
	v_lshlrev_b64_e32 v[64:65], 3, v[0:1]
	s_delay_alu instid0(VALU_DEP_1) | instskip(SKIP_1) | instid1(VALU_DEP_2)
	v_add_co_u32 v64, vcc_lo, s18, v64
	s_wait_alu 0xfffd
	v_add_co_ci_u32_e64 v65, null, s19, v65, vcc_lo
	s_wait_loadcnt 0x0
	global_store_b64 v[64:65], v[2:3], off
	s_wait_alu 0xfffe
	s_or_b32 exec_lo, exec_lo, s15
	s_and_saveexec_b32 s15, s0
	s_cbranch_execz .LBB45_36
.LBB45_52:                              ;   in Loop: Header=BB45_3 Depth=1
	v_lshlrev_b64_e32 v[34:35], 3, v[34:35]
	s_delay_alu instid0(VALU_DEP_1) | instskip(SKIP_1) | instid1(VALU_DEP_2)
	v_add_co_u32 v34, vcc_lo, s18, v34
	s_wait_alu 0xfffd
	v_add_co_ci_u32_e64 v35, null, s19, v35, vcc_lo
	s_wait_loadcnt 0x0
	global_store_b64 v[34:35], v[4:5], off
	s_wait_alu 0xfffe
	s_or_b32 exec_lo, exec_lo, s15
	s_and_saveexec_b32 s0, s1
	s_cbranch_execz .LBB45_37
.LBB45_53:                              ;   in Loop: Header=BB45_3 Depth=1
	v_lshlrev_b64_e32 v[34:35], 3, v[36:37]
	s_delay_alu instid0(VALU_DEP_1) | instskip(SKIP_1) | instid1(VALU_DEP_2)
	v_add_co_u32 v34, vcc_lo, s18, v34
	s_wait_alu 0xfffd
	v_add_co_ci_u32_e64 v35, null, s19, v35, vcc_lo
	s_wait_loadcnt 0x0
	global_store_b64 v[34:35], v[6:7], off
	s_wait_alu 0xfffe
	s_or_b32 exec_lo, exec_lo, s0
	s_and_saveexec_b32 s0, s2
	s_cbranch_execz .LBB45_38
.LBB45_54:                              ;   in Loop: Header=BB45_3 Depth=1
	v_lshlrev_b64_e32 v[34:35], 3, v[38:39]
	s_delay_alu instid0(VALU_DEP_1) | instskip(SKIP_1) | instid1(VALU_DEP_2)
	v_add_co_u32 v34, vcc_lo, s18, v34
	s_wait_alu 0xfffd
	v_add_co_ci_u32_e64 v35, null, s19, v35, vcc_lo
	s_wait_loadcnt 0x0
	global_store_b64 v[34:35], v[8:9], off
	s_wait_alu 0xfffe
	s_or_b32 exec_lo, exec_lo, s0
	s_and_saveexec_b32 s0, s3
	s_cbranch_execz .LBB45_39
.LBB45_55:                              ;   in Loop: Header=BB45_3 Depth=1
	v_lshlrev_b64_e32 v[34:35], 3, v[40:41]
	s_delay_alu instid0(VALU_DEP_1) | instskip(SKIP_1) | instid1(VALU_DEP_2)
	v_add_co_u32 v34, vcc_lo, s18, v34
	s_wait_alu 0xfffd
	v_add_co_ci_u32_e64 v35, null, s19, v35, vcc_lo
	s_wait_loadcnt 0x0
	global_store_b64 v[34:35], v[10:11], off
	s_wait_alu 0xfffe
	s_or_b32 exec_lo, exec_lo, s0
	s_and_saveexec_b32 s0, s4
	s_cbranch_execz .LBB45_40
.LBB45_56:                              ;   in Loop: Header=BB45_3 Depth=1
	v_lshlrev_b64_e32 v[34:35], 3, v[42:43]
	s_delay_alu instid0(VALU_DEP_1) | instskip(SKIP_1) | instid1(VALU_DEP_2)
	v_add_co_u32 v34, vcc_lo, s18, v34
	s_wait_alu 0xfffd
	v_add_co_ci_u32_e64 v35, null, s19, v35, vcc_lo
	s_wait_loadcnt 0x0
	global_store_b64 v[34:35], v[12:13], off
	s_wait_alu 0xfffe
	s_or_b32 exec_lo, exec_lo, s0
	s_and_saveexec_b32 s0, s5
	s_cbranch_execz .LBB45_41
.LBB45_57:                              ;   in Loop: Header=BB45_3 Depth=1
	v_lshlrev_b64_e32 v[34:35], 3, v[44:45]
	s_delay_alu instid0(VALU_DEP_1) | instskip(SKIP_1) | instid1(VALU_DEP_2)
	v_add_co_u32 v34, vcc_lo, s18, v34
	s_wait_alu 0xfffd
	v_add_co_ci_u32_e64 v35, null, s19, v35, vcc_lo
	s_wait_loadcnt 0x0
	global_store_b64 v[34:35], v[14:15], off
	s_wait_alu 0xfffe
	s_or_b32 exec_lo, exec_lo, s0
	s_and_saveexec_b32 s0, s6
	s_cbranch_execz .LBB45_42
.LBB45_58:                              ;   in Loop: Header=BB45_3 Depth=1
	v_lshlrev_b64_e32 v[34:35], 3, v[46:47]
	s_delay_alu instid0(VALU_DEP_1) | instskip(SKIP_1) | instid1(VALU_DEP_2)
	v_add_co_u32 v34, vcc_lo, s18, v34
	s_wait_alu 0xfffd
	v_add_co_ci_u32_e64 v35, null, s19, v35, vcc_lo
	s_wait_loadcnt 0x0
	global_store_b64 v[34:35], v[16:17], off
	s_wait_alu 0xfffe
	s_or_b32 exec_lo, exec_lo, s0
	s_and_saveexec_b32 s0, s7
	s_cbranch_execz .LBB45_43
.LBB45_59:                              ;   in Loop: Header=BB45_3 Depth=1
	v_lshlrev_b64_e32 v[34:35], 3, v[48:49]
	s_delay_alu instid0(VALU_DEP_1) | instskip(SKIP_1) | instid1(VALU_DEP_2)
	v_add_co_u32 v34, vcc_lo, s18, v34
	s_wait_alu 0xfffd
	v_add_co_ci_u32_e64 v35, null, s19, v35, vcc_lo
	s_wait_loadcnt 0x0
	global_store_b64 v[34:35], v[18:19], off
	s_wait_alu 0xfffe
	s_or_b32 exec_lo, exec_lo, s0
	s_and_saveexec_b32 s0, s8
	s_cbranch_execz .LBB45_44
.LBB45_60:                              ;   in Loop: Header=BB45_3 Depth=1
	v_lshlrev_b64_e32 v[34:35], 3, v[50:51]
	s_delay_alu instid0(VALU_DEP_1) | instskip(SKIP_1) | instid1(VALU_DEP_2)
	v_add_co_u32 v34, vcc_lo, s18, v34
	s_wait_alu 0xfffd
	v_add_co_ci_u32_e64 v35, null, s19, v35, vcc_lo
	s_wait_loadcnt 0x0
	global_store_b64 v[34:35], v[20:21], off
	s_wait_alu 0xfffe
	s_or_b32 exec_lo, exec_lo, s0
	s_and_saveexec_b32 s0, s9
	s_cbranch_execz .LBB45_45
.LBB45_61:                              ;   in Loop: Header=BB45_3 Depth=1
	v_lshlrev_b64_e32 v[34:35], 3, v[52:53]
	s_delay_alu instid0(VALU_DEP_1) | instskip(SKIP_1) | instid1(VALU_DEP_2)
	v_add_co_u32 v34, vcc_lo, s18, v34
	s_wait_alu 0xfffd
	v_add_co_ci_u32_e64 v35, null, s19, v35, vcc_lo
	s_wait_loadcnt 0x0
	global_store_b64 v[34:35], v[22:23], off
	s_wait_alu 0xfffe
	s_or_b32 exec_lo, exec_lo, s0
	s_and_saveexec_b32 s0, s10
	s_cbranch_execz .LBB45_46
.LBB45_62:                              ;   in Loop: Header=BB45_3 Depth=1
	v_lshlrev_b64_e32 v[34:35], 3, v[54:55]
	s_delay_alu instid0(VALU_DEP_1) | instskip(SKIP_1) | instid1(VALU_DEP_2)
	v_add_co_u32 v34, vcc_lo, s18, v34
	s_wait_alu 0xfffd
	v_add_co_ci_u32_e64 v35, null, s19, v35, vcc_lo
	s_wait_loadcnt 0x0
	global_store_b64 v[34:35], v[24:25], off
	s_wait_alu 0xfffe
	s_or_b32 exec_lo, exec_lo, s0
	s_and_saveexec_b32 s0, s11
	s_cbranch_execz .LBB45_47
.LBB45_63:                              ;   in Loop: Header=BB45_3 Depth=1
	v_lshlrev_b64_e32 v[34:35], 3, v[56:57]
	s_delay_alu instid0(VALU_DEP_1) | instskip(SKIP_1) | instid1(VALU_DEP_2)
	v_add_co_u32 v34, vcc_lo, s18, v34
	s_wait_alu 0xfffd
	v_add_co_ci_u32_e64 v35, null, s19, v35, vcc_lo
	s_wait_loadcnt 0x0
	global_store_b64 v[34:35], v[26:27], off
	s_wait_alu 0xfffe
	s_or_b32 exec_lo, exec_lo, s0
	s_and_saveexec_b32 s0, s12
	s_cbranch_execz .LBB45_48
.LBB45_64:                              ;   in Loop: Header=BB45_3 Depth=1
	v_lshlrev_b64_e32 v[34:35], 3, v[58:59]
	s_delay_alu instid0(VALU_DEP_1) | instskip(SKIP_1) | instid1(VALU_DEP_2)
	v_add_co_u32 v34, vcc_lo, s18, v34
	s_wait_alu 0xfffd
	v_add_co_ci_u32_e64 v35, null, s19, v35, vcc_lo
	s_wait_loadcnt 0x0
	global_store_b64 v[34:35], v[28:29], off
	s_wait_alu 0xfffe
	s_or_b32 exec_lo, exec_lo, s0
	s_and_saveexec_b32 s0, s13
	s_cbranch_execz .LBB45_49
.LBB45_65:                              ;   in Loop: Header=BB45_3 Depth=1
	v_lshlrev_b64_e32 v[34:35], 3, v[60:61]
	s_delay_alu instid0(VALU_DEP_1) | instskip(SKIP_1) | instid1(VALU_DEP_2)
	v_add_co_u32 v34, vcc_lo, s18, v34
	s_wait_alu 0xfffd
	v_add_co_ci_u32_e64 v35, null, s19, v35, vcc_lo
	s_wait_loadcnt 0x0
	global_store_b64 v[34:35], v[30:31], off
	s_wait_alu 0xfffe
	s_or_b32 exec_lo, exec_lo, s0
	s_and_saveexec_b32 s0, s14
	s_cbranch_execz .LBB45_2
.LBB45_66:                              ;   in Loop: Header=BB45_3 Depth=1
	v_lshlrev_b64_e32 v[34:35], 3, v[62:63]
	s_delay_alu instid0(VALU_DEP_1) | instskip(SKIP_1) | instid1(VALU_DEP_2)
	v_add_co_u32 v34, vcc_lo, s18, v34
	s_wait_alu 0xfffd
	v_add_co_ci_u32_e64 v35, null, s19, v35, vcc_lo
	s_wait_loadcnt 0x0
	global_store_b64 v[34:35], v[32:33], off
	s_branch .LBB45_2
.LBB45_67:
	s_endpgm
	.section	.rodata,"a",@progbits
	.p2align	6, 0x0
	.amdhsa_kernel _ZN9rocsolver6v33100L11stedc_copyCIdPdS2_EEviT0_iilT1_iil
		.amdhsa_group_segment_fixed_size 0
		.amdhsa_private_segment_fixed_size 0
		.amdhsa_kernarg_size 312
		.amdhsa_user_sgpr_count 2
		.amdhsa_user_sgpr_dispatch_ptr 0
		.amdhsa_user_sgpr_queue_ptr 0
		.amdhsa_user_sgpr_kernarg_segment_ptr 1
		.amdhsa_user_sgpr_dispatch_id 0
		.amdhsa_user_sgpr_private_segment_size 0
		.amdhsa_wavefront_size32 1
		.amdhsa_uses_dynamic_stack 0
		.amdhsa_enable_private_segment 0
		.amdhsa_system_sgpr_workgroup_id_x 1
		.amdhsa_system_sgpr_workgroup_id_y 1
		.amdhsa_system_sgpr_workgroup_id_z 0
		.amdhsa_system_sgpr_workgroup_info 0
		.amdhsa_system_vgpr_workitem_id 0
		.amdhsa_next_free_vgpr 66
		.amdhsa_next_free_sgpr 40
		.amdhsa_reserve_vcc 1
		.amdhsa_float_round_mode_32 0
		.amdhsa_float_round_mode_16_64 0
		.amdhsa_float_denorm_mode_32 3
		.amdhsa_float_denorm_mode_16_64 3
		.amdhsa_fp16_overflow 0
		.amdhsa_workgroup_processor_mode 1
		.amdhsa_memory_ordered 1
		.amdhsa_forward_progress 1
		.amdhsa_inst_pref_size 25
		.amdhsa_round_robin_scheduling 0
		.amdhsa_exception_fp_ieee_invalid_op 0
		.amdhsa_exception_fp_denorm_src 0
		.amdhsa_exception_fp_ieee_div_zero 0
		.amdhsa_exception_fp_ieee_overflow 0
		.amdhsa_exception_fp_ieee_underflow 0
		.amdhsa_exception_fp_ieee_inexact 0
		.amdhsa_exception_int_div_zero 0
	.end_amdhsa_kernel
	.section	.text._ZN9rocsolver6v33100L11stedc_copyCIdPdS2_EEviT0_iilT1_iil,"axG",@progbits,_ZN9rocsolver6v33100L11stedc_copyCIdPdS2_EEviT0_iilT1_iil,comdat
.Lfunc_end45:
	.size	_ZN9rocsolver6v33100L11stedc_copyCIdPdS2_EEviT0_iilT1_iil, .Lfunc_end45-_ZN9rocsolver6v33100L11stedc_copyCIdPdS2_EEviT0_iilT1_iil
                                        ; -- End function
	.set _ZN9rocsolver6v33100L11stedc_copyCIdPdS2_EEviT0_iilT1_iil.num_vgpr, 66
	.set _ZN9rocsolver6v33100L11stedc_copyCIdPdS2_EEviT0_iilT1_iil.num_agpr, 0
	.set _ZN9rocsolver6v33100L11stedc_copyCIdPdS2_EEviT0_iilT1_iil.numbered_sgpr, 40
	.set _ZN9rocsolver6v33100L11stedc_copyCIdPdS2_EEviT0_iilT1_iil.num_named_barrier, 0
	.set _ZN9rocsolver6v33100L11stedc_copyCIdPdS2_EEviT0_iilT1_iil.private_seg_size, 0
	.set _ZN9rocsolver6v33100L11stedc_copyCIdPdS2_EEviT0_iilT1_iil.uses_vcc, 1
	.set _ZN9rocsolver6v33100L11stedc_copyCIdPdS2_EEviT0_iilT1_iil.uses_flat_scratch, 0
	.set _ZN9rocsolver6v33100L11stedc_copyCIdPdS2_EEviT0_iilT1_iil.has_dyn_sized_stack, 0
	.set _ZN9rocsolver6v33100L11stedc_copyCIdPdS2_EEviT0_iilT1_iil.has_recursion, 0
	.set _ZN9rocsolver6v33100L11stedc_copyCIdPdS2_EEviT0_iilT1_iil.has_indirect_call, 0
	.section	.AMDGPU.csdata,"",@progbits
; Kernel info:
; codeLenInByte = 3168
; TotalNumSgprs: 42
; NumVgprs: 66
; ScratchSize: 0
; MemoryBound: 0
; FloatMode: 240
; IeeeMode: 1
; LDSByteSize: 0 bytes/workgroup (compile time only)
; SGPRBlocks: 0
; VGPRBlocks: 8
; NumSGPRsForWavesPerEU: 42
; NumVGPRsForWavesPerEU: 66
; Occupancy: 16
; WaveLimiterHint : 0
; COMPUTE_PGM_RSRC2:SCRATCH_EN: 0
; COMPUTE_PGM_RSRC2:USER_SGPR: 2
; COMPUTE_PGM_RSRC2:TRAP_HANDLER: 0
; COMPUTE_PGM_RSRC2:TGID_X_EN: 1
; COMPUTE_PGM_RSRC2:TGID_Y_EN: 1
; COMPUTE_PGM_RSRC2:TGID_Z_EN: 0
; COMPUTE_PGM_RSRC2:TIDIG_COMP_CNT: 0
	.section	.text._ZN9rocsolver6v33100L16stedc_reshuffleCIdPdS2_EEviT0_iilT1_iilPi,"axG",@progbits,_ZN9rocsolver6v33100L16stedc_reshuffleCIdPdS2_EEviT0_iilT1_iilPi,comdat
	.globl	_ZN9rocsolver6v33100L16stedc_reshuffleCIdPdS2_EEviT0_iilT1_iilPi ; -- Begin function _ZN9rocsolver6v33100L16stedc_reshuffleCIdPdS2_EEviT0_iilT1_iilPi
	.p2align	8
	.type	_ZN9rocsolver6v33100L16stedc_reshuffleCIdPdS2_EEviT0_iilT1_iilPi,@function
_ZN9rocsolver6v33100L16stedc_reshuffleCIdPdS2_EEviT0_iilT1_iilPi: ; @_ZN9rocsolver6v33100L16stedc_reshuffleCIdPdS2_EEviT0_iilT1_iilPi
; %bb.0:
	s_clause 0x1
	s_load_b32 s2, s[0:1], 0x4c
	s_load_b32 s22, s[0:1], 0x0
	s_wait_kmcnt 0x0
	s_and_b32 s20, s2, 0xffff
	s_add_co_i32 s4, s22, -1
	s_lshl_b32 s21, s20, 4
	s_abs_i32 s5, s4
	s_cvt_f32_u32 s2, s21
	s_sub_co_i32 s3, 0, s21
	s_ashr_i32 s4, s4, 31
	s_delay_alu instid0(SALU_CYCLE_1) | instskip(NEXT) | instid1(TRANS32_DEP_1)
	v_rcp_iflag_f32_e32 v1, s2
	v_readfirstlane_b32 s2, v1
	s_mul_f32 s2, s2, 0x4f7ffffe
	s_wait_alu 0xfffe
	s_delay_alu instid0(SALU_CYCLE_2) | instskip(SKIP_1) | instid1(SALU_CYCLE_2)
	s_cvt_u32_f32 s2, s2
	s_wait_alu 0xfffe
	s_mul_i32 s3, s3, s2
	s_wait_alu 0xfffe
	s_mul_hi_u32 s3, s2, s3
	s_wait_alu 0xfffe
	s_add_co_i32 s2, s2, s3
	s_wait_alu 0xfffe
	s_mul_hi_u32 s2, s5, s2
	s_wait_alu 0xfffe
	s_mul_i32 s3, s2, s21
	s_wait_alu 0xfffe
	s_sub_co_i32 s3, s5, s3
	s_add_co_i32 s5, s2, 1
	s_wait_alu 0xfffe
	s_sub_co_i32 s6, s3, s21
	s_cmp_ge_u32 s3, s21
	s_cselect_b32 s2, s5, s2
	s_cselect_b32 s3, s6, s3
	s_wait_alu 0xfffe
	s_add_co_i32 s5, s2, 1
	s_cmp_ge_u32 s3, s21
	s_cselect_b32 s2, s5, s2
	s_wait_alu 0xfffe
	s_xor_b32 s2, s2, s4
	s_wait_alu 0xfffe
	s_sub_co_i32 s12, s2, s4
	s_delay_alu instid0(SALU_CYCLE_1)
	s_cmp_lt_i32 s12, 0
	s_cbranch_scc1 .LBB46_67
; %bb.1:
	s_clause 0x2
	s_load_b128 s[8:11], s[0:1], 0x30
	s_load_b64 s[18:19], s[0:1], 0x28
	s_load_b256 s[0:7], s[0:1], 0x8
	s_mul_i32 s13, ttmp7, s22
	s_add_co_i32 s23, s12, 1
	s_mul_i32 s12, s13, 13
	s_mul_i32 s30, s22, 10
	s_ashr_i32 s13, s12, 31
	s_ashr_i32 s31, s30, 31
	s_lshl_b64 s[12:13], s[12:13], 2
	s_mov_b32 s14, ttmp9
	s_ashr_i32 s15, ttmp9, 31
	s_lshl_b64 s[30:31], s[30:31], 2
	s_mov_b32 s16, ttmp7
	s_ashr_i32 s17, ttmp7, 31
	v_mov_b32_e32 v2, 0
	s_lshl_b32 s24, s20, 1
	s_mul_i32 s25, s20, 3
	s_lshl_b32 s26, s20, 2
	s_mul_i32 s27, s20, 5
	s_wait_kmcnt 0x0
	s_add_nc_u64 s[10:11], s[10:11], s[12:13]
	s_lshl_b64 s[12:13], s[14:15], 2
	s_add_nc_u64 s[10:11], s[10:11], s[30:31]
	s_mul_u64 s[4:5], s[4:5], s[16:17]
	s_add_nc_u64 s[10:11], s[10:11], s[12:13]
	s_mul_u64 s[8:9], s[8:9], s[16:17]
	s_load_b32 s35, s[10:11], 0x0
	s_ashr_i32 s11, s2, 31
	s_mov_b32 s10, s2
	s_ashr_i32 s13, s18, 31
	s_mov_b32 s12, s18
	s_mul_i32 s14, s19, ttmp9
	s_lshl_b64 s[4:5], s[4:5], 3
	s_lshl_b64 s[8:9], s[8:9], 3
	;; [unrolled: 1-line block ×4, first 2 shown]
	s_ashr_i32 s15, s14, 31
	s_add_nc_u64 s[0:1], s[0:1], s[4:5]
	s_add_nc_u64 s[4:5], s[6:7], s[8:9]
	v_dual_mov_b32 v3, v2 :: v_dual_mov_b32 v4, v2
	v_dual_mov_b32 v5, v2 :: v_dual_mov_b32 v6, v2
	;; [unrolled: 1-line block ×4, first 2 shown]
	s_wait_kmcnt 0x0
	s_mul_i32 s2, s35, s3
	v_dual_mov_b32 v11, v2 :: v_dual_mov_b32 v12, v2
	s_wait_alu 0xfffe
	s_ashr_i32 s3, s2, 31
	v_dual_mov_b32 v13, v2 :: v_dual_mov_b32 v14, v2
	v_dual_mov_b32 v15, v2 :: v_dual_mov_b32 v16, v2
	;; [unrolled: 1-line block ×10, first 2 shown]
	v_mov_b32_e32 v33, v2
	s_lshl_b64 s[6:7], s[14:15], 3
	s_add_nc_u64 s[0:1], s[0:1], s[10:11]
	s_add_nc_u64 s[4:5], s[4:5], s[12:13]
	s_wait_alu 0xfffe
	s_lshl_b64 s[2:3], s[2:3], 3
	s_mul_i32 s28, s20, 6
	s_mul_i32 s29, s20, 7
	s_lshl_b32 s30, s20, 3
	s_mul_i32 s31, s20, 9
	s_mul_i32 s33, s20, 10
	;; [unrolled: 1-line block ×3, first 2 shown]
	s_add_nc_u64 s[16:17], s[4:5], s[6:7]
	s_wait_alu 0xfffe
	s_add_nc_u64 s[18:19], s[0:1], s[2:3]
	s_mul_i32 s35, s20, 12
	s_mul_i32 s36, s20, 13
	;; [unrolled: 1-line block ×4, first 2 shown]
	s_branch .LBB46_3
.LBB46_2:                               ;   in Loop: Header=BB46_3 Depth=1
	s_wait_alu 0xfffe
	s_or_b32 exec_lo, exec_lo, s0
	v_add_nc_u32_e32 v0, s21, v0
	s_add_co_i32 s23, s23, -1
	s_wait_alu 0xfffe
	s_cmp_eq_u32 s23, 0
	s_cbranch_scc1 .LBB46_67
.LBB46_3:                               ; =>This Inner Loop Header: Depth=1
	v_cmp_gt_i32_e32 vcc_lo, s22, v0
	v_ashrrev_i32_e32 v1, 31, v0
	s_and_saveexec_b32 s1, vcc_lo
	s_cbranch_execz .LBB46_5
; %bb.4:                                ;   in Loop: Header=BB46_3 Depth=1
	s_wait_loadcnt 0x0
	s_delay_alu instid0(VALU_DEP_1) | instskip(NEXT) | instid1(VALU_DEP_1)
	v_lshlrev_b64_e32 v[2:3], 3, v[0:1]
	v_add_co_u32 v2, s0, s18, v2
	s_wait_alu 0xf1ff
	s_delay_alu instid0(VALU_DEP_2)
	v_add_co_ci_u32_e64 v3, null, s19, v3, s0
	global_load_b64 v[2:3], v[2:3], off
.LBB46_5:                               ;   in Loop: Header=BB46_3 Depth=1
	s_wait_alu 0xfffe
	s_or_b32 exec_lo, exec_lo, s1
	v_add_nc_u32_e32 v34, s20, v0
	s_delay_alu instid0(VALU_DEP_1)
	v_cmp_gt_i32_e64 s0, s22, v34
	v_ashrrev_i32_e32 v35, 31, v34
	s_and_saveexec_b32 s2, s0
	s_cbranch_execz .LBB46_7
; %bb.6:                                ;   in Loop: Header=BB46_3 Depth=1
	s_wait_loadcnt 0x0
	s_delay_alu instid0(VALU_DEP_1) | instskip(NEXT) | instid1(VALU_DEP_1)
	v_lshlrev_b64_e32 v[4:5], 3, v[34:35]
	v_add_co_u32 v4, s1, s18, v4
	s_wait_alu 0xf1ff
	s_delay_alu instid0(VALU_DEP_2)
	v_add_co_ci_u32_e64 v5, null, s19, v5, s1
	global_load_b64 v[4:5], v[4:5], off
.LBB46_7:                               ;   in Loop: Header=BB46_3 Depth=1
	s_wait_alu 0xfffe
	s_or_b32 exec_lo, exec_lo, s2
	v_add_nc_u32_e32 v38, s20, v34
	v_add_nc_u32_e32 v36, s24, v0
	s_delay_alu instid0(VALU_DEP_2) | instskip(NEXT) | instid1(VALU_DEP_2)
	v_cmp_gt_i32_e64 s1, s22, v38
	v_ashrrev_i32_e32 v37, 31, v36
	s_and_saveexec_b32 s3, s1
	s_cbranch_execz .LBB46_9
; %bb.8:                                ;   in Loop: Header=BB46_3 Depth=1
	s_wait_loadcnt 0x0
	s_delay_alu instid0(VALU_DEP_1) | instskip(NEXT) | instid1(VALU_DEP_1)
	v_lshlrev_b64_e32 v[6:7], 3, v[36:37]
	v_add_co_u32 v6, s2, s18, v6
	s_wait_alu 0xf1ff
	s_delay_alu instid0(VALU_DEP_2)
	v_add_co_ci_u32_e64 v7, null, s19, v7, s2
	global_load_b64 v[6:7], v[6:7], off
.LBB46_9:                               ;   in Loop: Header=BB46_3 Depth=1
	s_wait_alu 0xfffe
	s_or_b32 exec_lo, exec_lo, s3
	v_add_nc_u32_e32 v40, s20, v38
	v_add_nc_u32_e32 v38, s25, v0
	s_delay_alu instid0(VALU_DEP_2) | instskip(NEXT) | instid1(VALU_DEP_2)
	v_cmp_gt_i32_e64 s2, s22, v40
	v_ashrrev_i32_e32 v39, 31, v38
	s_and_saveexec_b32 s4, s2
	s_cbranch_execz .LBB46_11
; %bb.10:                               ;   in Loop: Header=BB46_3 Depth=1
	s_wait_loadcnt 0x0
	s_delay_alu instid0(VALU_DEP_1) | instskip(NEXT) | instid1(VALU_DEP_1)
	v_lshlrev_b64_e32 v[8:9], 3, v[38:39]
	v_add_co_u32 v8, s3, s18, v8
	s_wait_alu 0xf1ff
	s_delay_alu instid0(VALU_DEP_2)
	v_add_co_ci_u32_e64 v9, null, s19, v9, s3
	global_load_b64 v[8:9], v[8:9], off
.LBB46_11:                              ;   in Loop: Header=BB46_3 Depth=1
	s_wait_alu 0xfffe
	s_or_b32 exec_lo, exec_lo, s4
	v_add_nc_u32_e32 v42, s20, v40
	v_add_nc_u32_e32 v40, s26, v0
	s_delay_alu instid0(VALU_DEP_2) | instskip(NEXT) | instid1(VALU_DEP_2)
	v_cmp_gt_i32_e64 s3, s22, v42
	v_ashrrev_i32_e32 v41, 31, v40
	s_and_saveexec_b32 s5, s3
	s_cbranch_execz .LBB46_13
; %bb.12:                               ;   in Loop: Header=BB46_3 Depth=1
	s_wait_loadcnt 0x0
	s_delay_alu instid0(VALU_DEP_1) | instskip(NEXT) | instid1(VALU_DEP_1)
	v_lshlrev_b64_e32 v[10:11], 3, v[40:41]
	v_add_co_u32 v10, s4, s18, v10
	s_wait_alu 0xf1ff
	s_delay_alu instid0(VALU_DEP_2)
	v_add_co_ci_u32_e64 v11, null, s19, v11, s4
	global_load_b64 v[10:11], v[10:11], off
.LBB46_13:                              ;   in Loop: Header=BB46_3 Depth=1
	;; [unrolled: 19-line block ×12, first 2 shown]
	s_wait_alu 0xfffe
	s_or_b32 exec_lo, exec_lo, s15
	v_add_nc_u32_e32 v63, s20, v62
	v_add_nc_u32_e32 v62, s38, v0
	s_delay_alu instid0(VALU_DEP_2) | instskip(NEXT) | instid1(VALU_DEP_2)
	v_cmp_gt_i32_e64 s14, s22, v63
	v_ashrrev_i32_e32 v63, 31, v62
	s_and_saveexec_b32 s39, s14
	s_cbranch_execnz .LBB46_50
; %bb.34:                               ;   in Loop: Header=BB46_3 Depth=1
	s_wait_alu 0xfffe
	s_or_b32 exec_lo, exec_lo, s39
	s_and_saveexec_b32 s15, vcc_lo
	s_cbranch_execnz .LBB46_51
.LBB46_35:                              ;   in Loop: Header=BB46_3 Depth=1
	s_wait_alu 0xfffe
	s_or_b32 exec_lo, exec_lo, s15
	s_and_saveexec_b32 s15, s0
	s_cbranch_execnz .LBB46_52
.LBB46_36:                              ;   in Loop: Header=BB46_3 Depth=1
	s_wait_alu 0xfffe
	s_or_b32 exec_lo, exec_lo, s15
	s_and_saveexec_b32 s0, s1
	s_cbranch_execnz .LBB46_53
.LBB46_37:                              ;   in Loop: Header=BB46_3 Depth=1
	s_wait_alu 0xfffe
	s_or_b32 exec_lo, exec_lo, s0
	s_and_saveexec_b32 s0, s2
	s_cbranch_execnz .LBB46_54
.LBB46_38:                              ;   in Loop: Header=BB46_3 Depth=1
	s_wait_alu 0xfffe
	s_or_b32 exec_lo, exec_lo, s0
	s_and_saveexec_b32 s0, s3
	s_cbranch_execnz .LBB46_55
.LBB46_39:                              ;   in Loop: Header=BB46_3 Depth=1
	s_wait_alu 0xfffe
	s_or_b32 exec_lo, exec_lo, s0
	s_and_saveexec_b32 s0, s4
	s_cbranch_execnz .LBB46_56
.LBB46_40:                              ;   in Loop: Header=BB46_3 Depth=1
	s_wait_alu 0xfffe
	s_or_b32 exec_lo, exec_lo, s0
	s_and_saveexec_b32 s0, s5
	s_cbranch_execnz .LBB46_57
.LBB46_41:                              ;   in Loop: Header=BB46_3 Depth=1
	s_wait_alu 0xfffe
	s_or_b32 exec_lo, exec_lo, s0
	s_and_saveexec_b32 s0, s6
	s_cbranch_execnz .LBB46_58
.LBB46_42:                              ;   in Loop: Header=BB46_3 Depth=1
	s_wait_alu 0xfffe
	s_or_b32 exec_lo, exec_lo, s0
	s_and_saveexec_b32 s0, s7
	s_cbranch_execnz .LBB46_59
.LBB46_43:                              ;   in Loop: Header=BB46_3 Depth=1
	s_wait_alu 0xfffe
	s_or_b32 exec_lo, exec_lo, s0
	s_and_saveexec_b32 s0, s8
	s_cbranch_execnz .LBB46_60
.LBB46_44:                              ;   in Loop: Header=BB46_3 Depth=1
	s_wait_alu 0xfffe
	s_or_b32 exec_lo, exec_lo, s0
	s_and_saveexec_b32 s0, s9
	s_cbranch_execnz .LBB46_61
.LBB46_45:                              ;   in Loop: Header=BB46_3 Depth=1
	s_wait_alu 0xfffe
	s_or_b32 exec_lo, exec_lo, s0
	s_and_saveexec_b32 s0, s10
	s_cbranch_execnz .LBB46_62
.LBB46_46:                              ;   in Loop: Header=BB46_3 Depth=1
	s_wait_alu 0xfffe
	s_or_b32 exec_lo, exec_lo, s0
	s_and_saveexec_b32 s0, s11
	s_cbranch_execnz .LBB46_63
.LBB46_47:                              ;   in Loop: Header=BB46_3 Depth=1
	s_wait_alu 0xfffe
	s_or_b32 exec_lo, exec_lo, s0
	s_and_saveexec_b32 s0, s12
	s_cbranch_execnz .LBB46_64
.LBB46_48:                              ;   in Loop: Header=BB46_3 Depth=1
	s_wait_alu 0xfffe
	s_or_b32 exec_lo, exec_lo, s0
	s_and_saveexec_b32 s0, s13
	s_cbranch_execnz .LBB46_65
.LBB46_49:                              ;   in Loop: Header=BB46_3 Depth=1
	s_wait_alu 0xfffe
	s_or_b32 exec_lo, exec_lo, s0
	s_and_saveexec_b32 s0, s14
	s_cbranch_execz .LBB46_2
	s_branch .LBB46_66
.LBB46_50:                              ;   in Loop: Header=BB46_3 Depth=1
	s_wait_loadcnt 0x0
	s_delay_alu instid0(VALU_DEP_1) | instskip(NEXT) | instid1(VALU_DEP_1)
	v_lshlrev_b64_e32 v[32:33], 3, v[62:63]
	v_add_co_u32 v32, s15, s18, v32
	s_wait_alu 0xf1ff
	s_delay_alu instid0(VALU_DEP_2)
	v_add_co_ci_u32_e64 v33, null, s19, v33, s15
	global_load_b64 v[32:33], v[32:33], off
	s_wait_alu 0xfffe
	s_or_b32 exec_lo, exec_lo, s39
	s_and_saveexec_b32 s15, vcc_lo
	s_cbranch_execz .LBB46_35
.LBB46_51:                              ;   in Loop: Header=BB46_3 Depth=1
	v_lshlrev_b64_e32 v[64:65], 3, v[0:1]
	s_delay_alu instid0(VALU_DEP_1) | instskip(SKIP_1) | instid1(VALU_DEP_2)
	v_add_co_u32 v64, vcc_lo, s16, v64
	s_wait_alu 0xfffd
	v_add_co_ci_u32_e64 v65, null, s17, v65, vcc_lo
	s_wait_loadcnt 0x0
	global_store_b64 v[64:65], v[2:3], off
	s_wait_alu 0xfffe
	s_or_b32 exec_lo, exec_lo, s15
	s_and_saveexec_b32 s15, s0
	s_cbranch_execz .LBB46_36
.LBB46_52:                              ;   in Loop: Header=BB46_3 Depth=1
	v_lshlrev_b64_e32 v[34:35], 3, v[34:35]
	s_delay_alu instid0(VALU_DEP_1) | instskip(SKIP_1) | instid1(VALU_DEP_2)
	v_add_co_u32 v34, vcc_lo, s16, v34
	s_wait_alu 0xfffd
	v_add_co_ci_u32_e64 v35, null, s17, v35, vcc_lo
	s_wait_loadcnt 0x0
	global_store_b64 v[34:35], v[4:5], off
	s_wait_alu 0xfffe
	s_or_b32 exec_lo, exec_lo, s15
	s_and_saveexec_b32 s0, s1
	s_cbranch_execz .LBB46_37
.LBB46_53:                              ;   in Loop: Header=BB46_3 Depth=1
	v_lshlrev_b64_e32 v[34:35], 3, v[36:37]
	s_delay_alu instid0(VALU_DEP_1) | instskip(SKIP_1) | instid1(VALU_DEP_2)
	v_add_co_u32 v34, vcc_lo, s16, v34
	s_wait_alu 0xfffd
	v_add_co_ci_u32_e64 v35, null, s17, v35, vcc_lo
	s_wait_loadcnt 0x0
	global_store_b64 v[34:35], v[6:7], off
	s_wait_alu 0xfffe
	s_or_b32 exec_lo, exec_lo, s0
	s_and_saveexec_b32 s0, s2
	s_cbranch_execz .LBB46_38
.LBB46_54:                              ;   in Loop: Header=BB46_3 Depth=1
	v_lshlrev_b64_e32 v[34:35], 3, v[38:39]
	s_delay_alu instid0(VALU_DEP_1) | instskip(SKIP_1) | instid1(VALU_DEP_2)
	v_add_co_u32 v34, vcc_lo, s16, v34
	s_wait_alu 0xfffd
	v_add_co_ci_u32_e64 v35, null, s17, v35, vcc_lo
	s_wait_loadcnt 0x0
	global_store_b64 v[34:35], v[8:9], off
	s_wait_alu 0xfffe
	s_or_b32 exec_lo, exec_lo, s0
	s_and_saveexec_b32 s0, s3
	s_cbranch_execz .LBB46_39
.LBB46_55:                              ;   in Loop: Header=BB46_3 Depth=1
	v_lshlrev_b64_e32 v[34:35], 3, v[40:41]
	s_delay_alu instid0(VALU_DEP_1) | instskip(SKIP_1) | instid1(VALU_DEP_2)
	v_add_co_u32 v34, vcc_lo, s16, v34
	s_wait_alu 0xfffd
	v_add_co_ci_u32_e64 v35, null, s17, v35, vcc_lo
	s_wait_loadcnt 0x0
	global_store_b64 v[34:35], v[10:11], off
	s_wait_alu 0xfffe
	s_or_b32 exec_lo, exec_lo, s0
	s_and_saveexec_b32 s0, s4
	s_cbranch_execz .LBB46_40
.LBB46_56:                              ;   in Loop: Header=BB46_3 Depth=1
	v_lshlrev_b64_e32 v[34:35], 3, v[42:43]
	s_delay_alu instid0(VALU_DEP_1) | instskip(SKIP_1) | instid1(VALU_DEP_2)
	v_add_co_u32 v34, vcc_lo, s16, v34
	s_wait_alu 0xfffd
	v_add_co_ci_u32_e64 v35, null, s17, v35, vcc_lo
	s_wait_loadcnt 0x0
	global_store_b64 v[34:35], v[12:13], off
	s_wait_alu 0xfffe
	s_or_b32 exec_lo, exec_lo, s0
	s_and_saveexec_b32 s0, s5
	s_cbranch_execz .LBB46_41
.LBB46_57:                              ;   in Loop: Header=BB46_3 Depth=1
	v_lshlrev_b64_e32 v[34:35], 3, v[44:45]
	s_delay_alu instid0(VALU_DEP_1) | instskip(SKIP_1) | instid1(VALU_DEP_2)
	v_add_co_u32 v34, vcc_lo, s16, v34
	s_wait_alu 0xfffd
	v_add_co_ci_u32_e64 v35, null, s17, v35, vcc_lo
	s_wait_loadcnt 0x0
	global_store_b64 v[34:35], v[14:15], off
	s_wait_alu 0xfffe
	s_or_b32 exec_lo, exec_lo, s0
	s_and_saveexec_b32 s0, s6
	s_cbranch_execz .LBB46_42
.LBB46_58:                              ;   in Loop: Header=BB46_3 Depth=1
	v_lshlrev_b64_e32 v[34:35], 3, v[46:47]
	s_delay_alu instid0(VALU_DEP_1) | instskip(SKIP_1) | instid1(VALU_DEP_2)
	v_add_co_u32 v34, vcc_lo, s16, v34
	s_wait_alu 0xfffd
	v_add_co_ci_u32_e64 v35, null, s17, v35, vcc_lo
	s_wait_loadcnt 0x0
	global_store_b64 v[34:35], v[16:17], off
	s_wait_alu 0xfffe
	s_or_b32 exec_lo, exec_lo, s0
	s_and_saveexec_b32 s0, s7
	s_cbranch_execz .LBB46_43
.LBB46_59:                              ;   in Loop: Header=BB46_3 Depth=1
	v_lshlrev_b64_e32 v[34:35], 3, v[48:49]
	s_delay_alu instid0(VALU_DEP_1) | instskip(SKIP_1) | instid1(VALU_DEP_2)
	v_add_co_u32 v34, vcc_lo, s16, v34
	s_wait_alu 0xfffd
	v_add_co_ci_u32_e64 v35, null, s17, v35, vcc_lo
	s_wait_loadcnt 0x0
	global_store_b64 v[34:35], v[18:19], off
	s_wait_alu 0xfffe
	s_or_b32 exec_lo, exec_lo, s0
	s_and_saveexec_b32 s0, s8
	s_cbranch_execz .LBB46_44
.LBB46_60:                              ;   in Loop: Header=BB46_3 Depth=1
	v_lshlrev_b64_e32 v[34:35], 3, v[50:51]
	s_delay_alu instid0(VALU_DEP_1) | instskip(SKIP_1) | instid1(VALU_DEP_2)
	v_add_co_u32 v34, vcc_lo, s16, v34
	s_wait_alu 0xfffd
	v_add_co_ci_u32_e64 v35, null, s17, v35, vcc_lo
	s_wait_loadcnt 0x0
	global_store_b64 v[34:35], v[20:21], off
	s_wait_alu 0xfffe
	s_or_b32 exec_lo, exec_lo, s0
	s_and_saveexec_b32 s0, s9
	s_cbranch_execz .LBB46_45
.LBB46_61:                              ;   in Loop: Header=BB46_3 Depth=1
	v_lshlrev_b64_e32 v[34:35], 3, v[52:53]
	s_delay_alu instid0(VALU_DEP_1) | instskip(SKIP_1) | instid1(VALU_DEP_2)
	v_add_co_u32 v34, vcc_lo, s16, v34
	s_wait_alu 0xfffd
	v_add_co_ci_u32_e64 v35, null, s17, v35, vcc_lo
	s_wait_loadcnt 0x0
	global_store_b64 v[34:35], v[22:23], off
	s_wait_alu 0xfffe
	s_or_b32 exec_lo, exec_lo, s0
	s_and_saveexec_b32 s0, s10
	s_cbranch_execz .LBB46_46
.LBB46_62:                              ;   in Loop: Header=BB46_3 Depth=1
	v_lshlrev_b64_e32 v[34:35], 3, v[54:55]
	s_delay_alu instid0(VALU_DEP_1) | instskip(SKIP_1) | instid1(VALU_DEP_2)
	v_add_co_u32 v34, vcc_lo, s16, v34
	s_wait_alu 0xfffd
	v_add_co_ci_u32_e64 v35, null, s17, v35, vcc_lo
	s_wait_loadcnt 0x0
	global_store_b64 v[34:35], v[24:25], off
	s_wait_alu 0xfffe
	s_or_b32 exec_lo, exec_lo, s0
	s_and_saveexec_b32 s0, s11
	s_cbranch_execz .LBB46_47
.LBB46_63:                              ;   in Loop: Header=BB46_3 Depth=1
	v_lshlrev_b64_e32 v[34:35], 3, v[56:57]
	s_delay_alu instid0(VALU_DEP_1) | instskip(SKIP_1) | instid1(VALU_DEP_2)
	v_add_co_u32 v34, vcc_lo, s16, v34
	s_wait_alu 0xfffd
	v_add_co_ci_u32_e64 v35, null, s17, v35, vcc_lo
	s_wait_loadcnt 0x0
	global_store_b64 v[34:35], v[26:27], off
	s_wait_alu 0xfffe
	s_or_b32 exec_lo, exec_lo, s0
	s_and_saveexec_b32 s0, s12
	s_cbranch_execz .LBB46_48
.LBB46_64:                              ;   in Loop: Header=BB46_3 Depth=1
	v_lshlrev_b64_e32 v[34:35], 3, v[58:59]
	s_delay_alu instid0(VALU_DEP_1) | instskip(SKIP_1) | instid1(VALU_DEP_2)
	v_add_co_u32 v34, vcc_lo, s16, v34
	s_wait_alu 0xfffd
	v_add_co_ci_u32_e64 v35, null, s17, v35, vcc_lo
	s_wait_loadcnt 0x0
	global_store_b64 v[34:35], v[28:29], off
	s_wait_alu 0xfffe
	s_or_b32 exec_lo, exec_lo, s0
	s_and_saveexec_b32 s0, s13
	s_cbranch_execz .LBB46_49
.LBB46_65:                              ;   in Loop: Header=BB46_3 Depth=1
	v_lshlrev_b64_e32 v[34:35], 3, v[60:61]
	s_delay_alu instid0(VALU_DEP_1) | instskip(SKIP_1) | instid1(VALU_DEP_2)
	v_add_co_u32 v34, vcc_lo, s16, v34
	s_wait_alu 0xfffd
	v_add_co_ci_u32_e64 v35, null, s17, v35, vcc_lo
	s_wait_loadcnt 0x0
	global_store_b64 v[34:35], v[30:31], off
	s_wait_alu 0xfffe
	s_or_b32 exec_lo, exec_lo, s0
	s_and_saveexec_b32 s0, s14
	s_cbranch_execz .LBB46_2
.LBB46_66:                              ;   in Loop: Header=BB46_3 Depth=1
	v_lshlrev_b64_e32 v[34:35], 3, v[62:63]
	s_delay_alu instid0(VALU_DEP_1) | instskip(SKIP_1) | instid1(VALU_DEP_2)
	v_add_co_u32 v34, vcc_lo, s16, v34
	s_wait_alu 0xfffd
	v_add_co_ci_u32_e64 v35, null, s17, v35, vcc_lo
	s_wait_loadcnt 0x0
	global_store_b64 v[34:35], v[32:33], off
	s_branch .LBB46_2
.LBB46_67:
	s_endpgm
	.section	.rodata,"a",@progbits
	.p2align	6, 0x0
	.amdhsa_kernel _ZN9rocsolver6v33100L16stedc_reshuffleCIdPdS2_EEviT0_iilT1_iilPi
		.amdhsa_group_segment_fixed_size 0
		.amdhsa_private_segment_fixed_size 0
		.amdhsa_kernarg_size 320
		.amdhsa_user_sgpr_count 2
		.amdhsa_user_sgpr_dispatch_ptr 0
		.amdhsa_user_sgpr_queue_ptr 0
		.amdhsa_user_sgpr_kernarg_segment_ptr 1
		.amdhsa_user_sgpr_dispatch_id 0
		.amdhsa_user_sgpr_private_segment_size 0
		.amdhsa_wavefront_size32 1
		.amdhsa_uses_dynamic_stack 0
		.amdhsa_enable_private_segment 0
		.amdhsa_system_sgpr_workgroup_id_x 1
		.amdhsa_system_sgpr_workgroup_id_y 1
		.amdhsa_system_sgpr_workgroup_id_z 0
		.amdhsa_system_sgpr_workgroup_info 0
		.amdhsa_system_vgpr_workitem_id 0
		.amdhsa_next_free_vgpr 66
		.amdhsa_next_free_sgpr 40
		.amdhsa_reserve_vcc 1
		.amdhsa_float_round_mode_32 0
		.amdhsa_float_round_mode_16_64 0
		.amdhsa_float_denorm_mode_32 3
		.amdhsa_float_denorm_mode_16_64 3
		.amdhsa_fp16_overflow 0
		.amdhsa_workgroup_processor_mode 1
		.amdhsa_memory_ordered 1
		.amdhsa_forward_progress 1
		.amdhsa_inst_pref_size 26
		.amdhsa_round_robin_scheduling 0
		.amdhsa_exception_fp_ieee_invalid_op 0
		.amdhsa_exception_fp_denorm_src 0
		.amdhsa_exception_fp_ieee_div_zero 0
		.amdhsa_exception_fp_ieee_overflow 0
		.amdhsa_exception_fp_ieee_underflow 0
		.amdhsa_exception_fp_ieee_inexact 0
		.amdhsa_exception_int_div_zero 0
	.end_amdhsa_kernel
	.section	.text._ZN9rocsolver6v33100L16stedc_reshuffleCIdPdS2_EEviT0_iilT1_iilPi,"axG",@progbits,_ZN9rocsolver6v33100L16stedc_reshuffleCIdPdS2_EEviT0_iilT1_iilPi,comdat
.Lfunc_end46:
	.size	_ZN9rocsolver6v33100L16stedc_reshuffleCIdPdS2_EEviT0_iilT1_iilPi, .Lfunc_end46-_ZN9rocsolver6v33100L16stedc_reshuffleCIdPdS2_EEviT0_iilT1_iilPi
                                        ; -- End function
	.set _ZN9rocsolver6v33100L16stedc_reshuffleCIdPdS2_EEviT0_iilT1_iilPi.num_vgpr, 66
	.set _ZN9rocsolver6v33100L16stedc_reshuffleCIdPdS2_EEviT0_iilT1_iilPi.num_agpr, 0
	.set _ZN9rocsolver6v33100L16stedc_reshuffleCIdPdS2_EEviT0_iilT1_iilPi.numbered_sgpr, 40
	.set _ZN9rocsolver6v33100L16stedc_reshuffleCIdPdS2_EEviT0_iilT1_iilPi.num_named_barrier, 0
	.set _ZN9rocsolver6v33100L16stedc_reshuffleCIdPdS2_EEviT0_iilT1_iilPi.private_seg_size, 0
	.set _ZN9rocsolver6v33100L16stedc_reshuffleCIdPdS2_EEviT0_iilT1_iilPi.uses_vcc, 1
	.set _ZN9rocsolver6v33100L16stedc_reshuffleCIdPdS2_EEviT0_iilT1_iilPi.uses_flat_scratch, 0
	.set _ZN9rocsolver6v33100L16stedc_reshuffleCIdPdS2_EEviT0_iilT1_iilPi.has_dyn_sized_stack, 0
	.set _ZN9rocsolver6v33100L16stedc_reshuffleCIdPdS2_EEviT0_iilT1_iilPi.has_recursion, 0
	.set _ZN9rocsolver6v33100L16stedc_reshuffleCIdPdS2_EEviT0_iilT1_iilPi.has_indirect_call, 0
	.section	.AMDGPU.csdata,"",@progbits
; Kernel info:
; codeLenInByte = 3236
; TotalNumSgprs: 42
; NumVgprs: 66
; ScratchSize: 0
; MemoryBound: 0
; FloatMode: 240
; IeeeMode: 1
; LDSByteSize: 0 bytes/workgroup (compile time only)
; SGPRBlocks: 0
; VGPRBlocks: 8
; NumSGPRsForWavesPerEU: 42
; NumVGPRsForWavesPerEU: 66
; Occupancy: 16
; WaveLimiterHint : 1
; COMPUTE_PGM_RSRC2:SCRATCH_EN: 0
; COMPUTE_PGM_RSRC2:USER_SGPR: 2
; COMPUTE_PGM_RSRC2:TRAP_HANDLER: 0
; COMPUTE_PGM_RSRC2:TGID_X_EN: 1
; COMPUTE_PGM_RSRC2:TGID_Y_EN: 1
; COMPUTE_PGM_RSRC2:TGID_Z_EN: 0
; COMPUTE_PGM_RSRC2:TIDIG_COMP_CNT: 0
	.section	.text._ZN9rocsolver6v33100L30stedc_mergeValues_Solve_kernelIdEEviiPT_lS3_lS3_S3_PiS2_S2_S2_,"axG",@progbits,_ZN9rocsolver6v33100L30stedc_mergeValues_Solve_kernelIdEEviiPT_lS3_lS3_S3_PiS2_S2_S2_,comdat
	.globl	_ZN9rocsolver6v33100L30stedc_mergeValues_Solve_kernelIdEEviiPT_lS3_lS3_S3_PiS2_S2_S2_ ; -- Begin function _ZN9rocsolver6v33100L30stedc_mergeValues_Solve_kernelIdEEviiPT_lS3_lS3_S3_PiS2_S2_S2_
	.p2align	8
	.type	_ZN9rocsolver6v33100L30stedc_mergeValues_Solve_kernelIdEEviiPT_lS3_lS3_S3_PiS2_S2_S2_,@function
_ZN9rocsolver6v33100L30stedc_mergeValues_Solve_kernelIdEEviiPT_lS3_lS3_S3_PiS2_S2_S2_: ; @_ZN9rocsolver6v33100L30stedc_mergeValues_Solve_kernelIdEEviiPT_lS3_lS3_S3_PiS2_S2_S2_
; %bb.0:
	s_clause 0x1
	s_load_b32 s3, s[0:1], 0x64
	s_load_b32 s2, s[0:1], 0x4
	s_wait_kmcnt 0x0
	s_and_b32 s3, s3, 0xffff
	s_delay_alu instid0(SALU_CYCLE_1)
	v_mad_co_u64_u32 v[1:2], null, ttmp9, s3, v[0:1]
	s_mov_b32 s3, exec_lo
	v_cmpx_gt_i32_e64 s2, v1
	s_cbranch_execz .LBB47_198
; %bb.1:
	s_load_b256 s[8:15], s[0:1], 0x28
	s_mul_i32 s0, s2, ttmp7
	v_ashrrev_i32_e32 v2, 31, v1
	s_wait_alu 0xfffe
	s_mul_i32 s6, s0, 13
	s_mul_i32 s4, s2, 6
	s_ashr_i32 s7, s6, 31
	s_ashr_i32 s5, s4, 31
	s_lshl_b64 s[6:7], s[6:7], 2
	v_lshlrev_b64_e32 v[3:4], 2, v[1:2]
	s_ashr_i32 s3, s2, 31
	s_lshl_b64 s[4:5], s[4:5], 2
	s_wait_kmcnt 0x0
	s_add_nc_u64 s[6:7], s[12:13], s[6:7]
	s_wait_alu 0xfffe
	s_lshl_b64 s[12:13], s[2:3], 2
	s_add_nc_u64 s[4:5], s[6:7], s[4:5]
	s_delay_alu instid0(SALU_CYCLE_1) | instskip(SKIP_1) | instid1(VALU_DEP_1)
	s_add_nc_u64 s[6:7], s[4:5], s[12:13]
	v_add_co_u32 v5, vcc_lo, s4, v3
	v_add_co_ci_u32_e64 v6, null, s5, v4, vcc_lo
	v_add_co_u32 v3, vcc_lo, s6, v3
	s_wait_alu 0xfffd
	v_add_co_ci_u32_e64 v4, null, s7, v4, vcc_lo
	s_clause 0x1
	global_load_b32 v12, v[5:6], off
	global_load_b32 v22, v[3:4], off
	s_wait_loadcnt 0x1
	v_sub_nc_u32_e32 v0, v1, v12
	s_wait_loadcnt 0x0
	s_delay_alu instid0(VALU_DEP_1)
	v_cmp_lt_i32_e32 vcc_lo, v0, v22
	s_and_b32 exec_lo, exec_lo, vcc_lo
	s_cbranch_execz .LBB47_198
; %bb.2:
	v_mul_lo_u32 v3, v1, s2
	s_mul_i32 s4, s0, 10
	s_lshl_b32 s6, s2, 3
	s_wait_alu 0xfffe
	s_ashr_i32 s5, s4, 31
	s_movk_i32 s12, 0xffc8
	s_wait_alu 0xfffe
	s_lshl_b64 s[16:17], s[4:5], 3
	s_ashr_i32 s7, s6, 31
	s_mov_b32 s13, -1
	s_add_nc_u64 s[4:5], s[8:9], s[16:17]
	s_wait_alu 0xfffe
	s_lshl_b64 s[18:19], s[6:7], 3
	s_mul_u64 s[6:7], s[2:3], s[12:13]
	s_mul_i32 s12, s0, s2
	v_ashrrev_i32_e32 v4, 31, v3
	s_add_nc_u64 s[0:1], s[4:5], s[18:19]
	s_lshl_b32 s4, s12, 1
	s_wait_alu 0xfffe
	s_add_nc_u64 s[12:13], s[0:1], s[6:7]
	s_ashr_i32 s5, s4, 31
	s_lshl_b64 s[6:7], s[2:3], 6
	s_wait_alu 0xfffe
	s_lshl_b64 s[22:23], s[4:5], 3
	s_mul_i32 s2, s2, s2
	s_mov_b32 s3, 0
	v_lshlrev_b64_e32 v[34:35], 3, v[3:4]
	v_lshlrev_b64_e32 v[4:5], 3, v[1:2]
	v_ashrrev_i32_e32 v1, 31, v0
	s_add_nc_u64 s[4:5], s[12:13], s[6:7]
	s_add_nc_u64 s[6:7], s[10:11], s[22:23]
	s_wait_alu 0xfffe
	s_lshl_b64 s[20:21], s[2:3], 3
	v_ashrrev_i32_e32 v13, 31, v12
	s_add_nc_u64 s[2:3], s[6:7], s[20:21]
	v_lshlrev_b64_e32 v[20:21], 3, v[0:1]
	s_wait_alu 0xfffe
	v_add_co_u32 v8, vcc_lo, s2, v34
	s_wait_alu 0xfffd
	v_add_co_ci_u32_e64 v9, null, s3, v35, vcc_lo
	v_add_co_u32 v1, vcc_lo, s4, v4
	s_wait_alu 0xfffd
	v_add_co_ci_u32_e64 v2, null, s5, v5, vcc_lo
	;; [unrolled: 3-line block ×3, first 2 shown]
	global_load_b64 v[6:7], v[1:2], off
	global_load_b64 v[16:17], v[10:11], off
	v_lshlrev_b64_e32 v[36:37], 3, v[12:13]
	v_add_nc_u32_e32 v14, -1, v22
                                        ; implicit-def: $vgpr1_vgpr2
	s_delay_alu instid0(VALU_DEP_2) | instskip(SKIP_1) | instid1(VALU_DEP_3)
	v_add_co_u32 v12, s0, s0, v36
	s_wait_alu 0xf1ff
	v_add_co_ci_u32_e64 v13, null, s1, v37, s0
	s_mov_b32 s0, exec_lo
	v_cmpx_ne_u32_e64 v0, v14
	s_wait_alu 0xfffe
	s_xor_b32 s7, exec_lo, s0
	s_cbranch_execz .LBB47_126
; %bb.3:
	global_load_b64 v[38:39], v[10:11], off offset:8
	s_mov_b32 s1, exec_lo
	s_wait_loadcnt 0x0
	v_add_f64_e32 v[1:2], v[16:17], v[38:39]
	s_delay_alu instid0(VALU_DEP_1)
	v_mul_f64_e32 v[22:23], 0.5, v[1:2]
	v_mov_b32_e32 v1, 0
	v_mov_b32_e32 v2, 0
	v_cmpx_lt_i32_e32 0, v0
	s_cbranch_execz .LBB47_7
; %bb.4:
	v_mov_b32_e32 v1, 0
	v_dual_mov_b32 v2, 0 :: v_dual_mov_b32 v19, v13
	v_dual_mov_b32 v18, v12 :: v_dual_mov_b32 v25, v9
	;; [unrolled: 1-line block ×3, first 2 shown]
	s_mov_b32 s2, 0
.LBB47_5:                               ; =>This Inner Loop Header: Depth=1
	global_load_b64 v[26:27], v[24:25], off
	global_load_b64 v[28:29], v[18:19], off
	v_add_nc_u32_e32 v3, -1, v3
	v_add_co_u32 v18, s0, v18, 8
	s_wait_alu 0xf1ff
	v_add_co_ci_u32_e64 v19, null, 0, v19, s0
	s_wait_loadcnt 0x1
	v_add_f64_e64 v[26:27], v[26:27], -v[22:23]
	s_wait_loadcnt 0x0
	s_delay_alu instid0(VALU_DEP_1) | instskip(SKIP_1) | instid1(VALU_DEP_2)
	v_div_scale_f64 v[30:31], null, v[26:27], v[26:27], v[28:29]
	v_div_scale_f64 v[42:43], vcc_lo, v[28:29], v[26:27], v[28:29]
	v_rcp_f64_e32 v[32:33], v[30:31]
	s_delay_alu instid0(TRANS32_DEP_1) | instskip(NEXT) | instid1(VALU_DEP_1)
	v_fma_f64 v[40:41], -v[30:31], v[32:33], 1.0
	v_fma_f64 v[32:33], v[32:33], v[40:41], v[32:33]
	s_delay_alu instid0(VALU_DEP_1) | instskip(NEXT) | instid1(VALU_DEP_1)
	v_fma_f64 v[40:41], -v[30:31], v[32:33], 1.0
	v_fma_f64 v[32:33], v[32:33], v[40:41], v[32:33]
	s_delay_alu instid0(VALU_DEP_1) | instskip(NEXT) | instid1(VALU_DEP_1)
	v_mul_f64_e32 v[40:41], v[42:43], v[32:33]
	v_fma_f64 v[30:31], -v[30:31], v[40:41], v[42:43]
	s_wait_alu 0xfffd
	s_delay_alu instid0(VALU_DEP_1)
	v_div_fmas_f64 v[30:31], v[30:31], v[32:33], v[40:41]
	v_add_co_u32 v24, vcc_lo, v24, 8
	s_wait_alu 0xfffd
	v_add_co_ci_u32_e64 v25, null, 0, v25, vcc_lo
	v_cmp_eq_u32_e32 vcc_lo, 0, v3
	s_wait_alu 0xfffe
	s_or_b32 s2, vcc_lo, s2
	s_delay_alu instid0(VALU_DEP_4) | instskip(NEXT) | instid1(VALU_DEP_1)
	v_div_fixup_f64 v[26:27], v[30:31], v[26:27], v[28:29]
	v_fma_f64 v[1:2], v[28:29], v[26:27], v[1:2]
	s_wait_alu 0xfffe
	s_and_not1_b32 exec_lo, exec_lo, s2
	s_cbranch_execnz .LBB47_5
; %bb.6:
	s_or_b32 exec_lo, exec_lo, s2
.LBB47_7:
	s_wait_alu 0xfffe
	s_or_b32 exec_lo, exec_lo, s1
	v_mov_b32_e32 v26, 0
	v_dual_mov_b32 v27, 0 :: v_dual_add_nc_u32 v18, 1, v0
	v_ashrrev_i32_e32 v15, 31, v14
	s_mov_b32 s1, exec_lo
	s_delay_alu instid0(VALU_DEP_2)
	v_cmpx_gt_i32_e64 v14, v18
	s_cbranch_execz .LBB47_11
; %bb.8:
	s_delay_alu instid0(VALU_DEP_2)
	v_lshlrev_b64_e32 v[24:25], 3, v[14:15]
	v_add_co_u32 v3, vcc_lo, s22, v34
	s_wait_alu 0xfffd
	v_add_co_ci_u32_e64 v19, null, s23, v35, vcc_lo
	s_add_nc_u64 s[2:3], s[18:19], s[16:17]
	v_add_co_u32 v3, vcc_lo, v3, v24
	s_wait_alu 0xfffd
	v_add_co_ci_u32_e64 v19, null, v19, v25, vcc_lo
	s_wait_alu 0xfffe
	v_add_co_u32 v26, vcc_lo, s2, v36
	s_wait_alu 0xfffd
	v_add_co_ci_u32_e64 v27, null, s3, v37, vcc_lo
	s_add_nc_u64 s[2:3], s[10:11], s[20:21]
	v_add_co_u32 v26, vcc_lo, v26, v24
	s_wait_alu 0xfffd
	v_add_co_ci_u32_e64 v27, null, v27, v25, vcc_lo
	s_wait_alu 0xfffe
	v_add_co_u32 v24, vcc_lo, s2, v3
	s_wait_alu 0xfffd
	v_add_co_ci_u32_e64 v25, null, s3, v19, vcc_lo
	v_add_co_u32 v28, vcc_lo, s8, v26
	s_wait_alu 0xfffd
	v_add_co_ci_u32_e64 v29, null, s9, v27, vcc_lo
	v_dual_mov_b32 v26, 0 :: v_dual_mov_b32 v3, v14
	v_mov_b32_e32 v27, 0
	s_mov_b32 s2, 0
.LBB47_9:                               ; =>This Inner Loop Header: Depth=1
	global_load_b64 v[30:31], v[24:25], off
	global_load_b64 v[32:33], v[28:29], off
	v_add_nc_u32_e32 v3, -1, v3
	v_add_co_u32 v28, s0, v28, -8
	s_wait_alu 0xf1ff
	v_add_co_ci_u32_e64 v29, null, -1, v29, s0
	s_wait_loadcnt 0x1
	v_add_f64_e64 v[30:31], v[30:31], -v[22:23]
	s_wait_loadcnt 0x0
	s_delay_alu instid0(VALU_DEP_1) | instskip(SKIP_1) | instid1(VALU_DEP_2)
	v_div_scale_f64 v[40:41], null, v[30:31], v[30:31], v[32:33]
	v_div_scale_f64 v[46:47], vcc_lo, v[32:33], v[30:31], v[32:33]
	v_rcp_f64_e32 v[42:43], v[40:41]
	s_delay_alu instid0(TRANS32_DEP_1) | instskip(NEXT) | instid1(VALU_DEP_1)
	v_fma_f64 v[44:45], -v[40:41], v[42:43], 1.0
	v_fma_f64 v[42:43], v[42:43], v[44:45], v[42:43]
	s_delay_alu instid0(VALU_DEP_1) | instskip(NEXT) | instid1(VALU_DEP_1)
	v_fma_f64 v[44:45], -v[40:41], v[42:43], 1.0
	v_fma_f64 v[42:43], v[42:43], v[44:45], v[42:43]
	s_delay_alu instid0(VALU_DEP_1) | instskip(NEXT) | instid1(VALU_DEP_1)
	v_mul_f64_e32 v[44:45], v[46:47], v[42:43]
	v_fma_f64 v[40:41], -v[40:41], v[44:45], v[46:47]
	s_wait_alu 0xfffd
	s_delay_alu instid0(VALU_DEP_1)
	v_div_fmas_f64 v[40:41], v[40:41], v[42:43], v[44:45]
	v_add_co_u32 v24, vcc_lo, v24, -8
	s_wait_alu 0xfffd
	v_add_co_ci_u32_e64 v25, null, -1, v25, vcc_lo
	v_cmp_le_i32_e32 vcc_lo, v3, v18
	s_wait_alu 0xfffe
	s_or_b32 s2, vcc_lo, s2
	s_delay_alu instid0(VALU_DEP_4) | instskip(NEXT) | instid1(VALU_DEP_1)
	v_div_fixup_f64 v[30:31], v[40:41], v[30:31], v[32:33]
	v_fma_f64 v[26:27], v[32:33], v[30:31], v[26:27]
	s_wait_alu 0xfffe
	s_and_not1_b32 exec_lo, exec_lo, s2
	s_cbranch_execnz .LBB47_9
; %bb.10:
	s_or_b32 exec_lo, exec_lo, s2
.LBB47_11:
	s_wait_alu 0xfffe
	s_or_b32 exec_lo, exec_lo, s1
	v_add_co_u32 v20, vcc_lo, v12, v20
	s_wait_alu 0xfffd
	v_add_co_ci_u32_e64 v21, null, v13, v21, vcc_lo
	v_dual_mov_b32 v24, v6 :: v_dual_and_b32 v25, 0x7fffffff, v7
	v_add_f64_e64 v[22:23], v[38:39], -v[16:17]
	global_load_b128 v[30:33], v[20:21], off
	v_div_scale_f64 v[28:29], null, v[24:25], v[24:25], 1.0
	v_div_scale_f64 v[24:25], vcc_lo, 1.0, v[24:25], 1.0
	s_delay_alu instid0(VALU_DEP_2) | instskip(NEXT) | instid1(TRANS32_DEP_1)
	v_rcp_f64_e32 v[42:43], v[28:29]
	v_fma_f64 v[44:45], -v[28:29], v[42:43], 1.0
	s_delay_alu instid0(VALU_DEP_1) | instskip(NEXT) | instid1(VALU_DEP_1)
	v_fma_f64 v[42:43], v[42:43], v[44:45], v[42:43]
	v_fma_f64 v[48:49], -v[28:29], v[42:43], 1.0
	s_delay_alu instid0(VALU_DEP_1) | instskip(NEXT) | instid1(VALU_DEP_1)
	v_fma_f64 v[42:43], v[42:43], v[48:49], v[42:43]
	v_mul_f64_e32 v[48:49], v[24:25], v[42:43]
	s_delay_alu instid0(VALU_DEP_1) | instskip(SKIP_1) | instid1(VALU_DEP_1)
	v_fma_f64 v[24:25], -v[28:29], v[48:49], v[24:25]
	s_wait_alu 0xfffd
	v_div_fmas_f64 v[24:25], v[24:25], v[42:43], v[48:49]
	s_wait_loadcnt 0x0
	v_mul_f64_e32 v[30:31], v[30:31], v[30:31]
	s_delay_alu instid0(VALU_DEP_2) | instskip(NEXT) | instid1(VALU_DEP_2)
	v_div_fixup_f64 v[24:25], v[24:25], |v[6:7]|, 1.0
	v_fma_f64 v[40:41], v[32:33], v[32:33], -v[30:31]
	v_mul_f64_e32 v[32:33], v[32:33], v[32:33]
	s_delay_alu instid0(VALU_DEP_3) | instskip(NEXT) | instid1(VALU_DEP_3)
	v_add_f64_e32 v[1:2], v[24:25], v[1:2]
	v_add_f64_e32 v[40:41], v[40:41], v[40:41]
	s_delay_alu instid0(VALU_DEP_1) | instskip(SKIP_3) | instid1(TRANS32_DEP_1)
	v_div_scale_f64 v[46:47], null, v[22:23], v[22:23], v[40:41]
	v_div_scale_f64 v[28:29], s0, v[40:41], v[22:23], v[40:41]
	s_mov_b32 vcc_lo, s0
	v_rcp_f64_e32 v[44:45], v[46:47]
	v_fma_f64 v[50:51], -v[46:47], v[44:45], 1.0
	s_delay_alu instid0(VALU_DEP_1) | instskip(NEXT) | instid1(VALU_DEP_1)
	v_fma_f64 v[44:45], v[44:45], v[50:51], v[44:45]
	v_fma_f64 v[50:51], -v[46:47], v[44:45], 1.0
	s_delay_alu instid0(VALU_DEP_1) | instskip(NEXT) | instid1(VALU_DEP_1)
	v_fma_f64 v[44:45], v[44:45], v[50:51], v[44:45]
	v_mul_f64_e32 v[42:43], v[28:29], v[44:45]
	s_delay_alu instid0(VALU_DEP_1) | instskip(SKIP_1) | instid1(VALU_DEP_1)
	v_fma_f64 v[28:29], -v[46:47], v[42:43], v[28:29]
	s_wait_alu 0xfffe
	v_div_fmas_f64 v[42:43], v[28:29], v[44:45], v[42:43]
	v_add_f64_e32 v[28:29], v[1:2], v[26:27]
                                        ; implicit-def: $vgpr44_vgpr45
	s_delay_alu instid0(VALU_DEP_2) | instskip(NEXT) | instid1(VALU_DEP_2)
	v_div_fixup_f64 v[1:2], v[42:43], v[22:23], v[40:41]
	v_mul_f64_e32 v[46:47], v[22:23], v[28:29]
                                        ; implicit-def: $vgpr42_vgpr43
	s_delay_alu instid0(VALU_DEP_2) | instskip(NEXT) | instid1(VALU_DEP_1)
	v_add_f64_e32 v[1:2], v[28:29], v[1:2]
	v_cmp_lt_f64_e64 s3, 0, v[1:2]
	v_cmp_nlt_f64_e64 s0, 0, v[1:2]
                                        ; implicit-def: $vgpr1_vgpr2
	s_and_saveexec_b32 s1, s0
	s_wait_alu 0xfffe
	s_xor_b32 s2, exec_lo, s1
	s_cbranch_execz .LBB47_17
; %bb.12:
	v_mul_f64_e32 v[0:1], v[22:23], v[32:33]
	v_add_f64_e64 v[2:3], v[46:47], -v[30:31]
                                        ; implicit-def: $vgpr42_vgpr43
	s_delay_alu instid0(VALU_DEP_2) | instskip(NEXT) | instid1(VALU_DEP_2)
	v_mul_f64_e32 v[26:27], 4.0, v[0:1]
	v_add_f64_e64 v[2:3], v[2:3], -v[32:33]
	s_delay_alu instid0(VALU_DEP_2) | instskip(NEXT) | instid1(VALU_DEP_1)
	v_mul_f64_e32 v[26:27], v[28:29], v[26:27]
	v_fma_f64 v[26:27], v[2:3], v[2:3], v[26:27]
	s_delay_alu instid0(VALU_DEP_1) | instskip(SKIP_1) | instid1(VALU_DEP_1)
	v_cmp_gt_f64_e64 s1, 0x10000000, |v[26:27]|
	s_wait_alu 0xf1ff
	v_cndmask_b32_e64 v19, 0, 0x100, s1
	s_delay_alu instid0(VALU_DEP_1) | instskip(SKIP_2) | instid1(VALU_DEP_3)
	v_ldexp_f64 v[26:27], |v[26:27]|, v19
	v_cndmask_b32_e64 v19, 0, 0xffffff80, s1
	v_cmp_ngt_f64_e64 s1, 0, v[2:3]
	v_rsq_f64_e32 v[30:31], v[26:27]
	v_cmp_class_f64_e64 vcc_lo, v[26:27], 0x260
	s_delay_alu instid0(TRANS32_DEP_1) | instskip(SKIP_1) | instid1(VALU_DEP_1)
	v_mul_f64_e32 v[32:33], v[26:27], v[30:31]
	v_mul_f64_e32 v[30:31], 0.5, v[30:31]
	v_fma_f64 v[40:41], -v[30:31], v[32:33], 0.5
	s_delay_alu instid0(VALU_DEP_1) | instskip(SKIP_1) | instid1(VALU_DEP_2)
	v_fma_f64 v[32:33], v[32:33], v[40:41], v[32:33]
	v_fma_f64 v[30:31], v[30:31], v[40:41], v[30:31]
	v_fma_f64 v[40:41], -v[32:33], v[32:33], v[26:27]
	s_delay_alu instid0(VALU_DEP_1) | instskip(NEXT) | instid1(VALU_DEP_1)
	v_fma_f64 v[32:33], v[40:41], v[30:31], v[32:33]
	v_fma_f64 v[40:41], -v[32:33], v[32:33], v[26:27]
	s_delay_alu instid0(VALU_DEP_1) | instskip(NEXT) | instid1(VALU_DEP_1)
	v_fma_f64 v[30:31], v[40:41], v[30:31], v[32:33]
	v_ldexp_f64 v[30:31], v[30:31], v19
	s_wait_alu 0xfffd
	s_delay_alu instid0(VALU_DEP_1)
	v_dual_cndmask_b32 v27, v31, v27 :: v_dual_cndmask_b32 v26, v30, v26
	s_and_saveexec_b32 s4, s1
	s_wait_alu 0xfffe
	s_xor_b32 s1, exec_lo, s4
	s_cbranch_execz .LBB47_14
; %bb.13:
	v_add_f64_e32 v[0:1], v[2:3], v[26:27]
	v_add_f64_e32 v[2:3], v[28:29], v[28:29]
	s_delay_alu instid0(VALU_DEP_1) | instskip(NEXT) | instid1(VALU_DEP_1)
	v_div_scale_f64 v[26:27], null, v[2:3], v[2:3], -v[0:1]
	v_rcp_f64_e32 v[28:29], v[26:27]
	s_delay_alu instid0(TRANS32_DEP_1) | instskip(NEXT) | instid1(VALU_DEP_1)
	v_fma_f64 v[30:31], -v[26:27], v[28:29], 1.0
	v_fma_f64 v[28:29], v[28:29], v[30:31], v[28:29]
	s_delay_alu instid0(VALU_DEP_1) | instskip(NEXT) | instid1(VALU_DEP_1)
	v_fma_f64 v[30:31], -v[26:27], v[28:29], 1.0
	v_fma_f64 v[28:29], v[28:29], v[30:31], v[28:29]
	v_div_scale_f64 v[30:31], vcc_lo, -v[0:1], v[2:3], -v[0:1]
	s_delay_alu instid0(VALU_DEP_1) | instskip(NEXT) | instid1(VALU_DEP_1)
	v_mul_f64_e32 v[32:33], v[30:31], v[28:29]
	v_fma_f64 v[26:27], -v[26:27], v[32:33], v[30:31]
	s_wait_alu 0xfffd
	s_delay_alu instid0(VALU_DEP_1) | instskip(NEXT) | instid1(VALU_DEP_1)
	v_div_fmas_f64 v[26:27], v[26:27], v[28:29], v[32:33]
	v_div_fixup_f64 v[42:43], v[26:27], v[2:3], -v[0:1]
                                        ; implicit-def: $vgpr0_vgpr1
                                        ; implicit-def: $vgpr26_vgpr27
                                        ; implicit-def: $vgpr2_vgpr3
.LBB47_14:
	s_wait_alu 0xfffe
	s_and_not1_saveexec_b32 s1, s1
	s_cbranch_execz .LBB47_16
; %bb.15:
	v_add_f64_e32 v[0:1], v[0:1], v[0:1]
	v_add_f64_e64 v[2:3], v[2:3], -v[26:27]
	s_delay_alu instid0(VALU_DEP_1) | instskip(NEXT) | instid1(VALU_DEP_1)
	v_div_scale_f64 v[26:27], null, v[2:3], v[2:3], v[0:1]
	v_rcp_f64_e32 v[28:29], v[26:27]
	s_delay_alu instid0(TRANS32_DEP_1) | instskip(NEXT) | instid1(VALU_DEP_1)
	v_fma_f64 v[30:31], -v[26:27], v[28:29], 1.0
	v_fma_f64 v[28:29], v[28:29], v[30:31], v[28:29]
	s_delay_alu instid0(VALU_DEP_1) | instskip(NEXT) | instid1(VALU_DEP_1)
	v_fma_f64 v[30:31], -v[26:27], v[28:29], 1.0
	v_fma_f64 v[28:29], v[28:29], v[30:31], v[28:29]
	v_div_scale_f64 v[30:31], vcc_lo, v[0:1], v[2:3], v[0:1]
	s_delay_alu instid0(VALU_DEP_1) | instskip(NEXT) | instid1(VALU_DEP_1)
	v_mul_f64_e32 v[32:33], v[30:31], v[28:29]
	v_fma_f64 v[26:27], -v[26:27], v[32:33], v[30:31]
	s_wait_alu 0xfffd
	s_delay_alu instid0(VALU_DEP_1) | instskip(NEXT) | instid1(VALU_DEP_1)
	v_div_fmas_f64 v[26:27], v[26:27], v[28:29], v[32:33]
	v_div_fixup_f64 v[42:43], v[26:27], v[2:3], v[0:1]
.LBB47_16:
	s_wait_alu 0xfffe
	s_or_b32 exec_lo, exec_lo, s1
	v_mul_f64_e32 v[44:45], -0.5, v[22:23]
	s_delay_alu instid0(VALU_DEP_2)
	v_add_f64_e32 v[1:2], v[38:39], v[42:43]
                                        ; implicit-def: $vgpr46_vgpr47
                                        ; implicit-def: $vgpr30_vgpr31
                                        ; implicit-def: $vgpr32_vgpr33
                                        ; implicit-def: $vgpr28_vgpr29
                                        ; implicit-def: $vgpr0
.LBB47_17:
	s_wait_alu 0xfffe
	s_or_saveexec_b32 s2, s2
	v_mov_b32_e32 v40, 0
	v_dual_mov_b32 v41, 0 :: v_dual_mov_b32 v26, v38
	v_mov_b32_e32 v27, v39
	s_wait_alu 0xfffe
	s_xor_b32 exec_lo, exec_lo, s2
	s_cbranch_execz .LBB47_23
; %bb.18:
	v_mul_f64_e32 v[1:2], v[22:23], v[30:31]
	v_add_f64_e32 v[18:19], v[46:47], v[30:31]
                                        ; implicit-def: $vgpr42_vgpr43
	s_delay_alu instid0(VALU_DEP_2) | instskip(NEXT) | instid1(VALU_DEP_2)
	v_mul_f64_e32 v[26:27], -4.0, v[1:2]
	v_add_f64_e32 v[18:19], v[18:19], v[32:33]
	s_delay_alu instid0(VALU_DEP_2) | instskip(NEXT) | instid1(VALU_DEP_1)
	v_mul_f64_e32 v[26:27], v[28:29], v[26:27]
	v_fma_f64 v[26:27], v[18:19], v[18:19], v[26:27]
	s_delay_alu instid0(VALU_DEP_1) | instskip(SKIP_1) | instid1(VALU_DEP_1)
	v_cmp_gt_f64_e64 s1, 0x10000000, |v[26:27]|
	s_wait_alu 0xf1ff
	v_cndmask_b32_e64 v3, 0, 0x100, s1
	s_delay_alu instid0(VALU_DEP_1) | instskip(SKIP_2) | instid1(VALU_DEP_3)
	v_ldexp_f64 v[26:27], |v[26:27]|, v3
	v_cndmask_b32_e64 v3, 0, 0xffffff80, s1
	v_cmp_nlt_f64_e64 s1, 0, v[18:19]
	v_rsq_f64_e32 v[30:31], v[26:27]
	v_cmp_class_f64_e64 vcc_lo, v[26:27], 0x260
	s_delay_alu instid0(TRANS32_DEP_1) | instskip(SKIP_1) | instid1(VALU_DEP_1)
	v_mul_f64_e32 v[32:33], v[26:27], v[30:31]
	v_mul_f64_e32 v[30:31], 0.5, v[30:31]
	v_fma_f64 v[40:41], -v[30:31], v[32:33], 0.5
	s_delay_alu instid0(VALU_DEP_1) | instskip(SKIP_1) | instid1(VALU_DEP_2)
	v_fma_f64 v[32:33], v[32:33], v[40:41], v[32:33]
	v_fma_f64 v[30:31], v[30:31], v[40:41], v[30:31]
	v_fma_f64 v[40:41], -v[32:33], v[32:33], v[26:27]
	s_delay_alu instid0(VALU_DEP_1) | instskip(NEXT) | instid1(VALU_DEP_1)
	v_fma_f64 v[32:33], v[40:41], v[30:31], v[32:33]
	v_fma_f64 v[40:41], -v[32:33], v[32:33], v[26:27]
	s_delay_alu instid0(VALU_DEP_1) | instskip(NEXT) | instid1(VALU_DEP_1)
	v_fma_f64 v[30:31], v[40:41], v[30:31], v[32:33]
	v_ldexp_f64 v[30:31], v[30:31], v3
	s_wait_alu 0xfffd
	s_delay_alu instid0(VALU_DEP_1)
	v_dual_cndmask_b32 v27, v31, v27 :: v_dual_cndmask_b32 v26, v30, v26
	s_and_saveexec_b32 s4, s1
	s_wait_alu 0xfffe
	s_xor_b32 s1, exec_lo, s4
	s_cbranch_execz .LBB47_20
; %bb.19:
	v_add_f64_e64 v[1:2], v[18:19], -v[26:27]
	v_add_f64_e32 v[18:19], v[28:29], v[28:29]
	s_delay_alu instid0(VALU_DEP_1) | instskip(NEXT) | instid1(VALU_DEP_1)
	v_div_scale_f64 v[26:27], null, v[18:19], v[18:19], v[1:2]
	v_rcp_f64_e32 v[28:29], v[26:27]
	s_delay_alu instid0(TRANS32_DEP_1) | instskip(NEXT) | instid1(VALU_DEP_1)
	v_fma_f64 v[30:31], -v[26:27], v[28:29], 1.0
	v_fma_f64 v[28:29], v[28:29], v[30:31], v[28:29]
	s_delay_alu instid0(VALU_DEP_1) | instskip(NEXT) | instid1(VALU_DEP_1)
	v_fma_f64 v[30:31], -v[26:27], v[28:29], 1.0
	v_fma_f64 v[28:29], v[28:29], v[30:31], v[28:29]
	v_div_scale_f64 v[30:31], vcc_lo, v[1:2], v[18:19], v[1:2]
	s_delay_alu instid0(VALU_DEP_1) | instskip(NEXT) | instid1(VALU_DEP_1)
	v_mul_f64_e32 v[32:33], v[30:31], v[28:29]
	v_fma_f64 v[26:27], -v[26:27], v[32:33], v[30:31]
	s_wait_alu 0xfffd
	s_delay_alu instid0(VALU_DEP_1) | instskip(NEXT) | instid1(VALU_DEP_1)
	v_div_fmas_f64 v[26:27], v[26:27], v[28:29], v[32:33]
	v_div_fixup_f64 v[42:43], v[26:27], v[18:19], v[1:2]
                                        ; implicit-def: $vgpr1_vgpr2
                                        ; implicit-def: $vgpr18_vgpr19
                                        ; implicit-def: $vgpr26_vgpr27
.LBB47_20:
	s_wait_alu 0xfffe
	s_and_not1_saveexec_b32 s1, s1
	s_cbranch_execz .LBB47_22
; %bb.21:
	v_add_f64_e32 v[1:2], v[1:2], v[1:2]
	v_add_f64_e32 v[18:19], v[18:19], v[26:27]
	s_delay_alu instid0(VALU_DEP_1) | instskip(NEXT) | instid1(VALU_DEP_1)
	v_div_scale_f64 v[26:27], null, v[18:19], v[18:19], v[1:2]
	v_rcp_f64_e32 v[28:29], v[26:27]
	s_delay_alu instid0(TRANS32_DEP_1) | instskip(NEXT) | instid1(VALU_DEP_1)
	v_fma_f64 v[30:31], -v[26:27], v[28:29], 1.0
	v_fma_f64 v[28:29], v[28:29], v[30:31], v[28:29]
	s_delay_alu instid0(VALU_DEP_1) | instskip(NEXT) | instid1(VALU_DEP_1)
	v_fma_f64 v[30:31], -v[26:27], v[28:29], 1.0
	v_fma_f64 v[28:29], v[28:29], v[30:31], v[28:29]
	v_div_scale_f64 v[30:31], vcc_lo, v[1:2], v[18:19], v[1:2]
	s_delay_alu instid0(VALU_DEP_1) | instskip(NEXT) | instid1(VALU_DEP_1)
	v_mul_f64_e32 v[32:33], v[30:31], v[28:29]
	v_fma_f64 v[26:27], -v[26:27], v[32:33], v[30:31]
	s_wait_alu 0xfffd
	s_delay_alu instid0(VALU_DEP_1) | instskip(NEXT) | instid1(VALU_DEP_1)
	v_div_fmas_f64 v[26:27], v[26:27], v[28:29], v[32:33]
	v_div_fixup_f64 v[42:43], v[26:27], v[18:19], v[1:2]
.LBB47_22:
	s_wait_alu 0xfffe
	s_or_b32 exec_lo, exec_lo, s1
	v_mul_f64_e32 v[40:41], 0.5, v[22:23]
	s_delay_alu instid0(VALU_DEP_2)
	v_add_f64_e32 v[1:2], v[16:17], v[42:43]
	v_dual_mov_b32 v44, 0 :: v_dual_mov_b32 v27, v17
	v_dual_mov_b32 v45, 0 :: v_dual_mov_b32 v18, v0
	v_mov_b32_e32 v26, v16
.LBB47_23:
	s_or_b32 exec_lo, exec_lo, s2
	s_delay_alu instid0(SALU_CYCLE_1) | instskip(NEXT) | instid1(VALU_DEP_2)
	s_mov_b32 s2, exec_lo
	v_cmpx_lt_i32_e32 -1, v18
	s_cbranch_execz .LBB47_26
; %bb.24:
	v_dual_mov_b32 v29, v9 :: v_dual_add_nc_u32 v0, 1, v18
	v_mov_b32_e32 v28, v8
	s_mov_b32 s4, 0
.LBB47_25:                              ; =>This Inner Loop Header: Depth=1
	global_load_b64 v[30:31], v[28:29], off
	v_add_nc_u32_e32 v0, -1, v0
	s_delay_alu instid0(VALU_DEP_1)
	v_cmp_eq_u32_e32 vcc_lo, 0, v0
	s_wait_alu 0xfffe
	s_or_b32 s4, vcc_lo, s4
	s_wait_loadcnt 0x0
	v_add_f64_e64 v[30:31], v[30:31], -v[26:27]
	global_store_b64 v[28:29], v[30:31], off
	v_add_co_u32 v28, s1, v28, 8
	s_wait_alu 0xf1ff
	v_add_co_ci_u32_e64 v29, null, 0, v29, s1
	s_wait_alu 0xfffe
	s_and_not1_b32 exec_lo, exec_lo, s4
	s_cbranch_execnz .LBB47_25
.LBB47_26:
	s_wait_alu 0xfffe
	s_or_b32 exec_lo, exec_lo, s2
	v_cmp_le_i32_e64 s4, v14, v18
	v_cmp_gt_i32_e64 s1, v14, v18
	s_and_saveexec_b32 s5, s1
	s_cbranch_execz .LBB47_29
; %bb.27:
	v_lshlrev_b64_e32 v[28:29], 3, v[14:15]
	v_add_co_u32 v0, vcc_lo, s22, v34
	s_wait_alu 0xfffd
	v_add_co_ci_u32_e64 v3, null, s23, v35, vcc_lo
	s_add_nc_u64 s[24:25], s[10:11], s[20:21]
	v_add_co_u32 v0, vcc_lo, v0, v28
	s_wait_alu 0xfffd
	v_add_co_ci_u32_e64 v3, null, v3, v29, vcc_lo
	s_mov_b32 s6, 0
	v_add_co_u32 v28, vcc_lo, s24, v0
	s_wait_alu 0xfffd
	v_add_co_ci_u32_e64 v29, null, s25, v3, vcc_lo
	v_mov_b32_e32 v0, v14
.LBB47_28:                              ; =>This Inner Loop Header: Depth=1
	global_load_b64 v[30:31], v[28:29], off
	v_add_nc_u32_e32 v0, -1, v0
	s_delay_alu instid0(VALU_DEP_1)
	v_cmp_le_i32_e32 vcc_lo, v0, v18
	s_wait_alu 0xfffe
	s_or_b32 s6, vcc_lo, s6
	s_wait_loadcnt 0x0
	v_add_f64_e64 v[30:31], v[30:31], -v[26:27]
	global_store_b64 v[28:29], v[30:31], off
	v_add_co_u32 v28, s2, v28, -8
	s_wait_alu 0xf1ff
	v_add_co_ci_u32_e64 v29, null, -1, v29, s2
	s_wait_alu 0xfffe
	s_and_not1_b32 exec_lo, exec_lo, s6
	s_cbranch_execnz .LBB47_28
.LBB47_29:
	s_wait_alu 0xfffe
	s_or_b32 exec_lo, exec_lo, s5
	v_ashrrev_i32_e32 v19, 31, v18
	v_mov_b32_e32 v46, 0
	v_dual_mov_b32 v47, 0 :: v_dual_mov_b32 v50, 0
	v_mov_b32_e32 v54, 0
	s_delay_alu instid0(VALU_DEP_4)
	v_lshlrev_b64_e32 v[30:31], 3, v[18:19]
	v_mov_b32_e32 v51, 0
	v_mov_b32_e32 v55, 0
	v_cmp_lt_i32_e64 s2, 0, v18
	s_mov_b32 s24, 0
	v_add_co_u32 v28, vcc_lo, v8, v30
	s_wait_alu 0xfffd
	v_add_co_ci_u32_e64 v29, null, v9, v31, vcc_lo
	global_load_b64 v[32:33], v[28:29], off
	s_wait_loadcnt 0x0
	v_add_f64_e64 v[32:33], v[32:33], -v[42:43]
	global_store_b64 v[28:29], v[32:33], off
	s_and_saveexec_b32 s6, s2
	s_cbranch_execz .LBB47_33
; %bb.30:
	v_mov_b32_e32 v50, 0
	v_dual_mov_b32 v46, 0 :: v_dual_mov_b32 v33, v13
	v_dual_mov_b32 v51, 0 :: v_dual_mov_b32 v54, 0
	;; [unrolled: 1-line block ×5, first 2 shown]
.LBB47_31:                              ; =>This Inner Loop Header: Depth=1
	global_load_b64 v[52:53], v[48:49], off
	v_add_nc_u32_e32 v0, -1, v0
	s_wait_loadcnt 0x0
	v_add_f64_e64 v[52:53], v[52:53], -v[42:43]
	global_store_b64 v[48:49], v[52:53], off
	global_load_b64 v[56:57], v[32:33], off
	v_add_co_u32 v48, s5, v48, 8
	s_wait_alu 0xf1ff
	v_add_co_ci_u32_e64 v49, null, 0, v49, s5
	v_add_co_u32 v32, s5, v32, 8
	s_wait_alu 0xf1ff
	v_add_co_ci_u32_e64 v33, null, 0, v33, s5
	s_wait_loadcnt 0x0
	v_div_scale_f64 v[58:59], null, v[52:53], v[52:53], v[56:57]
	v_div_scale_f64 v[64:65], vcc_lo, v[56:57], v[52:53], v[56:57]
	s_delay_alu instid0(VALU_DEP_2) | instskip(NEXT) | instid1(TRANS32_DEP_1)
	v_rcp_f64_e32 v[60:61], v[58:59]
	v_fma_f64 v[62:63], -v[58:59], v[60:61], 1.0
	s_delay_alu instid0(VALU_DEP_1) | instskip(NEXT) | instid1(VALU_DEP_1)
	v_fma_f64 v[60:61], v[60:61], v[62:63], v[60:61]
	v_fma_f64 v[62:63], -v[58:59], v[60:61], 1.0
	s_delay_alu instid0(VALU_DEP_1) | instskip(NEXT) | instid1(VALU_DEP_1)
	v_fma_f64 v[60:61], v[60:61], v[62:63], v[60:61]
	v_mul_f64_e32 v[62:63], v[64:65], v[60:61]
	s_delay_alu instid0(VALU_DEP_1) | instskip(SKIP_1) | instid1(VALU_DEP_1)
	v_fma_f64 v[58:59], -v[58:59], v[62:63], v[64:65]
	s_wait_alu 0xfffd
	v_div_fmas_f64 v[58:59], v[58:59], v[60:61], v[62:63]
	v_cmp_eq_u32_e32 vcc_lo, 0, v0
	s_wait_alu 0xfffe
	s_or_b32 s24, vcc_lo, s24
	s_delay_alu instid0(VALU_DEP_2) | instskip(NEXT) | instid1(VALU_DEP_1)
	v_div_fixup_f64 v[52:53], v[58:59], v[52:53], v[56:57]
	v_fma_f64 v[54:55], v[56:57], v[52:53], v[54:55]
	v_fma_f64 v[46:47], v[52:53], v[52:53], v[46:47]
	s_delay_alu instid0(VALU_DEP_2)
	v_add_f64_e32 v[50:51], v[50:51], v[54:55]
	s_wait_alu 0xfffe
	s_and_not1_b32 exec_lo, exec_lo, s24
	s_cbranch_execnz .LBB47_31
; %bb.32:
	s_or_b32 exec_lo, exec_lo, s24
	s_delay_alu instid0(VALU_DEP_1)
	v_and_b32_e32 v51, 0x7fffffff, v51
.LBB47_33:
	s_wait_alu 0xfffe
	s_or_b32 exec_lo, exec_lo, s6
	v_mov_b32_e32 v52, 0
	v_dual_mov_b32 v53, 0 :: v_dual_mov_b32 v58, 0
	v_mov_b32_e32 v59, 0
	s_and_saveexec_b32 s6, s1
	s_cbranch_execz .LBB47_37
; %bb.34:
	v_lshlrev_b64_e32 v[32:33], 3, v[14:15]
	v_add_co_u32 v0, vcc_lo, s22, v34
	s_wait_alu 0xfffd
	v_add_co_ci_u32_e64 v3, null, s23, v35, vcc_lo
	s_add_nc_u64 s[24:25], s[18:19], s[16:17]
	v_add_co_u32 v0, vcc_lo, v0, v32
	s_wait_alu 0xfffd
	v_add_co_ci_u32_e64 v3, null, v3, v33, vcc_lo
	s_wait_alu 0xfffe
	v_add_co_u32 v19, vcc_lo, s24, v36
	s_wait_alu 0xfffd
	v_add_co_ci_u32_e64 v48, null, s25, v37, vcc_lo
	s_add_nc_u64 s[24:25], s[10:11], s[20:21]
	v_add_co_u32 v19, vcc_lo, v19, v32
	s_wait_alu 0xfffd
	v_add_co_ci_u32_e64 v49, null, v48, v33, vcc_lo
	s_wait_alu 0xfffe
	v_add_co_u32 v32, vcc_lo, s24, v0
	s_wait_alu 0xfffd
	v_add_co_ci_u32_e64 v33, null, s25, v3, vcc_lo
	v_add_co_u32 v48, vcc_lo, s8, v19
	v_mov_b32_e32 v52, 0
	v_dual_mov_b32 v53, 0 :: v_dual_mov_b32 v58, 0
	s_wait_alu 0xfffd
	v_add_co_ci_u32_e64 v49, null, s9, v49, vcc_lo
	v_dual_mov_b32 v59, 0 :: v_dual_mov_b32 v0, v14
	s_mov_b32 s24, 0
.LBB47_35:                              ; =>This Inner Loop Header: Depth=1
	global_load_b64 v[56:57], v[32:33], off
	v_add_nc_u32_e32 v0, -1, v0
	s_wait_loadcnt 0x0
	v_add_f64_e64 v[56:57], v[56:57], -v[42:43]
	global_store_b64 v[32:33], v[56:57], off
	global_load_b64 v[60:61], v[48:49], off
	v_add_co_u32 v32, s5, v32, -8
	s_wait_alu 0xf1ff
	v_add_co_ci_u32_e64 v33, null, -1, v33, s5
	v_add_co_u32 v48, s5, v48, -8
	s_wait_alu 0xf1ff
	v_add_co_ci_u32_e64 v49, null, -1, v49, s5
	s_wait_loadcnt 0x0
	v_div_scale_f64 v[62:63], null, v[56:57], v[56:57], v[60:61]
	v_div_scale_f64 v[68:69], vcc_lo, v[60:61], v[56:57], v[60:61]
	s_delay_alu instid0(VALU_DEP_2) | instskip(NEXT) | instid1(TRANS32_DEP_1)
	v_rcp_f64_e32 v[64:65], v[62:63]
	v_fma_f64 v[66:67], -v[62:63], v[64:65], 1.0
	s_delay_alu instid0(VALU_DEP_1) | instskip(NEXT) | instid1(VALU_DEP_1)
	v_fma_f64 v[64:65], v[64:65], v[66:67], v[64:65]
	v_fma_f64 v[66:67], -v[62:63], v[64:65], 1.0
	s_delay_alu instid0(VALU_DEP_1) | instskip(NEXT) | instid1(VALU_DEP_1)
	v_fma_f64 v[64:65], v[64:65], v[66:67], v[64:65]
	v_mul_f64_e32 v[66:67], v[68:69], v[64:65]
	s_delay_alu instid0(VALU_DEP_1) | instskip(SKIP_1) | instid1(VALU_DEP_1)
	v_fma_f64 v[62:63], -v[62:63], v[66:67], v[68:69]
	s_wait_alu 0xfffd
	v_div_fmas_f64 v[62:63], v[62:63], v[64:65], v[66:67]
	v_cmp_le_i32_e32 vcc_lo, v0, v18
	s_wait_alu 0xfffe
	s_or_b32 s24, vcc_lo, s24
	s_delay_alu instid0(VALU_DEP_2) | instskip(NEXT) | instid1(VALU_DEP_1)
	v_div_fixup_f64 v[56:57], v[62:63], v[56:57], v[60:61]
	v_fma_f64 v[58:59], v[60:61], v[56:57], v[58:59]
	v_fma_f64 v[52:53], v[56:57], v[56:57], v[52:53]
	s_delay_alu instid0(VALU_DEP_2)
	v_add_f64_e32 v[50:51], v[50:51], v[58:59]
	s_wait_alu 0xfffe
	s_and_not1_b32 exec_lo, exec_lo, s24
	s_cbranch_execnz .LBB47_35
; %bb.36:
	s_or_b32 exec_lo, exec_lo, s24
.LBB47_37:
	s_wait_alu 0xfffe
	s_or_b32 exec_lo, exec_lo, s6
	v_add_co_u32 v30, vcc_lo, v12, v30
	s_wait_alu 0xfffd
	v_add_co_ci_u32_e64 v31, null, v13, v31, vcc_lo
	s_mov_b32 s24, exec_lo
	global_load_b64 v[48:49], v[28:29], off
	global_load_b64 v[60:61], v[30:31], off
	s_wait_loadcnt 0x0
	v_div_scale_f64 v[32:33], null, v[48:49], v[48:49], v[60:61]
	v_div_scale_f64 v[64:65], vcc_lo, v[60:61], v[48:49], v[60:61]
	s_delay_alu instid0(VALU_DEP_2) | instskip(NEXT) | instid1(TRANS32_DEP_1)
	v_rcp_f64_e32 v[56:57], v[32:33]
	v_fma_f64 v[62:63], -v[32:33], v[56:57], 1.0
	s_delay_alu instid0(VALU_DEP_1) | instskip(NEXT) | instid1(VALU_DEP_1)
	v_fma_f64 v[56:57], v[56:57], v[62:63], v[56:57]
	v_fma_f64 v[62:63], -v[32:33], v[56:57], 1.0
	s_delay_alu instid0(VALU_DEP_1) | instskip(NEXT) | instid1(VALU_DEP_1)
	v_fma_f64 v[56:57], v[56:57], v[62:63], v[56:57]
	v_mul_f64_e32 v[62:63], v[64:65], v[56:57]
	s_delay_alu instid0(VALU_DEP_1) | instskip(SKIP_1) | instid1(VALU_DEP_1)
	v_fma_f64 v[32:33], -v[32:33], v[62:63], v[64:65]
	s_wait_alu 0xfffd
	v_div_fmas_f64 v[32:33], v[32:33], v[56:57], v[62:63]
	v_add_f64_e64 v[62:63], v[58:59], -v[54:55]
	v_add_f64_e32 v[56:57], v[46:47], v[52:53]
	v_add_f64_e32 v[54:55], v[24:25], v[54:55]
	s_delay_alu instid0(VALU_DEP_4) | instskip(SKIP_1) | instid1(VALU_DEP_3)
	v_div_fixup_f64 v[64:65], v[32:33], v[48:49], v[60:61]
	v_add_f64_e32 v[32:33], v[24:25], v[24:25]
	v_add_f64_e32 v[54:55], v[54:55], v[58:59]
	s_delay_alu instid0(VALU_DEP_3) | instskip(NEXT) | instid1(VALU_DEP_3)
	v_mul_f64_e32 v[46:47], v[60:61], v[64:65]
	v_fma_f64 v[62:63], 0x40200000, v[62:63], v[32:33]
	v_fma_f64 v[52:53], v[64:65], v[64:65], v[56:57]
	s_delay_alu instid0(VALU_DEP_2) | instskip(NEXT) | instid1(VALU_DEP_1)
	v_fma_f64 v[46:47], 0x40080000, |v[46:47]|, v[62:63]
	v_fma_f64 v[46:47], |v[42:43]|, v[52:53], v[46:47]
	s_delay_alu instid0(VALU_DEP_1) | instskip(SKIP_1) | instid1(VALU_DEP_2)
	v_add_f64_e32 v[46:47], v[50:51], v[46:47]
	v_fma_f64 v[50:51], v[60:61], v[64:65], v[54:55]
	v_mul_f64_e32 v[46:47], s[14:15], v[46:47]
	s_delay_alu instid0(VALU_DEP_1)
	v_cmpx_nle_f64_e64 |v[50:51]|, v[46:47]
	s_cbranch_execz .LBB47_125
; %bb.38:
	global_load_b128 v[0:3], v[10:11], off
                                        ; implicit-def: $vgpr58_vgpr59
	s_and_saveexec_b32 s5, s0
	s_wait_alu 0xfffe
	s_xor_b32 s5, exec_lo, s5
	s_cbranch_execz .LBB47_40
; %bb.39:
	global_load_b64 v[46:47], v[20:21], off offset:8
	s_wait_loadcnt 0x0
	v_mul_f64_e32 v[54:55], v[22:23], v[46:47]
	s_delay_alu instid0(VALU_DEP_1) | instskip(NEXT) | instid1(VALU_DEP_1)
	v_mul_f64_e32 v[46:47], v[46:47], v[54:55]
	v_div_scale_f64 v[54:55], null, v[2:3], v[2:3], v[46:47]
	v_div_scale_f64 v[62:63], vcc_lo, v[46:47], v[2:3], v[46:47]
	s_delay_alu instid0(VALU_DEP_2) | instskip(NEXT) | instid1(TRANS32_DEP_1)
	v_rcp_f64_e32 v[58:59], v[54:55]
	v_fma_f64 v[60:61], -v[54:55], v[58:59], 1.0
	s_delay_alu instid0(VALU_DEP_1) | instskip(NEXT) | instid1(VALU_DEP_1)
	v_fma_f64 v[58:59], v[58:59], v[60:61], v[58:59]
	v_fma_f64 v[60:61], -v[54:55], v[58:59], 1.0
	s_delay_alu instid0(VALU_DEP_1) | instskip(NEXT) | instid1(VALU_DEP_1)
	v_fma_f64 v[58:59], v[58:59], v[60:61], v[58:59]
	v_mul_f64_e32 v[60:61], v[62:63], v[58:59]
	s_delay_alu instid0(VALU_DEP_1) | instskip(SKIP_1) | instid1(VALU_DEP_1)
	v_fma_f64 v[54:55], -v[54:55], v[60:61], v[62:63]
	s_wait_alu 0xfffd
	v_div_fmas_f64 v[54:55], v[54:55], v[58:59], v[60:61]
	s_delay_alu instid0(VALU_DEP_1) | instskip(NEXT) | instid1(VALU_DEP_1)
	v_div_fixup_f64 v[46:47], v[54:55], v[2:3], v[46:47]
	v_div_scale_f64 v[54:55], null, v[2:3], v[2:3], v[46:47]
	s_delay_alu instid0(VALU_DEP_1) | instskip(NEXT) | instid1(TRANS32_DEP_1)
	v_rcp_f64_e32 v[58:59], v[54:55]
	v_fma_f64 v[60:61], -v[54:55], v[58:59], 1.0
	s_delay_alu instid0(VALU_DEP_1) | instskip(NEXT) | instid1(VALU_DEP_1)
	v_fma_f64 v[58:59], v[58:59], v[60:61], v[58:59]
	v_fma_f64 v[60:61], -v[54:55], v[58:59], 1.0
	s_delay_alu instid0(VALU_DEP_1) | instskip(SKIP_1) | instid1(VALU_DEP_1)
	v_fma_f64 v[58:59], v[58:59], v[60:61], v[58:59]
	v_div_scale_f64 v[60:61], vcc_lo, v[46:47], v[2:3], v[46:47]
	v_mul_f64_e32 v[62:63], v[60:61], v[58:59]
	s_delay_alu instid0(VALU_DEP_1) | instskip(SKIP_1) | instid1(VALU_DEP_1)
	v_fma_f64 v[54:55], -v[54:55], v[62:63], v[60:61]
	s_wait_alu 0xfffd
	v_div_fmas_f64 v[54:55], v[54:55], v[58:59], v[62:63]
	v_fma_f64 v[58:59], -v[52:53], v[0:1], v[50:51]
	s_delay_alu instid0(VALU_DEP_2) | instskip(NEXT) | instid1(VALU_DEP_1)
	v_div_fixup_f64 v[46:47], v[54:55], v[2:3], v[46:47]
	v_add_f64_e64 v[58:59], v[58:59], -v[46:47]
.LBB47_40:
	s_wait_alu 0xfffe
	s_or_saveexec_b32 s5, s5
	v_add_f64_e64 v[16:17], v[16:17], -v[38:39]
	s_wait_alu 0xfffe
	s_xor_b32 exec_lo, exec_lo, s5
	s_cbranch_execz .LBB47_42
; %bb.41:
	global_load_b64 v[38:39], v[20:21], off
	s_wait_loadcnt 0x0
	v_mul_f64_e32 v[46:47], v[16:17], v[38:39]
	s_delay_alu instid0(VALU_DEP_1) | instskip(NEXT) | instid1(VALU_DEP_1)
	v_mul_f64_e32 v[38:39], v[38:39], v[46:47]
	v_div_scale_f64 v[46:47], null, v[0:1], v[0:1], v[38:39]
	v_div_scale_f64 v[60:61], vcc_lo, v[38:39], v[0:1], v[38:39]
	s_delay_alu instid0(VALU_DEP_2) | instskip(NEXT) | instid1(TRANS32_DEP_1)
	v_rcp_f64_e32 v[54:55], v[46:47]
	v_fma_f64 v[58:59], -v[46:47], v[54:55], 1.0
	s_delay_alu instid0(VALU_DEP_1) | instskip(NEXT) | instid1(VALU_DEP_1)
	v_fma_f64 v[54:55], v[54:55], v[58:59], v[54:55]
	v_fma_f64 v[58:59], -v[46:47], v[54:55], 1.0
	s_delay_alu instid0(VALU_DEP_1) | instskip(NEXT) | instid1(VALU_DEP_1)
	v_fma_f64 v[54:55], v[54:55], v[58:59], v[54:55]
	v_mul_f64_e32 v[58:59], v[60:61], v[54:55]
	s_delay_alu instid0(VALU_DEP_1) | instskip(SKIP_1) | instid1(VALU_DEP_1)
	v_fma_f64 v[46:47], -v[46:47], v[58:59], v[60:61]
	s_wait_alu 0xfffd
	v_div_fmas_f64 v[46:47], v[46:47], v[54:55], v[58:59]
	s_delay_alu instid0(VALU_DEP_1) | instskip(NEXT) | instid1(VALU_DEP_1)
	v_div_fixup_f64 v[38:39], v[46:47], v[0:1], v[38:39]
	v_div_scale_f64 v[46:47], null, v[0:1], v[0:1], v[38:39]
	s_delay_alu instid0(VALU_DEP_1) | instskip(NEXT) | instid1(TRANS32_DEP_1)
	v_rcp_f64_e32 v[54:55], v[46:47]
	v_fma_f64 v[58:59], -v[46:47], v[54:55], 1.0
	s_delay_alu instid0(VALU_DEP_1) | instskip(NEXT) | instid1(VALU_DEP_1)
	v_fma_f64 v[54:55], v[54:55], v[58:59], v[54:55]
	v_fma_f64 v[58:59], -v[46:47], v[54:55], 1.0
	s_delay_alu instid0(VALU_DEP_1) | instskip(SKIP_1) | instid1(VALU_DEP_1)
	v_fma_f64 v[54:55], v[54:55], v[58:59], v[54:55]
	v_div_scale_f64 v[58:59], vcc_lo, v[38:39], v[0:1], v[38:39]
	v_mul_f64_e32 v[60:61], v[58:59], v[54:55]
	s_delay_alu instid0(VALU_DEP_1) | instskip(SKIP_1) | instid1(VALU_DEP_1)
	v_fma_f64 v[46:47], -v[46:47], v[60:61], v[58:59]
	s_wait_alu 0xfffd
	v_div_fmas_f64 v[46:47], v[46:47], v[54:55], v[60:61]
	v_fma_f64 v[54:55], -v[52:53], v[2:3], v[50:51]
	s_delay_alu instid0(VALU_DEP_2) | instskip(NEXT) | instid1(VALU_DEP_1)
	v_div_fixup_f64 v[38:39], v[46:47], v[0:1], v[38:39]
	v_add_f64_e64 v[58:59], v[54:55], -v[38:39]
.LBB47_42:
	s_or_b32 exec_lo, exec_lo, s5
	s_wait_loadcnt 0x0
	v_mul_f64_e32 v[38:39], v[0:1], v[2:3]
	v_add_f64_e32 v[46:47], v[0:1], v[2:3]
	s_mov_b32 s5, exec_lo
	s_delay_alu instid0(VALU_DEP_2) | instskip(SKIP_1) | instid1(VALU_DEP_2)
	v_mul_f64_e32 v[54:55], v[52:53], v[38:39]
	v_mul_f64_e32 v[38:39], v[50:51], v[38:39]
	v_fma_f64 v[54:55], v[50:51], v[46:47], -v[54:55]
                                        ; implicit-def: $vgpr46_vgpr47
	v_cmpx_neq_f64_e32 0, v[58:59]
	s_wait_alu 0xfffe
	s_xor_b32 s6, exec_lo, s5
	s_cbranch_execz .LBB47_48
; %bb.43:
	s_delay_alu instid0(VALU_DEP_3) | instskip(NEXT) | instid1(VALU_DEP_1)
	v_mul_f64_e32 v[0:1], -4.0, v[38:39]
	v_mul_f64_e32 v[0:1], v[0:1], v[58:59]
	s_delay_alu instid0(VALU_DEP_1) | instskip(NEXT) | instid1(VALU_DEP_1)
	v_fma_f64 v[0:1], v[54:55], v[54:55], v[0:1]
	v_cmp_gt_f64_e64 s5, 0x10000000, |v[0:1]|
	s_wait_alu 0xf1ff
	s_delay_alu instid0(VALU_DEP_1) | instskip(SKIP_2) | instid1(VALU_DEP_3)
	v_cndmask_b32_e64 v2, 0, 0x100, s5
	v_cndmask_b32_e64 v19, 0, 0xffffff80, s5
	v_cmp_ge_f64_e64 s5, 0, v[54:55]
	v_ldexp_f64 v[0:1], |v[0:1]|, v2
	s_delay_alu instid0(VALU_DEP_1) | instskip(SKIP_1) | instid1(TRANS32_DEP_1)
	v_rsq_f64_e32 v[2:3], v[0:1]
	v_cmp_class_f64_e64 vcc_lo, v[0:1], 0x260
	v_mul_f64_e32 v[46:47], v[0:1], v[2:3]
	v_mul_f64_e32 v[2:3], 0.5, v[2:3]
	s_delay_alu instid0(VALU_DEP_1) | instskip(NEXT) | instid1(VALU_DEP_1)
	v_fma_f64 v[56:57], -v[2:3], v[46:47], 0.5
	v_fma_f64 v[46:47], v[46:47], v[56:57], v[46:47]
	v_fma_f64 v[2:3], v[2:3], v[56:57], v[2:3]
	s_delay_alu instid0(VALU_DEP_2) | instskip(NEXT) | instid1(VALU_DEP_1)
	v_fma_f64 v[56:57], -v[46:47], v[46:47], v[0:1]
	v_fma_f64 v[46:47], v[56:57], v[2:3], v[46:47]
	s_delay_alu instid0(VALU_DEP_1) | instskip(NEXT) | instid1(VALU_DEP_1)
	v_fma_f64 v[56:57], -v[46:47], v[46:47], v[0:1]
	v_fma_f64 v[2:3], v[56:57], v[2:3], v[46:47]
                                        ; implicit-def: $vgpr46_vgpr47
	s_delay_alu instid0(VALU_DEP_1) | instskip(SKIP_1) | instid1(VALU_DEP_1)
	v_ldexp_f64 v[2:3], v[2:3], v19
	s_wait_alu 0xfffd
	v_dual_cndmask_b32 v1, v3, v1 :: v_dual_cndmask_b32 v0, v2, v0
	s_and_saveexec_b32 s25, s5
	s_wait_alu 0xfffe
	s_xor_b32 s5, exec_lo, s25
	s_cbranch_execz .LBB47_45
; %bb.44:
	v_add_f64_e64 v[0:1], v[54:55], -v[0:1]
	v_add_f64_e32 v[2:3], v[58:59], v[58:59]
	s_delay_alu instid0(VALU_DEP_1) | instskip(NEXT) | instid1(VALU_DEP_1)
	v_div_scale_f64 v[38:39], null, v[2:3], v[2:3], v[0:1]
	v_rcp_f64_e32 v[46:47], v[38:39]
	s_delay_alu instid0(TRANS32_DEP_1) | instskip(NEXT) | instid1(VALU_DEP_1)
	v_fma_f64 v[54:55], -v[38:39], v[46:47], 1.0
	v_fma_f64 v[46:47], v[46:47], v[54:55], v[46:47]
	s_delay_alu instid0(VALU_DEP_1) | instskip(NEXT) | instid1(VALU_DEP_1)
	v_fma_f64 v[54:55], -v[38:39], v[46:47], 1.0
	v_fma_f64 v[46:47], v[46:47], v[54:55], v[46:47]
	v_div_scale_f64 v[54:55], vcc_lo, v[0:1], v[2:3], v[0:1]
	s_delay_alu instid0(VALU_DEP_1) | instskip(NEXT) | instid1(VALU_DEP_1)
	v_mul_f64_e32 v[56:57], v[54:55], v[46:47]
	v_fma_f64 v[38:39], -v[38:39], v[56:57], v[54:55]
                                        ; implicit-def: $vgpr54_vgpr55
	s_wait_alu 0xfffd
	s_delay_alu instid0(VALU_DEP_1) | instskip(NEXT) | instid1(VALU_DEP_1)
	v_div_fmas_f64 v[38:39], v[38:39], v[46:47], v[56:57]
	v_div_fixup_f64 v[46:47], v[38:39], v[2:3], v[0:1]
                                        ; implicit-def: $vgpr38_vgpr39
                                        ; implicit-def: $vgpr0_vgpr1
.LBB47_45:
	s_wait_alu 0xfffe
	s_and_not1_saveexec_b32 s5, s5
	s_cbranch_execz .LBB47_47
; %bb.46:
	v_add_f64_e32 v[2:3], v[38:39], v[38:39]
	v_add_f64_e32 v[0:1], v[54:55], v[0:1]
	s_delay_alu instid0(VALU_DEP_1) | instskip(NEXT) | instid1(VALU_DEP_1)
	v_div_scale_f64 v[38:39], null, v[0:1], v[0:1], v[2:3]
	v_rcp_f64_e32 v[46:47], v[38:39]
	s_delay_alu instid0(TRANS32_DEP_1) | instskip(NEXT) | instid1(VALU_DEP_1)
	v_fma_f64 v[54:55], -v[38:39], v[46:47], 1.0
	v_fma_f64 v[46:47], v[46:47], v[54:55], v[46:47]
	s_delay_alu instid0(VALU_DEP_1) | instskip(NEXT) | instid1(VALU_DEP_1)
	v_fma_f64 v[54:55], -v[38:39], v[46:47], 1.0
	v_fma_f64 v[46:47], v[46:47], v[54:55], v[46:47]
	v_div_scale_f64 v[54:55], vcc_lo, v[2:3], v[0:1], v[2:3]
	s_delay_alu instid0(VALU_DEP_1) | instskip(NEXT) | instid1(VALU_DEP_1)
	v_mul_f64_e32 v[56:57], v[54:55], v[46:47]
	v_fma_f64 v[38:39], -v[38:39], v[56:57], v[54:55]
	s_wait_alu 0xfffd
	s_delay_alu instid0(VALU_DEP_1) | instskip(NEXT) | instid1(VALU_DEP_1)
	v_div_fmas_f64 v[38:39], v[38:39], v[46:47], v[56:57]
	v_div_fixup_f64 v[46:47], v[38:39], v[0:1], v[2:3]
.LBB47_47:
	s_wait_alu 0xfffe
	s_or_b32 exec_lo, exec_lo, s5
                                        ; implicit-def: $vgpr54_vgpr55
                                        ; implicit-def: $vgpr38_vgpr39
                                        ; implicit-def: $vgpr2_vgpr3
                                        ; implicit-def: $vgpr56_vgpr57
.LBB47_48:
	s_wait_alu 0xfffe
	s_and_not1_saveexec_b32 s5, s6
	s_cbranch_execz .LBB47_56
; %bb.49:
	s_mov_b32 s6, exec_lo
	s_delay_alu instid0(VALU_DEP_2)
	v_cmpx_eq_f64_e32 0, v[54:55]
	s_cbranch_execz .LBB47_55
; %bb.50:
                                        ; implicit-def: $vgpr54_vgpr55
	s_and_saveexec_b32 s25, s0
	s_wait_alu 0xfffe
	s_xor_b32 s25, exec_lo, s25
	s_cbranch_execz .LBB47_52
; %bb.51:
	global_load_b64 v[2:3], v[20:21], off offset:8
	v_mul_f64_e32 v[0:1], v[0:1], v[0:1]
	s_wait_loadcnt 0x0
	v_mul_f64_e32 v[2:3], v[2:3], v[2:3]
	s_delay_alu instid0(VALU_DEP_1)
	v_fma_f64 v[54:55], v[56:57], v[0:1], v[2:3]
                                        ; implicit-def: $vgpr2_vgpr3
                                        ; implicit-def: $vgpr56_vgpr57
.LBB47_52:
	s_wait_alu 0xfffe
	s_and_not1_saveexec_b32 s25, s25
	s_cbranch_execz .LBB47_54
; %bb.53:
	global_load_b64 v[0:1], v[20:21], off
	v_mul_f64_e32 v[2:3], v[2:3], v[2:3]
	s_wait_loadcnt 0x0
	v_mul_f64_e32 v[0:1], v[0:1], v[0:1]
	s_delay_alu instid0(VALU_DEP_1)
	v_fma_f64 v[54:55], v[56:57], v[2:3], v[0:1]
.LBB47_54:
	s_wait_alu 0xfffe
	s_or_b32 exec_lo, exec_lo, s25
.LBB47_55:
	s_wait_alu 0xfffe
	s_or_b32 exec_lo, exec_lo, s6
	s_delay_alu instid0(VALU_DEP_1) | instskip(NEXT) | instid1(VALU_DEP_1)
	v_div_scale_f64 v[0:1], null, v[54:55], v[54:55], v[38:39]
	v_rcp_f64_e32 v[2:3], v[0:1]
	s_delay_alu instid0(TRANS32_DEP_1) | instskip(NEXT) | instid1(VALU_DEP_1)
	v_fma_f64 v[46:47], -v[0:1], v[2:3], 1.0
	v_fma_f64 v[2:3], v[2:3], v[46:47], v[2:3]
	s_delay_alu instid0(VALU_DEP_1) | instskip(NEXT) | instid1(VALU_DEP_1)
	v_fma_f64 v[46:47], -v[0:1], v[2:3], 1.0
	v_fma_f64 v[2:3], v[2:3], v[46:47], v[2:3]
	v_div_scale_f64 v[46:47], vcc_lo, v[38:39], v[54:55], v[38:39]
	s_delay_alu instid0(VALU_DEP_1) | instskip(NEXT) | instid1(VALU_DEP_1)
	v_mul_f64_e32 v[56:57], v[46:47], v[2:3]
	v_fma_f64 v[0:1], -v[0:1], v[56:57], v[46:47]
	s_wait_alu 0xfffd
	s_delay_alu instid0(VALU_DEP_1) | instskip(NEXT) | instid1(VALU_DEP_1)
	v_div_fmas_f64 v[0:1], v[0:1], v[2:3], v[56:57]
	v_div_fixup_f64 v[46:47], v[0:1], v[54:55], v[38:39]
.LBB47_56:
	s_wait_alu 0xfffe
	s_or_b32 exec_lo, exec_lo, s5
	s_delay_alu instid0(VALU_DEP_1) | instskip(SKIP_1) | instid1(VALU_DEP_1)
	v_mul_f64_e32 v[0:1], v[50:51], v[46:47]
	s_mov_b32 s5, exec_lo
	v_cmpx_le_f64_e32 0, v[0:1]
	s_cbranch_execz .LBB47_58
; %bb.57:
	v_div_scale_f64 v[0:1], null, v[52:53], v[52:53], -v[50:51]
	s_delay_alu instid0(VALU_DEP_1) | instskip(NEXT) | instid1(TRANS32_DEP_1)
	v_rcp_f64_e32 v[2:3], v[0:1]
	v_fma_f64 v[38:39], -v[0:1], v[2:3], 1.0
	s_delay_alu instid0(VALU_DEP_1) | instskip(NEXT) | instid1(VALU_DEP_1)
	v_fma_f64 v[2:3], v[2:3], v[38:39], v[2:3]
	v_fma_f64 v[38:39], -v[0:1], v[2:3], 1.0
	s_delay_alu instid0(VALU_DEP_1) | instskip(SKIP_1) | instid1(VALU_DEP_1)
	v_fma_f64 v[2:3], v[2:3], v[38:39], v[2:3]
	v_div_scale_f64 v[38:39], vcc_lo, -v[50:51], v[52:53], -v[50:51]
	v_mul_f64_e32 v[46:47], v[38:39], v[2:3]
	s_delay_alu instid0(VALU_DEP_1) | instskip(SKIP_1) | instid1(VALU_DEP_1)
	v_fma_f64 v[0:1], -v[0:1], v[46:47], v[38:39]
	s_wait_alu 0xfffd
	v_div_fmas_f64 v[0:1], v[0:1], v[2:3], v[46:47]
	s_delay_alu instid0(VALU_DEP_1)
	v_div_fixup_f64 v[46:47], v[0:1], v[52:53], -v[50:51]
.LBB47_58:
	s_wait_alu 0xfffe
	s_or_b32 exec_lo, exec_lo, s5
	v_cmp_lt_f64_e32 vcc_lo, v[44:45], v[42:43]
	v_cmp_lt_f64_e64 s5, 0, v[50:51]
	v_cmp_lt_f64_e64 s6, v[42:43], v[40:41]
	s_delay_alu instid0(VALU_DEP_4)
	v_add_f64_e32 v[0:1], v[42:43], v[46:47]
	s_wait_alu 0xfffd
	v_dual_cndmask_b32 v2, v44, v42 :: v_dual_cndmask_b32 v3, v45, v43
	v_cmp_nge_f64_e32 vcc_lo, 0, v[50:51]
	s_and_b32 s5, s5, s6
	s_wait_alu 0xfffe
	v_cndmask_b32_e64 v41, v41, v43, s5
	v_cndmask_b32_e64 v40, v40, v42, s5
	s_wait_alu 0xfffd
	v_dual_cndmask_b32 v39, v3, v45 :: v_dual_cndmask_b32 v38, v2, v44
	s_delay_alu instid0(VALU_DEP_2) | instskip(NEXT) | instid1(VALU_DEP_2)
	v_cmp_gt_f64_e32 vcc_lo, v[0:1], v[40:41]
	v_cmp_lt_f64_e64 s5, v[0:1], v[38:39]
	s_or_b32 s6, vcc_lo, s5
	s_wait_alu 0xfffe
	s_and_saveexec_b32 s5, s6
	s_cbranch_execz .LBB47_64
; %bb.59:
	s_mov_b32 s6, exec_lo
                                        ; implicit-def: $vgpr46_vgpr47
	v_cmpx_ngt_f64_e32 0, v[50:51]
	s_wait_alu 0xfffe
	s_xor_b32 s6, exec_lo, s6
	s_cbranch_execz .LBB47_61
; %bb.60:
	v_add_f64_e64 v[0:1], v[38:39], -v[42:43]
	s_delay_alu instid0(VALU_DEP_1)
	v_mul_f64_e32 v[46:47], 0.5, v[0:1]
.LBB47_61:
	s_wait_alu 0xfffe
	s_and_not1_saveexec_b32 s6, s6
	s_cbranch_execz .LBB47_63
; %bb.62:
	v_add_f64_e64 v[0:1], v[40:41], -v[42:43]
	s_delay_alu instid0(VALU_DEP_1)
	v_mul_f64_e32 v[46:47], 0.5, v[0:1]
.LBB47_63:
	s_wait_alu 0xfffe
	s_or_b32 exec_lo, exec_lo, s6
.LBB47_64:
	s_wait_alu 0xfffe
	s_or_b32 exec_lo, exec_lo, s5
	s_delay_alu instid0(VALU_DEP_1)
	v_add_f64_e64 v[48:49], v[48:49], -v[46:47]
	v_mov_b32_e32 v44, 0
	v_dual_mov_b32 v45, 0 :: v_dual_mov_b32 v0, 0
	v_dual_mov_b32 v2, 0 :: v_dual_mov_b32 v1, 0
	v_mov_b32_e32 v3, 0
	global_store_b64 v[28:29], v[48:49], off
	s_and_saveexec_b32 s6, s2
	s_cbranch_execz .LBB47_68
; %bb.65:
	v_mov_b32_e32 v0, 0
	v_dual_mov_b32 v44, 0 :: v_dual_mov_b32 v49, v13
	v_dual_mov_b32 v1, 0 :: v_dual_mov_b32 v2, 0
	;; [unrolled: 1-line block ×4, first 2 shown]
	v_mov_b32_e32 v3, 0
	v_mov_b32_e32 v19, v18
	s_mov_b32 s25, 0
.LBB47_66:                              ; =>This Inner Loop Header: Depth=1
	global_load_b64 v[54:55], v[52:53], off
	v_add_nc_u32_e32 v19, -1, v19
	s_wait_loadcnt 0x0
	v_add_f64_e64 v[54:55], v[54:55], -v[46:47]
	global_store_b64 v[52:53], v[54:55], off
	global_load_b64 v[56:57], v[48:49], off
	v_add_co_u32 v52, s5, v52, 8
	s_wait_alu 0xf1ff
	v_add_co_ci_u32_e64 v53, null, 0, v53, s5
	v_add_co_u32 v48, s5, v48, 8
	s_wait_alu 0xf1ff
	v_add_co_ci_u32_e64 v49, null, 0, v49, s5
	s_wait_loadcnt 0x0
	v_div_scale_f64 v[58:59], null, v[54:55], v[54:55], v[56:57]
	v_div_scale_f64 v[64:65], vcc_lo, v[56:57], v[54:55], v[56:57]
	s_delay_alu instid0(VALU_DEP_2) | instskip(NEXT) | instid1(TRANS32_DEP_1)
	v_rcp_f64_e32 v[60:61], v[58:59]
	v_fma_f64 v[62:63], -v[58:59], v[60:61], 1.0
	s_delay_alu instid0(VALU_DEP_1) | instskip(NEXT) | instid1(VALU_DEP_1)
	v_fma_f64 v[60:61], v[60:61], v[62:63], v[60:61]
	v_fma_f64 v[62:63], -v[58:59], v[60:61], 1.0
	s_delay_alu instid0(VALU_DEP_1) | instskip(NEXT) | instid1(VALU_DEP_1)
	v_fma_f64 v[60:61], v[60:61], v[62:63], v[60:61]
	v_mul_f64_e32 v[62:63], v[64:65], v[60:61]
	s_delay_alu instid0(VALU_DEP_1) | instskip(SKIP_1) | instid1(VALU_DEP_1)
	v_fma_f64 v[58:59], -v[58:59], v[62:63], v[64:65]
	s_wait_alu 0xfffd
	v_div_fmas_f64 v[58:59], v[58:59], v[60:61], v[62:63]
	v_cmp_eq_u32_e32 vcc_lo, 0, v19
	s_wait_alu 0xfffe
	s_or_b32 s25, vcc_lo, s25
	s_delay_alu instid0(VALU_DEP_2) | instskip(NEXT) | instid1(VALU_DEP_1)
	v_div_fixup_f64 v[54:55], v[58:59], v[54:55], v[56:57]
	v_fma_f64 v[2:3], v[56:57], v[54:55], v[2:3]
	v_fma_f64 v[44:45], v[54:55], v[54:55], v[44:45]
	s_delay_alu instid0(VALU_DEP_2)
	v_add_f64_e32 v[0:1], v[0:1], v[2:3]
	s_wait_alu 0xfffe
	s_and_not1_b32 exec_lo, exec_lo, s25
	s_cbranch_execnz .LBB47_66
; %bb.67:
	s_or_b32 exec_lo, exec_lo, s25
	s_delay_alu instid0(VALU_DEP_1)
	v_and_b32_e32 v1, 0x7fffffff, v1
.LBB47_68:
	s_wait_alu 0xfffe
	s_or_b32 exec_lo, exec_lo, s6
                                        ; implicit-def: $vgpr56_vgpr57
                                        ; implicit-def: $vgpr58_vgpr59
	s_and_saveexec_b32 s5, s4
	s_wait_alu 0xfffe
	s_xor_b32 s4, exec_lo, s5
	s_cbranch_execz .LBB47_70
; %bb.69:
	v_lshlrev_b64_e32 v[48:49], 3, v[14:15]
	v_add_co_u32 v15, vcc_lo, s22, v34
	s_wait_alu 0xfffd
	v_add_co_ci_u32_e64 v19, null, s23, v35, vcc_lo
	s_add_nc_u64 s[26:27], s[18:19], s[16:17]
	v_add_co_u32 v15, vcc_lo, v15, v48
	s_wait_alu 0xfffd
	v_add_co_ci_u32_e64 v19, null, v19, v49, vcc_lo
	v_add_co_u32 v34, vcc_lo, s26, v36
	s_wait_alu 0xfffd
	v_add_co_ci_u32_e64 v35, null, s27, v37, vcc_lo
	v_add_co_u32 v56, vcc_lo, v15, s20
	s_wait_alu 0xfffd
	v_add_co_ci_u32_e64 v57, null, s21, v19, vcc_lo
	v_add_co_u32 v58, vcc_lo, v34, v48
	s_wait_alu 0xfffd
	v_add_co_ci_u32_e64 v59, null, v35, v49, vcc_lo
                                        ; implicit-def: $vgpr34_vgpr35
                                        ; implicit-def: $vgpr36_vgpr37
.LBB47_70:
	s_wait_alu 0xfffe
	s_or_saveexec_b32 s5, s4
	v_mov_b32_e32 v52, 0
	v_dual_mov_b32 v53, 0 :: v_dual_mov_b32 v54, 0
	v_mov_b32_e32 v55, 0
	s_wait_alu 0xfffe
	s_xor_b32 exec_lo, exec_lo, s5
	s_cbranch_execz .LBB47_74
; %bb.71:
	v_lshlrev_b64_e32 v[48:49], 3, v[14:15]
	v_add_co_u32 v15, vcc_lo, s22, v34
	s_wait_alu 0xfffd
	v_add_co_ci_u32_e64 v19, null, s23, v35, vcc_lo
	s_add_nc_u64 s[16:17], s[18:19], s[16:17]
	v_add_co_u32 v15, vcc_lo, v15, v48
	s_wait_alu 0xfffd
	v_add_co_ci_u32_e64 v19, null, v19, v49, vcc_lo
	v_add_co_u32 v34, vcc_lo, s16, v36
	s_wait_alu 0xfffd
	v_add_co_ci_u32_e64 v35, null, s17, v37, vcc_lo
	;; [unrolled: 3-line block ×5, first 2 shown]
	v_add_co_u32 v36, vcc_lo, s8, v58
	v_mov_b32_e32 v52, 0
	v_dual_mov_b32 v53, 0 :: v_dual_mov_b32 v54, 0
	s_wait_alu 0xfffd
	v_add_co_ci_u32_e64 v37, null, s9, v59, vcc_lo
	v_mov_b32_e32 v55, 0
	v_mov_b32_e32 v15, v14
	s_mov_b32 s6, 0
.LBB47_72:                              ; =>This Inner Loop Header: Depth=1
	global_load_b64 v[48:49], v[34:35], off
	v_add_nc_u32_e32 v15, -1, v15
	s_wait_loadcnt 0x0
	v_add_f64_e64 v[48:49], v[48:49], -v[46:47]
	global_store_b64 v[34:35], v[48:49], off
	global_load_b64 v[60:61], v[36:37], off
	v_add_co_u32 v34, s4, v34, -8
	s_wait_alu 0xf1ff
	v_add_co_ci_u32_e64 v35, null, -1, v35, s4
	v_add_co_u32 v36, s4, v36, -8
	s_wait_alu 0xf1ff
	v_add_co_ci_u32_e64 v37, null, -1, v37, s4
	s_wait_loadcnt 0x0
	v_div_scale_f64 v[62:63], null, v[48:49], v[48:49], v[60:61]
	v_div_scale_f64 v[68:69], vcc_lo, v[60:61], v[48:49], v[60:61]
	s_delay_alu instid0(VALU_DEP_2) | instskip(NEXT) | instid1(TRANS32_DEP_1)
	v_rcp_f64_e32 v[64:65], v[62:63]
	v_fma_f64 v[66:67], -v[62:63], v[64:65], 1.0
	s_delay_alu instid0(VALU_DEP_1) | instskip(NEXT) | instid1(VALU_DEP_1)
	v_fma_f64 v[64:65], v[64:65], v[66:67], v[64:65]
	v_fma_f64 v[66:67], -v[62:63], v[64:65], 1.0
	s_delay_alu instid0(VALU_DEP_1) | instskip(NEXT) | instid1(VALU_DEP_1)
	v_fma_f64 v[64:65], v[64:65], v[66:67], v[64:65]
	v_mul_f64_e32 v[66:67], v[68:69], v[64:65]
	s_delay_alu instid0(VALU_DEP_1) | instskip(SKIP_1) | instid1(VALU_DEP_1)
	v_fma_f64 v[62:63], -v[62:63], v[66:67], v[68:69]
	s_wait_alu 0xfffd
	v_div_fmas_f64 v[62:63], v[62:63], v[64:65], v[66:67]
	v_cmp_le_i32_e32 vcc_lo, v15, v18
	s_wait_alu 0xfffe
	s_or_b32 s6, vcc_lo, s6
	s_delay_alu instid0(VALU_DEP_2) | instskip(NEXT) | instid1(VALU_DEP_1)
	v_div_fixup_f64 v[48:49], v[62:63], v[48:49], v[60:61]
	v_fma_f64 v[54:55], v[60:61], v[48:49], v[54:55]
	v_fma_f64 v[52:53], v[48:49], v[48:49], v[52:53]
	s_delay_alu instid0(VALU_DEP_2)
	v_add_f64_e32 v[0:1], v[0:1], v[54:55]
	s_wait_alu 0xfffe
	s_and_not1_b32 exec_lo, exec_lo, s6
	s_cbranch_execnz .LBB47_72
; %bb.73:
	s_or_b32 exec_lo, exec_lo, s6
.LBB47_74:
	s_delay_alu instid0(SALU_CYCLE_1)
	s_or_b32 exec_lo, exec_lo, s5
	global_load_b64 v[36:37], v[30:31], off
	global_load_b64 v[48:49], v[28:29], off
	v_dual_mov_b32 v64, v50 :: v_dual_and_b32 v65, 0x7fffffff, v51
	s_mov_b32 s6, 1
	s_mov_b32 s5, 0
	s_wait_loadcnt 0x0
	v_div_scale_f64 v[34:35], null, v[48:49], v[48:49], v[36:37]
	v_div_scale_f64 v[70:71], vcc_lo, v[36:37], v[48:49], v[36:37]
	s_delay_alu instid0(VALU_DEP_2) | instskip(NEXT) | instid1(TRANS32_DEP_1)
	v_rcp_f64_e32 v[60:61], v[34:35]
	v_fma_f64 v[62:63], -v[34:35], v[60:61], 1.0
	s_delay_alu instid0(VALU_DEP_1) | instskip(SKIP_1) | instid1(VALU_DEP_2)
	v_fma_f64 v[60:61], v[60:61], v[62:63], v[60:61]
	v_div_scale_f64 v[62:63], null, 0x40240000, 0x40240000, v[64:65]
	v_fma_f64 v[66:67], -v[34:35], v[60:61], 1.0
	s_delay_alu instid0(VALU_DEP_2) | instskip(NEXT) | instid1(VALU_DEP_1)
	v_rcp_f64_e32 v[68:69], v[62:63]
	v_fma_f64 v[60:61], v[60:61], v[66:67], v[60:61]
	s_delay_alu instid0(TRANS32_DEP_1) | instskip(NEXT) | instid1(VALU_DEP_2)
	v_fma_f64 v[66:67], -v[62:63], v[68:69], 1.0
	v_mul_f64_e32 v[72:73], v[70:71], v[60:61]
	s_delay_alu instid0(VALU_DEP_2) | instskip(NEXT) | instid1(VALU_DEP_2)
	v_fma_f64 v[66:67], v[68:69], v[66:67], v[68:69]
	v_fma_f64 v[34:35], -v[34:35], v[72:73], v[70:71]
	s_delay_alu instid0(VALU_DEP_2) | instskip(SKIP_1) | instid1(VALU_DEP_2)
	v_fma_f64 v[68:69], -v[62:63], v[66:67], 1.0
	s_wait_alu 0xfffd
	v_div_fmas_f64 v[34:35], v[34:35], v[60:61], v[72:73]
	v_div_scale_f64 v[64:65], vcc_lo, v[64:65], 0x40240000, v[64:65]
	s_delay_alu instid0(VALU_DEP_3)
	v_fma_f64 v[66:67], v[66:67], v[68:69], v[66:67]
	v_add_f64_e64 v[68:69], v[54:55], -v[2:3]
	v_add_f64_e32 v[2:3], v[24:25], v[2:3]
	v_add_f64_e32 v[72:73], v[44:45], v[52:53]
	v_div_fixup_f64 v[60:61], v[34:35], v[48:49], v[36:37]
	v_add_f64_e32 v[34:35], v[42:43], v[46:47]
	v_mul_f64_e32 v[70:71], v[64:65], v[66:67]
	v_fma_f64 v[68:69], 0x40200000, v[68:69], v[32:33]
	v_add_f64_e32 v[2:3], v[2:3], v[54:55]
	v_mul_f64_e32 v[74:75], v[36:37], v[60:61]
	v_fma_f64 v[54:55], v[60:61], v[60:61], v[72:73]
	v_fma_f64 v[62:63], -v[62:63], v[70:71], v[64:65]
	s_delay_alu instid0(VALU_DEP_4) | instskip(NEXT) | instid1(VALU_DEP_4)
	v_fma_f64 v[46:47], v[36:37], v[60:61], v[2:3]
	v_fma_f64 v[42:43], 0x40080000, |v[74:75]|, v[68:69]
	s_wait_alu 0xfffd
	s_delay_alu instid0(VALU_DEP_3) | instskip(NEXT) | instid1(VALU_DEP_3)
	v_div_fmas_f64 v[62:63], v[62:63], v[66:67], v[70:71]
	v_xor_b32_e32 v15, 0x80000000, v47
	s_delay_alu instid0(VALU_DEP_3) | instskip(SKIP_1) | instid1(VALU_DEP_3)
	v_fma_f64 v[2:3], |v[34:35]|, v[54:55], v[42:43]
	v_mov_b32_e32 v42, v46
	v_cndmask_b32_e64 v43, v47, v15, s3
	v_div_fixup_f64 v[36:37], v[62:63], 0x40240000, |v[50:51]|
	s_delay_alu instid0(VALU_DEP_4) | instskip(NEXT) | instid1(VALU_DEP_2)
	v_add_f64_e32 v[0:1], v[0:1], v[2:3]
	v_cmp_gt_f64_e64 s16, v[42:43], v[36:37]
	v_add_co_u32 v36, vcc_lo, s10, v56
	s_wait_alu 0xfffd
	v_add_co_ci_u32_e64 v37, null, s11, v57, vcc_lo
	v_add_co_u32 v42, vcc_lo, s8, v58
	s_wait_alu 0xfffd
	v_add_co_ci_u32_e64 v43, null, s9, v59, vcc_lo
                                        ; implicit-def: $sgpr8
	s_branch .LBB47_77
.LBB47_75:                              ;   in Loop: Header=BB47_77 Depth=1
	s_wait_alu 0xfffe
	s_or_b32 exec_lo, exec_lo, s4
	global_load_b64 v[56:57], v[30:31], off
	global_load_b64 v[48:49], v[28:29], off
	v_dual_mov_b32 v64, v46 :: v_dual_and_b32 v65, 0x7fffffff, v47
	v_add_f64_e32 v[34:35], v[34:35], v[50:51]
	s_add_co_i32 s6, s6, 1
	s_delay_alu instid0(VALU_DEP_2) | instskip(SKIP_4) | instid1(VALU_DEP_2)
	v_div_scale_f64 v[66:67], null, 0x40240000, 0x40240000, v[64:65]
	v_div_scale_f64 v[64:65], s3, v[64:65], 0x40240000, v[64:65]
	s_wait_loadcnt 0x0
	v_div_scale_f64 v[58:59], null, v[48:49], v[48:49], v[56:57]
	v_div_scale_f64 v[72:73], vcc_lo, v[56:57], v[48:49], v[56:57]
	v_rcp_f64_e32 v[60:61], v[58:59]
	s_delay_alu instid0(TRANS32_DEP_1) | instskip(NEXT) | instid1(VALU_DEP_1)
	v_fma_f64 v[62:63], -v[58:59], v[60:61], 1.0
	v_fma_f64 v[60:61], v[60:61], v[62:63], v[60:61]
	v_rcp_f64_e32 v[62:63], v[66:67]
	s_delay_alu instid0(VALU_DEP_1) | instskip(NEXT) | instid1(TRANS32_DEP_1)
	v_fma_f64 v[68:69], -v[58:59], v[60:61], 1.0
	v_fma_f64 v[70:71], -v[66:67], v[62:63], 1.0
	s_delay_alu instid0(VALU_DEP_2) | instskip(NEXT) | instid1(VALU_DEP_2)
	v_fma_f64 v[60:61], v[60:61], v[68:69], v[60:61]
	v_fma_f64 v[62:63], v[62:63], v[70:71], v[62:63]
	s_delay_alu instid0(VALU_DEP_2) | instskip(NEXT) | instid1(VALU_DEP_2)
	v_mul_f64_e32 v[68:69], v[72:73], v[60:61]
	v_fma_f64 v[70:71], -v[66:67], v[62:63], 1.0
	s_delay_alu instid0(VALU_DEP_2) | instskip(NEXT) | instid1(VALU_DEP_2)
	v_fma_f64 v[58:59], -v[58:59], v[68:69], v[72:73]
	v_fma_f64 v[62:63], v[62:63], v[70:71], v[62:63]
	s_wait_alu 0xfffd
	s_delay_alu instid0(VALU_DEP_2) | instskip(SKIP_2) | instid1(VALU_DEP_4)
	v_div_fmas_f64 v[58:59], v[58:59], v[60:61], v[68:69]
	v_add_f64_e32 v[68:69], v[24:25], v[2:3]
	v_add_f64_e64 v[2:3], v[54:55], -v[2:3]
	v_mul_f64_e32 v[70:71], v[64:65], v[62:63]
	s_mov_b32 vcc_lo, s3
	s_delay_alu instid0(VALU_DEP_4) | instskip(NEXT) | instid1(VALU_DEP_4)
	v_div_fixup_f64 v[60:61], v[58:59], v[48:49], v[56:57]
	v_add_f64_e32 v[54:55], v[68:69], v[54:55]
	s_delay_alu instid0(VALU_DEP_4) | instskip(NEXT) | instid1(VALU_DEP_4)
	v_fma_f64 v[2:3], 0x40200000, v[2:3], v[32:33]
	v_fma_f64 v[58:59], -v[66:67], v[70:71], v[64:65]
	v_add_f64_e32 v[64:65], v[44:45], v[52:53]
	v_mul_f64_e32 v[66:67], v[56:57], v[60:61]
	v_fma_f64 v[56:57], v[56:57], v[60:61], v[54:55]
	s_wait_alu 0xfffe
	s_delay_alu instid0(VALU_DEP_4) | instskip(NEXT) | instid1(VALU_DEP_4)
	v_div_fmas_f64 v[58:59], v[58:59], v[62:63], v[70:71]
	v_fma_f64 v[54:55], v[60:61], v[60:61], v[64:65]
	s_delay_alu instid0(VALU_DEP_4) | instskip(NEXT) | instid1(VALU_DEP_4)
	v_fma_f64 v[2:3], 0x40080000, |v[66:67]|, v[2:3]
	v_mul_f64_e32 v[50:51], v[46:47], v[56:57]
	s_delay_alu instid0(VALU_DEP_4) | instskip(NEXT) | instid1(VALU_DEP_3)
	v_div_fixup_f64 v[46:47], v[58:59], 0x40240000, |v[46:47]|
	v_fma_f64 v[2:3], |v[34:35]|, v[54:55], v[2:3]
	s_delay_alu instid0(VALU_DEP_3) | instskip(NEXT) | instid1(VALU_DEP_3)
	v_cmp_lt_f64_e32 vcc_lo, 0, v[50:51]
	v_cmp_gt_f64_e64 s3, |v[56:57]|, v[46:47]
	v_dual_mov_b32 v46, v56 :: v_dual_mov_b32 v47, v57
	s_delay_alu instid0(VALU_DEP_4)
	v_add_f64_e32 v[0:1], v[0:1], v[2:3]
	s_and_b32 s3, vcc_lo, s3
	s_wait_alu 0xfffe
	s_xor_b32 s3, s16, s3
	s_cmp_eq_u32 s6, 50
                                        ; implicit-def: $sgpr16
	s_cselect_b32 s4, -1, 0
	s_and_not1_b32 s8, s8, exec_lo
	s_wait_alu 0xfffe
	s_and_b32 s4, s4, exec_lo
	s_wait_alu 0xfffe
	s_or_b32 s8, s8, s4
.LBB47_76:                              ;   in Loop: Header=BB47_77 Depth=1
	s_wait_alu 0xfffe
	s_or_b32 exec_lo, exec_lo, s9
	s_delay_alu instid0(SALU_CYCLE_1)
	s_and_b32 s4, exec_lo, s8
	s_wait_alu 0xfffe
	s_or_b32 s5, s4, s5
	s_and_not1_b32 s4, s16, exec_lo
	s_and_b32 s3, s3, exec_lo
	s_wait_alu 0xfffe
	s_or_b32 s16, s4, s3
	s_and_not1_b32 exec_lo, exec_lo, s5
	s_cbranch_execz .LBB47_124
.LBB47_77:                              ; =>This Loop Header: Depth=1
                                        ;     Child Loop BB47_118 Depth 2
                                        ;     Child Loop BB47_122 Depth 2
	s_delay_alu instid0(VALU_DEP_1) | instskip(SKIP_1) | instid1(VALU_DEP_1)
	v_mul_f64_e32 v[0:1], s[14:15], v[0:1]
	s_or_b32 s8, s8, exec_lo
                                        ; implicit-def: $sgpr3
	v_cmp_nle_f64_e64 s4, |v[46:47]|, v[0:1]
                                        ; implicit-def: $vgpr0_vgpr1
	s_and_saveexec_b32 s9, s4
	s_cbranch_execz .LBB47_76
; %bb.78:                               ;   in Loop: Header=BB47_77 Depth=1
	global_load_b128 v[0:3], v[10:11], off
	s_wait_alu 0xfffe
	s_xor_b32 s4, s16, -1
                                        ; implicit-def: $vgpr62_vgpr63
	s_wait_alu 0xfffe
	s_and_saveexec_b32 s3, s4
	s_wait_alu 0xfffe
	s_xor_b32 s3, exec_lo, s3
	s_cbranch_execz .LBB47_84
; %bb.79:                               ;   in Loop: Header=BB47_77 Depth=1
	v_mul_f64_e32 v[50:51], v[60:61], v[60:61]
	s_and_saveexec_b32 s10, s0
	s_wait_alu 0xfffe
	s_xor_b32 s10, exec_lo, s10
	s_cbranch_execz .LBB47_81
; %bb.80:                               ;   in Loop: Header=BB47_77 Depth=1
	s_delay_alu instid0(VALU_DEP_1)
	v_add_f64_e32 v[52:53], v[50:51], v[52:53]
                                        ; implicit-def: $vgpr50_vgpr51
.LBB47_81:                              ;   in Loop: Header=BB47_77 Depth=1
	s_wait_alu 0xfffe
	s_and_not1_saveexec_b32 s10, s10
	s_cbranch_execz .LBB47_83
; %bb.82:                               ;   in Loop: Header=BB47_77 Depth=1
	s_delay_alu instid0(VALU_DEP_1)
	v_add_f64_e32 v[44:45], v[50:51], v[44:45]
.LBB47_83:                              ;   in Loop: Header=BB47_77 Depth=1
	s_wait_alu 0xfffe
	s_or_b32 exec_lo, exec_lo, s10
	s_wait_loadcnt 0x0
	s_delay_alu instid0(VALU_DEP_1) | instskip(NEXT) | instid1(VALU_DEP_1)
	v_fma_f64 v[50:51], -v[0:1], v[44:45], v[46:47]
	v_fma_f64 v[62:63], -v[2:3], v[52:53], v[50:51]
.LBB47_84:                              ;   in Loop: Header=BB47_77 Depth=1
	s_wait_alu 0xfffe
	s_and_not1_saveexec_b32 s3, s3
	s_cbranch_execz .LBB47_90
; %bb.85:                               ;   in Loop: Header=BB47_77 Depth=1
                                        ; implicit-def: $vgpr62_vgpr63
	s_and_saveexec_b32 s10, s0
	s_wait_alu 0xfffe
	s_xor_b32 s10, exec_lo, s10
	s_cbranch_execz .LBB47_87
; %bb.86:                               ;   in Loop: Header=BB47_77 Depth=1
	global_load_b64 v[50:51], v[20:21], off offset:8
	s_wait_loadcnt 0x0
	v_mul_f64_e32 v[56:57], v[22:23], v[50:51]
	s_delay_alu instid0(VALU_DEP_1) | instskip(NEXT) | instid1(VALU_DEP_1)
	v_mul_f64_e32 v[50:51], v[50:51], v[56:57]
	v_div_scale_f64 v[56:57], null, v[2:3], v[2:3], v[50:51]
	v_div_scale_f64 v[62:63], vcc_lo, v[50:51], v[2:3], v[50:51]
	s_delay_alu instid0(VALU_DEP_2) | instskip(NEXT) | instid1(TRANS32_DEP_1)
	v_rcp_f64_e32 v[58:59], v[56:57]
	v_fma_f64 v[60:61], -v[56:57], v[58:59], 1.0
	s_delay_alu instid0(VALU_DEP_1) | instskip(NEXT) | instid1(VALU_DEP_1)
	v_fma_f64 v[58:59], v[58:59], v[60:61], v[58:59]
	v_fma_f64 v[60:61], -v[56:57], v[58:59], 1.0
	s_delay_alu instid0(VALU_DEP_1) | instskip(NEXT) | instid1(VALU_DEP_1)
	v_fma_f64 v[58:59], v[58:59], v[60:61], v[58:59]
	v_mul_f64_e32 v[60:61], v[62:63], v[58:59]
	s_delay_alu instid0(VALU_DEP_1) | instskip(SKIP_1) | instid1(VALU_DEP_1)
	v_fma_f64 v[56:57], -v[56:57], v[60:61], v[62:63]
	s_wait_alu 0xfffd
	v_div_fmas_f64 v[56:57], v[56:57], v[58:59], v[60:61]
	s_delay_alu instid0(VALU_DEP_1) | instskip(NEXT) | instid1(VALU_DEP_1)
	v_div_fixup_f64 v[50:51], v[56:57], v[2:3], v[50:51]
	v_div_scale_f64 v[56:57], null, v[2:3], v[2:3], v[50:51]
	s_delay_alu instid0(VALU_DEP_1) | instskip(NEXT) | instid1(TRANS32_DEP_1)
	v_rcp_f64_e32 v[58:59], v[56:57]
	v_fma_f64 v[60:61], -v[56:57], v[58:59], 1.0
	s_delay_alu instid0(VALU_DEP_1) | instskip(NEXT) | instid1(VALU_DEP_1)
	v_fma_f64 v[58:59], v[58:59], v[60:61], v[58:59]
	v_fma_f64 v[60:61], -v[56:57], v[58:59], 1.0
	s_delay_alu instid0(VALU_DEP_1) | instskip(SKIP_1) | instid1(VALU_DEP_1)
	v_fma_f64 v[58:59], v[58:59], v[60:61], v[58:59]
	v_div_scale_f64 v[60:61], vcc_lo, v[50:51], v[2:3], v[50:51]
	v_mul_f64_e32 v[62:63], v[60:61], v[58:59]
	s_delay_alu instid0(VALU_DEP_1) | instskip(SKIP_1) | instid1(VALU_DEP_1)
	v_fma_f64 v[56:57], -v[56:57], v[62:63], v[60:61]
	s_wait_alu 0xfffd
	v_div_fmas_f64 v[56:57], v[56:57], v[58:59], v[62:63]
	v_fma_f64 v[58:59], -v[54:55], v[0:1], v[46:47]
	s_delay_alu instid0(VALU_DEP_2) | instskip(NEXT) | instid1(VALU_DEP_1)
	v_div_fixup_f64 v[50:51], v[56:57], v[2:3], v[50:51]
	v_add_f64_e64 v[62:63], v[58:59], -v[50:51]
.LBB47_87:                              ;   in Loop: Header=BB47_77 Depth=1
	s_wait_alu 0xfffe
	s_and_not1_saveexec_b32 s10, s10
	s_cbranch_execz .LBB47_89
; %bb.88:                               ;   in Loop: Header=BB47_77 Depth=1
	global_load_b64 v[50:51], v[20:21], off
	s_wait_loadcnt 0x0
	v_mul_f64_e32 v[56:57], v[16:17], v[50:51]
	s_delay_alu instid0(VALU_DEP_1) | instskip(NEXT) | instid1(VALU_DEP_1)
	v_mul_f64_e32 v[50:51], v[50:51], v[56:57]
	v_div_scale_f64 v[56:57], null, v[0:1], v[0:1], v[50:51]
	v_div_scale_f64 v[62:63], vcc_lo, v[50:51], v[0:1], v[50:51]
	s_delay_alu instid0(VALU_DEP_2) | instskip(NEXT) | instid1(TRANS32_DEP_1)
	v_rcp_f64_e32 v[58:59], v[56:57]
	v_fma_f64 v[60:61], -v[56:57], v[58:59], 1.0
	s_delay_alu instid0(VALU_DEP_1) | instskip(NEXT) | instid1(VALU_DEP_1)
	v_fma_f64 v[58:59], v[58:59], v[60:61], v[58:59]
	v_fma_f64 v[60:61], -v[56:57], v[58:59], 1.0
	s_delay_alu instid0(VALU_DEP_1) | instskip(NEXT) | instid1(VALU_DEP_1)
	v_fma_f64 v[58:59], v[58:59], v[60:61], v[58:59]
	v_mul_f64_e32 v[60:61], v[62:63], v[58:59]
	s_delay_alu instid0(VALU_DEP_1) | instskip(SKIP_1) | instid1(VALU_DEP_1)
	v_fma_f64 v[56:57], -v[56:57], v[60:61], v[62:63]
	s_wait_alu 0xfffd
	v_div_fmas_f64 v[56:57], v[56:57], v[58:59], v[60:61]
	s_delay_alu instid0(VALU_DEP_1) | instskip(NEXT) | instid1(VALU_DEP_1)
	v_div_fixup_f64 v[50:51], v[56:57], v[0:1], v[50:51]
	v_div_scale_f64 v[56:57], null, v[0:1], v[0:1], v[50:51]
	s_delay_alu instid0(VALU_DEP_1) | instskip(NEXT) | instid1(TRANS32_DEP_1)
	v_rcp_f64_e32 v[58:59], v[56:57]
	v_fma_f64 v[60:61], -v[56:57], v[58:59], 1.0
	s_delay_alu instid0(VALU_DEP_1) | instskip(NEXT) | instid1(VALU_DEP_1)
	v_fma_f64 v[58:59], v[58:59], v[60:61], v[58:59]
	v_fma_f64 v[60:61], -v[56:57], v[58:59], 1.0
	s_delay_alu instid0(VALU_DEP_1) | instskip(SKIP_1) | instid1(VALU_DEP_1)
	v_fma_f64 v[58:59], v[58:59], v[60:61], v[58:59]
	v_div_scale_f64 v[60:61], vcc_lo, v[50:51], v[0:1], v[50:51]
	v_mul_f64_e32 v[62:63], v[60:61], v[58:59]
	s_delay_alu instid0(VALU_DEP_1) | instskip(SKIP_1) | instid1(VALU_DEP_1)
	v_fma_f64 v[56:57], -v[56:57], v[62:63], v[60:61]
	s_wait_alu 0xfffd
	v_div_fmas_f64 v[56:57], v[56:57], v[58:59], v[62:63]
	v_fma_f64 v[58:59], -v[54:55], v[2:3], v[46:47]
	s_delay_alu instid0(VALU_DEP_2) | instskip(NEXT) | instid1(VALU_DEP_1)
	v_div_fixup_f64 v[50:51], v[56:57], v[0:1], v[50:51]
	v_add_f64_e64 v[62:63], v[58:59], -v[50:51]
.LBB47_89:                              ;   in Loop: Header=BB47_77 Depth=1
	s_wait_alu 0xfffe
	s_or_b32 exec_lo, exec_lo, s10
.LBB47_90:                              ;   in Loop: Header=BB47_77 Depth=1
	s_wait_alu 0xfffe
	s_or_b32 exec_lo, exec_lo, s3
	s_wait_loadcnt 0x0
	v_mul_f64_e32 v[50:51], v[0:1], v[2:3]
	v_add_f64_e32 v[58:59], v[0:1], v[2:3]
	s_mov_b32 s3, exec_lo
	s_delay_alu instid0(VALU_DEP_2) | instskip(SKIP_1) | instid1(VALU_DEP_2)
	v_mul_f64_e32 v[60:61], v[54:55], v[50:51]
	v_mul_f64_e32 v[56:57], v[46:47], v[50:51]
                                        ; implicit-def: $vgpr50_vgpr51
	v_fma_f64 v[58:59], v[46:47], v[58:59], -v[60:61]
	v_cmpx_neq_f64_e32 0, v[62:63]
	s_wait_alu 0xfffe
	s_xor_b32 s10, exec_lo, s3
	s_cbranch_execz .LBB47_96
; %bb.91:                               ;   in Loop: Header=BB47_77 Depth=1
	s_delay_alu instid0(VALU_DEP_3) | instskip(NEXT) | instid1(VALU_DEP_1)
	v_mul_f64_e32 v[0:1], -4.0, v[56:57]
	v_mul_f64_e32 v[0:1], v[0:1], v[62:63]
	s_delay_alu instid0(VALU_DEP_1) | instskip(NEXT) | instid1(VALU_DEP_1)
	v_fma_f64 v[0:1], v[58:59], v[58:59], v[0:1]
	v_cmp_gt_f64_e64 s3, 0x10000000, |v[0:1]|
	s_wait_alu 0xf1ff
	s_delay_alu instid0(VALU_DEP_1) | instskip(SKIP_2) | instid1(VALU_DEP_3)
	v_cndmask_b32_e64 v2, 0, 0x100, s3
	v_cndmask_b32_e64 v15, 0, 0xffffff80, s3
	v_cmp_ge_f64_e64 s3, 0, v[58:59]
	v_ldexp_f64 v[0:1], |v[0:1]|, v2
	s_delay_alu instid0(VALU_DEP_1) | instskip(SKIP_1) | instid1(TRANS32_DEP_1)
	v_rsq_f64_e32 v[2:3], v[0:1]
	v_cmp_class_f64_e64 vcc_lo, v[0:1], 0x260
	v_mul_f64_e32 v[44:45], v[0:1], v[2:3]
	v_mul_f64_e32 v[2:3], 0.5, v[2:3]
	s_delay_alu instid0(VALU_DEP_1) | instskip(NEXT) | instid1(VALU_DEP_1)
	v_fma_f64 v[50:51], -v[2:3], v[44:45], 0.5
	v_fma_f64 v[44:45], v[44:45], v[50:51], v[44:45]
	v_fma_f64 v[2:3], v[2:3], v[50:51], v[2:3]
	s_delay_alu instid0(VALU_DEP_2) | instskip(NEXT) | instid1(VALU_DEP_1)
	v_fma_f64 v[50:51], -v[44:45], v[44:45], v[0:1]
	v_fma_f64 v[44:45], v[50:51], v[2:3], v[44:45]
	s_delay_alu instid0(VALU_DEP_1) | instskip(NEXT) | instid1(VALU_DEP_1)
	v_fma_f64 v[50:51], -v[44:45], v[44:45], v[0:1]
	v_fma_f64 v[2:3], v[50:51], v[2:3], v[44:45]
                                        ; implicit-def: $vgpr50_vgpr51
	s_delay_alu instid0(VALU_DEP_1) | instskip(SKIP_1) | instid1(VALU_DEP_1)
	v_ldexp_f64 v[2:3], v[2:3], v15
	s_wait_alu 0xfffd
	v_dual_cndmask_b32 v1, v3, v1 :: v_dual_cndmask_b32 v0, v2, v0
	s_and_saveexec_b32 s11, s3
	s_wait_alu 0xfffe
	s_xor_b32 s3, exec_lo, s11
	s_cbranch_execz .LBB47_93
; %bb.92:                               ;   in Loop: Header=BB47_77 Depth=1
	v_add_f64_e64 v[0:1], v[58:59], -v[0:1]
	v_add_f64_e32 v[2:3], v[62:63], v[62:63]
                                        ; implicit-def: $vgpr58_vgpr59
	s_delay_alu instid0(VALU_DEP_1) | instskip(NEXT) | instid1(VALU_DEP_1)
	v_div_scale_f64 v[44:45], null, v[2:3], v[2:3], v[0:1]
	v_rcp_f64_e32 v[50:51], v[44:45]
	s_delay_alu instid0(TRANS32_DEP_1) | instskip(NEXT) | instid1(VALU_DEP_1)
	v_fma_f64 v[52:53], -v[44:45], v[50:51], 1.0
	v_fma_f64 v[50:51], v[50:51], v[52:53], v[50:51]
	s_delay_alu instid0(VALU_DEP_1) | instskip(NEXT) | instid1(VALU_DEP_1)
	v_fma_f64 v[52:53], -v[44:45], v[50:51], 1.0
	v_fma_f64 v[50:51], v[50:51], v[52:53], v[50:51]
	v_div_scale_f64 v[52:53], vcc_lo, v[0:1], v[2:3], v[0:1]
	s_delay_alu instid0(VALU_DEP_1) | instskip(NEXT) | instid1(VALU_DEP_1)
	v_mul_f64_e32 v[56:57], v[52:53], v[50:51]
	v_fma_f64 v[44:45], -v[44:45], v[56:57], v[52:53]
	s_wait_alu 0xfffd
	s_delay_alu instid0(VALU_DEP_1) | instskip(NEXT) | instid1(VALU_DEP_1)
	v_div_fmas_f64 v[44:45], v[44:45], v[50:51], v[56:57]
                                        ; implicit-def: $vgpr56_vgpr57
	v_div_fixup_f64 v[50:51], v[44:45], v[2:3], v[0:1]
                                        ; implicit-def: $vgpr0_vgpr1
.LBB47_93:                              ;   in Loop: Header=BB47_77 Depth=1
	s_wait_alu 0xfffe
	s_and_not1_saveexec_b32 s3, s3
	s_cbranch_execz .LBB47_95
; %bb.94:                               ;   in Loop: Header=BB47_77 Depth=1
	v_add_f64_e32 v[2:3], v[56:57], v[56:57]
	v_add_f64_e32 v[0:1], v[58:59], v[0:1]
	s_delay_alu instid0(VALU_DEP_1) | instskip(NEXT) | instid1(VALU_DEP_1)
	v_div_scale_f64 v[44:45], null, v[0:1], v[0:1], v[2:3]
	v_rcp_f64_e32 v[50:51], v[44:45]
	s_delay_alu instid0(TRANS32_DEP_1) | instskip(NEXT) | instid1(VALU_DEP_1)
	v_fma_f64 v[52:53], -v[44:45], v[50:51], 1.0
	v_fma_f64 v[50:51], v[50:51], v[52:53], v[50:51]
	s_delay_alu instid0(VALU_DEP_1) | instskip(NEXT) | instid1(VALU_DEP_1)
	v_fma_f64 v[52:53], -v[44:45], v[50:51], 1.0
	v_fma_f64 v[50:51], v[50:51], v[52:53], v[50:51]
	v_div_scale_f64 v[52:53], vcc_lo, v[2:3], v[0:1], v[2:3]
	s_delay_alu instid0(VALU_DEP_1) | instskip(NEXT) | instid1(VALU_DEP_1)
	v_mul_f64_e32 v[56:57], v[52:53], v[50:51]
	v_fma_f64 v[44:45], -v[44:45], v[56:57], v[52:53]
	s_wait_alu 0xfffd
	s_delay_alu instid0(VALU_DEP_1) | instskip(NEXT) | instid1(VALU_DEP_1)
	v_div_fmas_f64 v[44:45], v[44:45], v[50:51], v[56:57]
	v_div_fixup_f64 v[50:51], v[44:45], v[0:1], v[2:3]
.LBB47_95:                              ;   in Loop: Header=BB47_77 Depth=1
	s_wait_alu 0xfffe
	s_or_b32 exec_lo, exec_lo, s3
                                        ; implicit-def: $vgpr58_vgpr59
                                        ; implicit-def: $vgpr56_vgpr57
                                        ; implicit-def: $vgpr0_vgpr1
                                        ; implicit-def: $vgpr52_vgpr53
                                        ; implicit-def: $vgpr44_vgpr45
.LBB47_96:                              ;   in Loop: Header=BB47_77 Depth=1
	s_wait_alu 0xfffe
	s_and_not1_saveexec_b32 s3, s10
	s_cbranch_execz .LBB47_108
; %bb.97:                               ;   in Loop: Header=BB47_77 Depth=1
	s_mov_b32 s10, exec_lo
	s_delay_alu instid0(VALU_DEP_2)
	v_cmpx_eq_f64_e32 0, v[58:59]
	s_cbranch_execz .LBB47_107
; %bb.98:                               ;   in Loop: Header=BB47_77 Depth=1
                                        ; implicit-def: $vgpr58_vgpr59
	s_and_saveexec_b32 s11, s4
	s_wait_alu 0xfffe
	s_xor_b32 s4, exec_lo, s11
	s_cbranch_execz .LBB47_100
; %bb.99:                               ;   in Loop: Header=BB47_77 Depth=1
	v_mul_f64_e32 v[2:3], v[2:3], v[2:3]
	v_mul_f64_e32 v[0:1], v[0:1], v[0:1]
	s_delay_alu instid0(VALU_DEP_2) | instskip(NEXT) | instid1(VALU_DEP_1)
	v_mul_f64_e32 v[2:3], v[2:3], v[52:53]
                                        ; implicit-def: $vgpr52_vgpr53
	v_fma_f64 v[58:59], v[0:1], v[44:45], v[2:3]
                                        ; implicit-def: $vgpr2_vgpr3
                                        ; implicit-def: $vgpr44_vgpr45
.LBB47_100:                             ;   in Loop: Header=BB47_77 Depth=1
	s_wait_alu 0xfffe
	s_and_not1_saveexec_b32 s4, s4
	s_cbranch_execz .LBB47_106
; %bb.101:                              ;   in Loop: Header=BB47_77 Depth=1
	v_add_f64_e32 v[44:45], v[44:45], v[52:53]
                                        ; implicit-def: $vgpr58_vgpr59
	s_and_saveexec_b32 s11, s0
	s_wait_alu 0xfffe
	s_xor_b32 s11, exec_lo, s11
	s_cbranch_execz .LBB47_103
; %bb.102:                              ;   in Loop: Header=BB47_77 Depth=1
	global_load_b64 v[2:3], v[20:21], off offset:8
	v_mul_f64_e32 v[0:1], v[0:1], v[0:1]
	s_wait_loadcnt 0x0
	v_mul_f64_e32 v[2:3], v[2:3], v[2:3]
	s_delay_alu instid0(VALU_DEP_1)
	v_fma_f64 v[58:59], v[0:1], v[44:45], v[2:3]
                                        ; implicit-def: $vgpr2_vgpr3
                                        ; implicit-def: $vgpr44_vgpr45
.LBB47_103:                             ;   in Loop: Header=BB47_77 Depth=1
	s_wait_alu 0xfffe
	s_and_not1_saveexec_b32 s11, s11
	s_cbranch_execz .LBB47_105
; %bb.104:                              ;   in Loop: Header=BB47_77 Depth=1
	global_load_b64 v[0:1], v[20:21], off
	v_mul_f64_e32 v[2:3], v[2:3], v[2:3]
	s_wait_loadcnt 0x0
	v_mul_f64_e32 v[0:1], v[0:1], v[0:1]
	s_delay_alu instid0(VALU_DEP_1)
	v_fma_f64 v[58:59], v[2:3], v[44:45], v[0:1]
.LBB47_105:                             ;   in Loop: Header=BB47_77 Depth=1
	s_wait_alu 0xfffe
	s_or_b32 exec_lo, exec_lo, s11
.LBB47_106:                             ;   in Loop: Header=BB47_77 Depth=1
	s_wait_alu 0xfffe
	s_or_b32 exec_lo, exec_lo, s4
.LBB47_107:                             ;   in Loop: Header=BB47_77 Depth=1
	s_wait_alu 0xfffe
	s_or_b32 exec_lo, exec_lo, s10
	s_delay_alu instid0(VALU_DEP_1) | instskip(NEXT) | instid1(VALU_DEP_1)
	v_div_scale_f64 v[0:1], null, v[58:59], v[58:59], v[56:57]
	v_rcp_f64_e32 v[2:3], v[0:1]
	s_delay_alu instid0(TRANS32_DEP_1) | instskip(NEXT) | instid1(VALU_DEP_1)
	v_fma_f64 v[44:45], -v[0:1], v[2:3], 1.0
	v_fma_f64 v[2:3], v[2:3], v[44:45], v[2:3]
	s_delay_alu instid0(VALU_DEP_1) | instskip(NEXT) | instid1(VALU_DEP_1)
	v_fma_f64 v[44:45], -v[0:1], v[2:3], 1.0
	v_fma_f64 v[2:3], v[2:3], v[44:45], v[2:3]
	v_div_scale_f64 v[44:45], vcc_lo, v[56:57], v[58:59], v[56:57]
	s_delay_alu instid0(VALU_DEP_1) | instskip(NEXT) | instid1(VALU_DEP_1)
	v_mul_f64_e32 v[50:51], v[44:45], v[2:3]
	v_fma_f64 v[0:1], -v[0:1], v[50:51], v[44:45]
	s_wait_alu 0xfffd
	s_delay_alu instid0(VALU_DEP_1) | instskip(NEXT) | instid1(VALU_DEP_1)
	v_div_fmas_f64 v[0:1], v[0:1], v[2:3], v[50:51]
	v_div_fixup_f64 v[50:51], v[0:1], v[58:59], v[56:57]
.LBB47_108:                             ;   in Loop: Header=BB47_77 Depth=1
	s_wait_alu 0xfffe
	s_or_b32 exec_lo, exec_lo, s3
	s_delay_alu instid0(VALU_DEP_1) | instskip(SKIP_1) | instid1(VALU_DEP_1)
	v_mul_f64_e32 v[0:1], v[46:47], v[50:51]
	s_mov_b32 s3, exec_lo
	v_cmpx_le_f64_e32 0, v[0:1]
	s_cbranch_execz .LBB47_110
; %bb.109:                              ;   in Loop: Header=BB47_77 Depth=1
	v_div_scale_f64 v[0:1], null, v[54:55], v[54:55], -v[46:47]
	s_delay_alu instid0(VALU_DEP_1) | instskip(NEXT) | instid1(TRANS32_DEP_1)
	v_rcp_f64_e32 v[2:3], v[0:1]
	v_fma_f64 v[44:45], -v[0:1], v[2:3], 1.0
	s_delay_alu instid0(VALU_DEP_1) | instskip(NEXT) | instid1(VALU_DEP_1)
	v_fma_f64 v[2:3], v[2:3], v[44:45], v[2:3]
	v_fma_f64 v[44:45], -v[0:1], v[2:3], 1.0
	s_delay_alu instid0(VALU_DEP_1) | instskip(SKIP_1) | instid1(VALU_DEP_1)
	v_fma_f64 v[2:3], v[2:3], v[44:45], v[2:3]
	v_div_scale_f64 v[44:45], vcc_lo, -v[46:47], v[54:55], -v[46:47]
	v_mul_f64_e32 v[50:51], v[44:45], v[2:3]
	s_delay_alu instid0(VALU_DEP_1) | instskip(SKIP_1) | instid1(VALU_DEP_1)
	v_fma_f64 v[0:1], -v[0:1], v[50:51], v[44:45]
	s_wait_alu 0xfffd
	v_div_fmas_f64 v[0:1], v[0:1], v[2:3], v[50:51]
	s_delay_alu instid0(VALU_DEP_1)
	v_div_fixup_f64 v[50:51], v[0:1], v[54:55], -v[46:47]
.LBB47_110:                             ;   in Loop: Header=BB47_77 Depth=1
	s_wait_alu 0xfffe
	s_or_b32 exec_lo, exec_lo, s3
	v_cmp_lt_f64_e32 vcc_lo, v[38:39], v[34:35]
	v_cmp_lt_f64_e64 s3, 0, v[46:47]
	v_cmp_lt_f64_e64 s4, v[34:35], v[40:41]
	s_delay_alu instid0(VALU_DEP_4)
	v_add_f64_e32 v[0:1], v[34:35], v[50:51]
	s_wait_alu 0xfffd
	v_dual_cndmask_b32 v2, v38, v34 :: v_dual_cndmask_b32 v3, v39, v35
	v_cmp_nge_f64_e32 vcc_lo, 0, v[46:47]
	s_and_b32 s3, s3, s4
	s_wait_alu 0xfffe
	v_cndmask_b32_e64 v41, v41, v35, s3
	v_cndmask_b32_e64 v40, v40, v34, s3
	s_wait_alu 0xfffd
	v_dual_cndmask_b32 v39, v3, v39 :: v_dual_cndmask_b32 v38, v2, v38
	s_delay_alu instid0(VALU_DEP_2) | instskip(NEXT) | instid1(VALU_DEP_2)
	v_cmp_gt_f64_e32 vcc_lo, v[0:1], v[40:41]
	v_cmp_lt_f64_e64 s3, v[0:1], v[38:39]
	s_or_b32 s4, vcc_lo, s3
	s_wait_alu 0xfffe
	s_and_saveexec_b32 s3, s4
	s_cbranch_execz .LBB47_116
; %bb.111:                              ;   in Loop: Header=BB47_77 Depth=1
	s_mov_b32 s4, exec_lo
                                        ; implicit-def: $vgpr50_vgpr51
	v_cmpx_ngt_f64_e32 0, v[46:47]
	s_wait_alu 0xfffe
	s_xor_b32 s4, exec_lo, s4
	s_cbranch_execz .LBB47_113
; %bb.112:                              ;   in Loop: Header=BB47_77 Depth=1
	v_add_f64_e64 v[0:1], v[38:39], -v[34:35]
	s_delay_alu instid0(VALU_DEP_1)
	v_mul_f64_e32 v[50:51], 0.5, v[0:1]
.LBB47_113:                             ;   in Loop: Header=BB47_77 Depth=1
	s_wait_alu 0xfffe
	s_and_not1_saveexec_b32 s4, s4
	s_cbranch_execz .LBB47_115
; %bb.114:                              ;   in Loop: Header=BB47_77 Depth=1
	v_add_f64_e64 v[0:1], v[40:41], -v[34:35]
	s_delay_alu instid0(VALU_DEP_1)
	v_mul_f64_e32 v[50:51], 0.5, v[0:1]
.LBB47_115:                             ;   in Loop: Header=BB47_77 Depth=1
	s_wait_alu 0xfffe
	s_or_b32 exec_lo, exec_lo, s4
.LBB47_116:                             ;   in Loop: Header=BB47_77 Depth=1
	s_wait_alu 0xfffe
	s_or_b32 exec_lo, exec_lo, s3
	s_delay_alu instid0(VALU_DEP_1)
	v_add_f64_e64 v[48:49], v[48:49], -v[50:51]
	v_mov_b32_e32 v44, 0
	v_dual_mov_b32 v45, 0 :: v_dual_mov_b32 v0, 0
	v_dual_mov_b32 v2, 0 :: v_dual_mov_b32 v1, 0
	v_mov_b32_e32 v3, 0
	global_store_b64 v[28:29], v[48:49], off
	s_and_saveexec_b32 s4, s2
	s_cbranch_execz .LBB47_120
; %bb.117:                              ;   in Loop: Header=BB47_77 Depth=1
	v_mov_b32_e32 v0, 0
	v_dual_mov_b32 v44, 0 :: v_dual_mov_b32 v49, v13
	v_dual_mov_b32 v1, 0 :: v_dual_mov_b32 v2, 0
	;; [unrolled: 1-line block ×4, first 2 shown]
	v_mov_b32_e32 v3, 0
	v_mov_b32_e32 v15, v18
	s_mov_b32 s10, 0
.LBB47_118:                             ;   Parent Loop BB47_77 Depth=1
                                        ; =>  This Inner Loop Header: Depth=2
	global_load_b64 v[54:55], v[52:53], off
	v_add_nc_u32_e32 v15, -1, v15
	s_wait_loadcnt 0x0
	v_add_f64_e64 v[54:55], v[54:55], -v[50:51]
	global_store_b64 v[52:53], v[54:55], off
	global_load_b64 v[56:57], v[48:49], off
	v_add_co_u32 v52, s3, v52, 8
	s_wait_alu 0xf1ff
	v_add_co_ci_u32_e64 v53, null, 0, v53, s3
	v_add_co_u32 v48, s3, v48, 8
	s_wait_alu 0xf1ff
	v_add_co_ci_u32_e64 v49, null, 0, v49, s3
	s_wait_loadcnt 0x0
	v_div_scale_f64 v[58:59], null, v[54:55], v[54:55], v[56:57]
	v_div_scale_f64 v[64:65], vcc_lo, v[56:57], v[54:55], v[56:57]
	s_delay_alu instid0(VALU_DEP_2) | instskip(NEXT) | instid1(TRANS32_DEP_1)
	v_rcp_f64_e32 v[60:61], v[58:59]
	v_fma_f64 v[62:63], -v[58:59], v[60:61], 1.0
	s_delay_alu instid0(VALU_DEP_1) | instskip(NEXT) | instid1(VALU_DEP_1)
	v_fma_f64 v[60:61], v[60:61], v[62:63], v[60:61]
	v_fma_f64 v[62:63], -v[58:59], v[60:61], 1.0
	s_delay_alu instid0(VALU_DEP_1) | instskip(NEXT) | instid1(VALU_DEP_1)
	v_fma_f64 v[60:61], v[60:61], v[62:63], v[60:61]
	v_mul_f64_e32 v[62:63], v[64:65], v[60:61]
	s_delay_alu instid0(VALU_DEP_1) | instskip(SKIP_1) | instid1(VALU_DEP_1)
	v_fma_f64 v[58:59], -v[58:59], v[62:63], v[64:65]
	s_wait_alu 0xfffd
	v_div_fmas_f64 v[58:59], v[58:59], v[60:61], v[62:63]
	v_cmp_eq_u32_e32 vcc_lo, 0, v15
	s_wait_alu 0xfffe
	s_or_b32 s10, vcc_lo, s10
	s_delay_alu instid0(VALU_DEP_2) | instskip(NEXT) | instid1(VALU_DEP_1)
	v_div_fixup_f64 v[54:55], v[58:59], v[54:55], v[56:57]
	v_fma_f64 v[2:3], v[56:57], v[54:55], v[2:3]
	v_fma_f64 v[44:45], v[54:55], v[54:55], v[44:45]
	s_delay_alu instid0(VALU_DEP_2)
	v_add_f64_e32 v[0:1], v[0:1], v[2:3]
	s_wait_alu 0xfffe
	s_and_not1_b32 exec_lo, exec_lo, s10
	s_cbranch_execnz .LBB47_118
; %bb.119:                              ;   in Loop: Header=BB47_77 Depth=1
	s_or_b32 exec_lo, exec_lo, s10
	s_delay_alu instid0(VALU_DEP_1)
	v_and_b32_e32 v1, 0x7fffffff, v1
.LBB47_120:                             ;   in Loop: Header=BB47_77 Depth=1
	s_wait_alu 0xfffe
	s_or_b32 exec_lo, exec_lo, s4
	v_mov_b32_e32 v52, 0
	v_dual_mov_b32 v53, 0 :: v_dual_mov_b32 v54, 0
	v_mov_b32_e32 v55, 0
	s_and_saveexec_b32 s4, s1
	s_cbranch_execz .LBB47_75
; %bb.121:                              ;   in Loop: Header=BB47_77 Depth=1
	v_dual_mov_b32 v52, 0 :: v_dual_mov_b32 v49, v43
	v_dual_mov_b32 v54, 0 :: v_dual_mov_b32 v15, v14
	;; [unrolled: 1-line block ×4, first 2 shown]
	v_mov_b32_e32 v55, 0
	s_mov_b32 s10, 0
.LBB47_122:                             ;   Parent Loop BB47_77 Depth=1
                                        ; =>  This Inner Loop Header: Depth=2
	global_load_b64 v[58:59], v[56:57], off
	v_add_nc_u32_e32 v15, -1, v15
	s_wait_loadcnt 0x0
	v_add_f64_e64 v[58:59], v[58:59], -v[50:51]
	global_store_b64 v[56:57], v[58:59], off
	global_load_b64 v[60:61], v[48:49], off
	v_add_co_u32 v56, s3, v56, -8
	s_wait_alu 0xf1ff
	v_add_co_ci_u32_e64 v57, null, -1, v57, s3
	v_add_co_u32 v48, s3, v48, -8
	s_wait_alu 0xf1ff
	v_add_co_ci_u32_e64 v49, null, -1, v49, s3
	s_wait_loadcnt 0x0
	v_div_scale_f64 v[62:63], null, v[58:59], v[58:59], v[60:61]
	v_div_scale_f64 v[68:69], vcc_lo, v[60:61], v[58:59], v[60:61]
	s_delay_alu instid0(VALU_DEP_2) | instskip(NEXT) | instid1(TRANS32_DEP_1)
	v_rcp_f64_e32 v[64:65], v[62:63]
	v_fma_f64 v[66:67], -v[62:63], v[64:65], 1.0
	s_delay_alu instid0(VALU_DEP_1) | instskip(NEXT) | instid1(VALU_DEP_1)
	v_fma_f64 v[64:65], v[64:65], v[66:67], v[64:65]
	v_fma_f64 v[66:67], -v[62:63], v[64:65], 1.0
	s_delay_alu instid0(VALU_DEP_1) | instskip(NEXT) | instid1(VALU_DEP_1)
	v_fma_f64 v[64:65], v[64:65], v[66:67], v[64:65]
	v_mul_f64_e32 v[66:67], v[68:69], v[64:65]
	s_delay_alu instid0(VALU_DEP_1) | instskip(SKIP_1) | instid1(VALU_DEP_1)
	v_fma_f64 v[62:63], -v[62:63], v[66:67], v[68:69]
	s_wait_alu 0xfffd
	v_div_fmas_f64 v[62:63], v[62:63], v[64:65], v[66:67]
	v_cmp_le_i32_e32 vcc_lo, v15, v18
	s_wait_alu 0xfffe
	s_or_b32 s10, vcc_lo, s10
	s_delay_alu instid0(VALU_DEP_2) | instskip(NEXT) | instid1(VALU_DEP_1)
	v_div_fixup_f64 v[58:59], v[62:63], v[58:59], v[60:61]
	v_fma_f64 v[54:55], v[60:61], v[58:59], v[54:55]
	v_fma_f64 v[52:53], v[58:59], v[58:59], v[52:53]
	s_delay_alu instid0(VALU_DEP_2)
	v_add_f64_e32 v[0:1], v[0:1], v[54:55]
	s_wait_alu 0xfffe
	s_and_not1_b32 exec_lo, exec_lo, s10
	s_cbranch_execnz .LBB47_122
; %bb.123:                              ;   in Loop: Header=BB47_77 Depth=1
	s_or_b32 exec_lo, exec_lo, s10
	s_branch .LBB47_75
.LBB47_124:
	s_or_b32 exec_lo, exec_lo, s5
	v_add_f64_e32 v[1:2], v[26:27], v[34:35]
.LBB47_125:
	s_wait_alu 0xfffe
	s_or_b32 exec_lo, exec_lo, s24
                                        ; implicit-def: $vgpr22
                                        ; implicit-def: $vgpr0
                                        ; implicit-def: $vgpr8_vgpr9
                                        ; implicit-def: $vgpr12_vgpr13
                                        ; implicit-def: $vgpr10_vgpr11
                                        ; implicit-def: $vgpr16_vgpr17
                                        ; implicit-def: $vgpr20_vgpr21
.LBB47_126:
	s_wait_alu 0xfffe
	s_and_not1_saveexec_b32 s3, s7
	s_cbranch_execz .LBB47_196
; %bb.127:
	v_ashrrev_i32_e32 v23, 31, v22
	s_wait_loadcnt 0x0
	v_fma_f64 v[18:19], |v[6:7]|, 0.5, v[16:17]
	v_mov_b32_e32 v30, 0
	v_mov_b32_e32 v31, 0
	s_mov_b32 s1, exec_lo
	v_lshlrev_b64_e32 v[14:15], 3, v[22:23]
	s_delay_alu instid0(VALU_DEP_1) | instskip(SKIP_1) | instid1(VALU_DEP_2)
	v_add_co_u32 v1, vcc_lo, v8, v14
	s_wait_alu 0xfffd
	v_add_co_ci_u32_e64 v2, null, v9, v15, vcc_lo
	global_load_b64 v[26:27], v[1:2], off offset:-16
	v_cmpx_lt_i32_e32 2, v22
	s_cbranch_execz .LBB47_131
; %bb.128:
	v_dual_mov_b32 v30, 0 :: v_dual_add_nc_u32 v3, -2, v22
	v_dual_mov_b32 v31, 0 :: v_dual_mov_b32 v24, v13
	v_mov_b32_e32 v29, v9
	v_dual_mov_b32 v23, v12 :: v_dual_mov_b32 v28, v8
	s_mov_b32 s2, 0
.LBB47_129:                             ; =>This Inner Loop Header: Depth=1
	global_load_b64 v[32:33], v[28:29], off
	global_load_b64 v[34:35], v[23:24], off
	v_add_nc_u32_e32 v3, -1, v3
	v_add_co_u32 v23, s0, v23, 8
	s_wait_alu 0xf1ff
	v_add_co_ci_u32_e64 v24, null, 0, v24, s0
	s_wait_loadcnt 0x1
	v_add_f64_e64 v[32:33], v[32:33], -v[18:19]
	s_wait_loadcnt 0x0
	s_delay_alu instid0(VALU_DEP_1) | instskip(SKIP_1) | instid1(VALU_DEP_2)
	v_div_scale_f64 v[36:37], null, v[32:33], v[32:33], v[34:35]
	v_div_scale_f64 v[42:43], vcc_lo, v[34:35], v[32:33], v[34:35]
	v_rcp_f64_e32 v[38:39], v[36:37]
	s_delay_alu instid0(TRANS32_DEP_1) | instskip(NEXT) | instid1(VALU_DEP_1)
	v_fma_f64 v[40:41], -v[36:37], v[38:39], 1.0
	v_fma_f64 v[38:39], v[38:39], v[40:41], v[38:39]
	s_delay_alu instid0(VALU_DEP_1) | instskip(NEXT) | instid1(VALU_DEP_1)
	v_fma_f64 v[40:41], -v[36:37], v[38:39], 1.0
	v_fma_f64 v[38:39], v[38:39], v[40:41], v[38:39]
	s_delay_alu instid0(VALU_DEP_1) | instskip(NEXT) | instid1(VALU_DEP_1)
	v_mul_f64_e32 v[40:41], v[42:43], v[38:39]
	v_fma_f64 v[36:37], -v[36:37], v[40:41], v[42:43]
	s_wait_alu 0xfffd
	s_delay_alu instid0(VALU_DEP_1)
	v_div_fmas_f64 v[36:37], v[36:37], v[38:39], v[40:41]
	v_add_co_u32 v28, vcc_lo, v28, 8
	s_wait_alu 0xfffd
	v_add_co_ci_u32_e64 v29, null, 0, v29, vcc_lo
	v_cmp_eq_u32_e32 vcc_lo, 0, v3
	s_wait_alu 0xfffe
	s_or_b32 s2, vcc_lo, s2
	s_delay_alu instid0(VALU_DEP_4) | instskip(NEXT) | instid1(VALU_DEP_1)
	v_div_fixup_f64 v[32:33], v[36:37], v[32:33], v[34:35]
	v_fma_f64 v[30:31], v[34:35], v[32:33], v[30:31]
	s_wait_alu 0xfffe
	s_and_not1_b32 exec_lo, exec_lo, s2
	s_cbranch_execnz .LBB47_129
; %bb.130:
	s_or_b32 exec_lo, exec_lo, s2
.LBB47_131:
	s_wait_alu 0xfffe
	s_or_b32 exec_lo, exec_lo, s1
	v_add_co_u32 v14, vcc_lo, v12, v14
	s_wait_alu 0xfffd
	v_add_co_ci_u32_e64 v15, null, v13, v15, vcc_lo
	v_dual_mov_b32 v24, v6 :: v_dual_and_b32 v25, 0x7fffffff, v7
	s_wait_loadcnt 0x0
	v_add_f64_e64 v[36:37], v[26:27], -v[18:19]
	global_load_b64 v[32:33], v[14:15], off offset:-16
	v_add_co_u32 v14, vcc_lo, v12, v20
	s_wait_alu 0xfffd
	v_add_co_ci_u32_e64 v15, null, v13, v21, vcc_lo
	v_div_scale_f64 v[20:21], null, v[24:25], v[24:25], 1.0
	v_mul_f64_e64 v[28:29], |v[6:7]|, 0.5
	global_load_b64 v[18:19], v[14:15], off
	v_rcp_f64_e32 v[34:35], v[20:21]
	s_delay_alu instid0(TRANS32_DEP_1) | instskip(NEXT) | instid1(VALU_DEP_1)
	v_fma_f64 v[40:41], -v[20:21], v[34:35], 1.0
	v_fma_f64 v[34:35], v[34:35], v[40:41], v[34:35]
	s_delay_alu instid0(VALU_DEP_1) | instskip(NEXT) | instid1(VALU_DEP_1)
	v_fma_f64 v[44:45], -v[20:21], v[34:35], 1.0
	v_fma_f64 v[34:35], v[34:35], v[44:45], v[34:35]
	s_wait_loadcnt 0x1
	v_mul_f64_e32 v[32:33], v[32:33], v[32:33]
	s_delay_alu instid0(VALU_DEP_1) | instskip(SKIP_1) | instid1(VALU_DEP_2)
	v_div_scale_f64 v[38:39], null, v[36:37], v[36:37], v[32:33]
	v_div_scale_f64 v[48:49], s0, v[32:33], v[36:37], v[32:33]
	v_rcp_f64_e32 v[42:43], v[38:39]
	s_delay_alu instid0(TRANS32_DEP_1) | instskip(NEXT) | instid1(VALU_DEP_1)
	v_fma_f64 v[40:41], -v[38:39], v[42:43], 1.0
	v_fma_f64 v[40:41], v[42:43], v[40:41], v[42:43]
	v_div_scale_f64 v[42:43], vcc_lo, 1.0, v[24:25], 1.0
	s_delay_alu instid0(VALU_DEP_2) | instskip(NEXT) | instid1(VALU_DEP_2)
	v_fma_f64 v[44:45], -v[38:39], v[40:41], 1.0
	v_mul_f64_e32 v[46:47], v[42:43], v[34:35]
	s_delay_alu instid0(VALU_DEP_2) | instskip(NEXT) | instid1(VALU_DEP_2)
	v_fma_f64 v[40:41], v[40:41], v[44:45], v[40:41]
	v_fma_f64 v[20:21], -v[20:21], v[46:47], v[42:43]
	s_delay_alu instid0(VALU_DEP_2) | instskip(SKIP_1) | instid1(VALU_DEP_2)
	v_mul_f64_e32 v[42:43], v[48:49], v[40:41]
	s_wait_alu 0xfffd
	v_div_fmas_f64 v[20:21], v[20:21], v[34:35], v[46:47]
	s_mov_b32 vcc_lo, s0
	s_wait_loadcnt 0x0
	v_mul_f64_e32 v[34:35], v[18:19], v[18:19]
	s_delay_alu instid0(VALU_DEP_3) | instskip(NEXT) | instid1(VALU_DEP_3)
	v_fma_f64 v[38:39], -v[38:39], v[42:43], v[48:49]
	v_div_fixup_f64 v[18:19], v[20:21], |v[6:7]|, 1.0
	s_wait_alu 0xfffe
	s_delay_alu instid0(VALU_DEP_2) | instskip(NEXT) | instid1(VALU_DEP_4)
	v_div_fmas_f64 v[20:21], v[38:39], v[40:41], v[42:43]
	v_add_f64_e32 v[38:39], v[34:35], v[34:35]
	s_delay_alu instid0(VALU_DEP_3) | instskip(NEXT) | instid1(VALU_DEP_3)
	v_add_f64_e32 v[30:31], v[18:19], v[30:31]
	v_div_fixup_f64 v[20:21], v[20:21], v[36:37], v[32:33]
	s_delay_alu instid0(VALU_DEP_3) | instskip(NEXT) | instid1(VALU_DEP_2)
	v_mul_f64_e32 v[36:37], v[18:19], v[38:39]
	v_add_f64_e32 v[20:21], v[30:31], v[20:21]
	s_delay_alu instid0(VALU_DEP_1)
	v_cmp_ngt_f64_e32 vcc_lo, v[20:21], v[36:37]
	v_add_f64_e64 v[36:37], v[16:17], -v[26:27]
                                        ; implicit-def: $vgpr20_vgpr21
	s_and_saveexec_b32 s0, vcc_lo
	s_wait_alu 0xfffe
	s_xor_b32 s1, exec_lo, s0
	s_cbranch_execz .LBB47_139
; %bb.132:
	s_delay_alu instid0(VALU_DEP_1) | instskip(SKIP_1) | instid1(VALU_DEP_2)
	v_add_f64_e64 v[20:21], |v[6:7]|, v[36:37]
	v_div_scale_f64 v[38:39], null, v[24:25], v[24:25], v[34:35]
	v_div_scale_f64 v[26:27], null, v[20:21], v[20:21], v[32:33]
	s_delay_alu instid0(VALU_DEP_2) | instskip(SKIP_1) | instid1(VALU_DEP_2)
	v_rcp_f64_e32 v[42:43], v[38:39]
	v_div_scale_f64 v[48:49], vcc_lo, v[32:33], v[20:21], v[32:33]
	v_rcp_f64_e32 v[40:41], v[26:27]
	s_delay_alu instid0(TRANS32_DEP_2) | instskip(NEXT) | instid1(TRANS32_DEP_1)
	v_fma_f64 v[46:47], -v[38:39], v[42:43], 1.0
	v_fma_f64 v[44:45], -v[26:27], v[40:41], 1.0
	s_delay_alu instid0(VALU_DEP_2) | instskip(NEXT) | instid1(VALU_DEP_2)
	v_fma_f64 v[42:43], v[42:43], v[46:47], v[42:43]
	v_fma_f64 v[40:41], v[40:41], v[44:45], v[40:41]
	s_delay_alu instid0(VALU_DEP_2) | instskip(NEXT) | instid1(VALU_DEP_2)
	v_fma_f64 v[46:47], -v[38:39], v[42:43], 1.0
	v_fma_f64 v[44:45], -v[26:27], v[40:41], 1.0
	s_delay_alu instid0(VALU_DEP_2) | instskip(NEXT) | instid1(VALU_DEP_2)
	v_fma_f64 v[42:43], v[42:43], v[46:47], v[42:43]
	v_fma_f64 v[40:41], v[40:41], v[44:45], v[40:41]
	v_div_scale_f64 v[44:45], s0, v[34:35], v[24:25], v[34:35]
	s_delay_alu instid0(VALU_DEP_2) | instskip(NEXT) | instid1(VALU_DEP_2)
	v_mul_f64_e32 v[46:47], v[48:49], v[40:41]
	v_mul_f64_e32 v[50:51], v[44:45], v[42:43]
	s_delay_alu instid0(VALU_DEP_2) | instskip(NEXT) | instid1(VALU_DEP_2)
	v_fma_f64 v[26:27], -v[26:27], v[46:47], v[48:49]
	v_fma_f64 v[38:39], -v[38:39], v[50:51], v[44:45]
	s_wait_alu 0xfffd
	s_delay_alu instid0(VALU_DEP_2) | instskip(SKIP_2) | instid1(VALU_DEP_2)
	v_div_fmas_f64 v[26:27], v[26:27], v[40:41], v[46:47]
	s_mov_b32 vcc_lo, s0
	s_wait_alu 0xfffe
	v_div_fmas_f64 v[38:39], v[38:39], v[42:43], v[50:51]
	s_delay_alu instid0(VALU_DEP_2) | instskip(NEXT) | instid1(VALU_DEP_2)
	v_div_fixup_f64 v[20:21], v[26:27], v[20:21], v[32:33]
	v_div_fixup_f64 v[26:27], v[38:39], |v[6:7]|, v[34:35]
	s_delay_alu instid0(VALU_DEP_1) | instskip(NEXT) | instid1(VALU_DEP_1)
	v_add_f64_e32 v[20:21], v[20:21], v[26:27]
	v_cmp_nle_f64_e32 vcc_lo, v[30:31], v[20:21]
	v_dual_mov_b32 v20, v24 :: v_dual_mov_b32 v21, v25
	s_and_saveexec_b32 s2, vcc_lo
	s_cbranch_execz .LBB47_138
; %bb.133:
	v_mul_f64_e32 v[26:27], v[36:37], v[34:35]
	v_fma_f64 v[20:21], -v[36:37], v[30:31], v[32:33]
	s_delay_alu instid0(VALU_DEP_2) | instskip(NEXT) | instid1(VALU_DEP_2)
	v_mul_f64_e32 v[36:37], 4.0, v[26:27]
	v_add_f64_e32 v[32:33], v[34:35], v[20:21]
	s_delay_alu instid0(VALU_DEP_2) | instskip(NEXT) | instid1(VALU_DEP_2)
	v_mul_f64_e32 v[20:21], v[30:31], v[36:37]
	v_cmp_ngt_f64_e64 s0, 0, v[32:33]
	s_delay_alu instid0(VALU_DEP_2) | instskip(NEXT) | instid1(VALU_DEP_1)
	v_fma_f64 v[20:21], v[32:33], v[32:33], v[20:21]
	v_cmp_gt_f64_e32 vcc_lo, 0x10000000, v[20:21]
	s_wait_alu 0xfffd
	v_cndmask_b32_e64 v3, 0, 0x100, vcc_lo
	s_delay_alu instid0(VALU_DEP_1) | instskip(SKIP_1) | instid1(VALU_DEP_2)
	v_ldexp_f64 v[20:21], v[20:21], v3
	v_cndmask_b32_e64 v3, 0, 0xffffff80, vcc_lo
	v_rsq_f64_e32 v[34:35], v[20:21]
	v_cmp_class_f64_e64 vcc_lo, v[20:21], 0x260
	s_delay_alu instid0(TRANS32_DEP_1) | instskip(SKIP_1) | instid1(VALU_DEP_1)
	v_mul_f64_e32 v[36:37], v[20:21], v[34:35]
	v_mul_f64_e32 v[34:35], 0.5, v[34:35]
	v_fma_f64 v[38:39], -v[34:35], v[36:37], 0.5
	s_delay_alu instid0(VALU_DEP_1) | instskip(SKIP_1) | instid1(VALU_DEP_2)
	v_fma_f64 v[36:37], v[36:37], v[38:39], v[36:37]
	v_fma_f64 v[34:35], v[34:35], v[38:39], v[34:35]
	v_fma_f64 v[38:39], -v[36:37], v[36:37], v[20:21]
	s_delay_alu instid0(VALU_DEP_1) | instskip(NEXT) | instid1(VALU_DEP_1)
	v_fma_f64 v[36:37], v[38:39], v[34:35], v[36:37]
	v_fma_f64 v[38:39], -v[36:37], v[36:37], v[20:21]
	s_delay_alu instid0(VALU_DEP_1) | instskip(NEXT) | instid1(VALU_DEP_1)
	v_fma_f64 v[34:35], v[38:39], v[34:35], v[36:37]
	v_ldexp_f64 v[34:35], v[34:35], v3
	s_wait_alu 0xfffd
	s_delay_alu instid0(VALU_DEP_1)
	v_dual_cndmask_b32 v35, v35, v21 :: v_dual_cndmask_b32 v34, v34, v20
                                        ; implicit-def: $vgpr20_vgpr21
	s_and_saveexec_b32 s4, s0
	s_wait_alu 0xfffe
	s_xor_b32 s0, exec_lo, s4
	s_cbranch_execz .LBB47_135
; %bb.134:
	v_add_f64_e32 v[20:21], v[32:33], v[34:35]
	v_add_f64_e32 v[26:27], v[30:31], v[30:31]
	s_delay_alu instid0(VALU_DEP_1) | instskip(NEXT) | instid1(VALU_DEP_1)
	v_div_scale_f64 v[30:31], null, v[26:27], v[26:27], v[20:21]
	v_rcp_f64_e32 v[32:33], v[30:31]
	s_delay_alu instid0(TRANS32_DEP_1) | instskip(NEXT) | instid1(VALU_DEP_1)
	v_fma_f64 v[34:35], -v[30:31], v[32:33], 1.0
	v_fma_f64 v[32:33], v[32:33], v[34:35], v[32:33]
	s_delay_alu instid0(VALU_DEP_1) | instskip(NEXT) | instid1(VALU_DEP_1)
	v_fma_f64 v[34:35], -v[30:31], v[32:33], 1.0
	v_fma_f64 v[32:33], v[32:33], v[34:35], v[32:33]
	v_div_scale_f64 v[34:35], vcc_lo, v[20:21], v[26:27], v[20:21]
	s_delay_alu instid0(VALU_DEP_1) | instskip(NEXT) | instid1(VALU_DEP_1)
	v_mul_f64_e32 v[36:37], v[34:35], v[32:33]
	v_fma_f64 v[30:31], -v[30:31], v[36:37], v[34:35]
                                        ; implicit-def: $vgpr34_vgpr35
	s_wait_alu 0xfffd
	s_delay_alu instid0(VALU_DEP_1) | instskip(NEXT) | instid1(VALU_DEP_1)
	v_div_fmas_f64 v[30:31], v[30:31], v[32:33], v[36:37]
                                        ; implicit-def: $vgpr32_vgpr33
	v_div_fixup_f64 v[20:21], v[30:31], v[26:27], v[20:21]
                                        ; implicit-def: $vgpr26_vgpr27
.LBB47_135:
	s_wait_alu 0xfffe
	s_and_not1_saveexec_b32 s0, s0
	s_cbranch_execz .LBB47_137
; %bb.136:
	v_add_f64_e32 v[20:21], v[26:27], v[26:27]
	v_add_f64_e64 v[26:27], v[34:35], -v[32:33]
	s_delay_alu instid0(VALU_DEP_1) | instskip(NEXT) | instid1(VALU_DEP_1)
	v_div_scale_f64 v[30:31], null, v[26:27], v[26:27], v[20:21]
	v_rcp_f64_e32 v[32:33], v[30:31]
	s_delay_alu instid0(TRANS32_DEP_1) | instskip(NEXT) | instid1(VALU_DEP_1)
	v_fma_f64 v[34:35], -v[30:31], v[32:33], 1.0
	v_fma_f64 v[32:33], v[32:33], v[34:35], v[32:33]
	s_delay_alu instid0(VALU_DEP_1) | instskip(NEXT) | instid1(VALU_DEP_1)
	v_fma_f64 v[34:35], -v[30:31], v[32:33], 1.0
	v_fma_f64 v[32:33], v[32:33], v[34:35], v[32:33]
	v_div_scale_f64 v[34:35], vcc_lo, v[20:21], v[26:27], v[20:21]
	s_delay_alu instid0(VALU_DEP_1) | instskip(NEXT) | instid1(VALU_DEP_1)
	v_mul_f64_e32 v[36:37], v[34:35], v[32:33]
	v_fma_f64 v[30:31], -v[30:31], v[36:37], v[34:35]
	s_wait_alu 0xfffd
	s_delay_alu instid0(VALU_DEP_1) | instskip(NEXT) | instid1(VALU_DEP_1)
	v_div_fmas_f64 v[30:31], v[30:31], v[32:33], v[36:37]
	v_div_fixup_f64 v[20:21], v[30:31], v[26:27], v[20:21]
.LBB47_137:
	s_wait_alu 0xfffe
	s_or_b32 exec_lo, exec_lo, s0
.LBB47_138:
	s_wait_alu 0xfffe
	s_or_b32 exec_lo, exec_lo, s2
                                        ; implicit-def: $vgpr36_vgpr37
                                        ; implicit-def: $vgpr30_vgpr31
                                        ; implicit-def: $vgpr32_vgpr33
                                        ; implicit-def: $vgpr34_vgpr35
.LBB47_139:
	s_wait_alu 0xfffe
	s_or_saveexec_b32 s1, s1
	v_dual_mov_b32 v26, v28 :: v_dual_mov_b32 v27, v29
	s_wait_alu 0xfffe
	s_xor_b32 exec_lo, exec_lo, s1
	s_cbranch_execz .LBB47_145
; %bb.140:
	s_delay_alu instid0(VALU_DEP_2) | instskip(SKIP_1) | instid1(VALU_DEP_2)
	v_mul_f64_e32 v[23:24], v[36:37], v[34:35]
	v_fma_f64 v[20:21], -v[36:37], v[30:31], v[32:33]
	v_mul_f64_e32 v[32:33], 4.0, v[23:24]
	s_delay_alu instid0(VALU_DEP_2) | instskip(NEXT) | instid1(VALU_DEP_2)
	v_add_f64_e32 v[25:26], v[34:35], v[20:21]
	v_mul_f64_e32 v[20:21], v[30:31], v[32:33]
	s_delay_alu instid0(VALU_DEP_2) | instskip(NEXT) | instid1(VALU_DEP_2)
	v_cmp_ngt_f64_e64 s0, 0, v[25:26]
	v_fma_f64 v[20:21], v[25:26], v[25:26], v[20:21]
	s_delay_alu instid0(VALU_DEP_1) | instskip(SKIP_2) | instid1(VALU_DEP_1)
	v_cmp_gt_f64_e32 vcc_lo, 0x10000000, v[20:21]
	s_wait_alu 0xfffd
	v_cndmask_b32_e64 v3, 0, 0x100, vcc_lo
	v_ldexp_f64 v[20:21], v[20:21], v3
	v_cndmask_b32_e64 v3, 0, 0xffffff80, vcc_lo
	s_delay_alu instid0(VALU_DEP_2) | instskip(SKIP_1) | instid1(TRANS32_DEP_1)
	v_rsq_f64_e32 v[32:33], v[20:21]
	v_cmp_class_f64_e64 vcc_lo, v[20:21], 0x260
	v_mul_f64_e32 v[34:35], v[20:21], v[32:33]
	v_mul_f64_e32 v[32:33], 0.5, v[32:33]
	s_delay_alu instid0(VALU_DEP_1) | instskip(NEXT) | instid1(VALU_DEP_1)
	v_fma_f64 v[36:37], -v[32:33], v[34:35], 0.5
	v_fma_f64 v[34:35], v[34:35], v[36:37], v[34:35]
	v_fma_f64 v[32:33], v[32:33], v[36:37], v[32:33]
	s_delay_alu instid0(VALU_DEP_2) | instskip(NEXT) | instid1(VALU_DEP_1)
	v_fma_f64 v[36:37], -v[34:35], v[34:35], v[20:21]
	v_fma_f64 v[34:35], v[36:37], v[32:33], v[34:35]
	s_delay_alu instid0(VALU_DEP_1) | instskip(NEXT) | instid1(VALU_DEP_1)
	v_fma_f64 v[36:37], -v[34:35], v[34:35], v[20:21]
	v_fma_f64 v[32:33], v[36:37], v[32:33], v[34:35]
	s_delay_alu instid0(VALU_DEP_1) | instskip(SKIP_1) | instid1(VALU_DEP_1)
	v_ldexp_f64 v[32:33], v[32:33], v3
	s_wait_alu 0xfffd
	v_dual_cndmask_b32 v33, v33, v21 :: v_dual_cndmask_b32 v32, v32, v20
                                        ; implicit-def: $vgpr20_vgpr21
	s_and_saveexec_b32 s2, s0
	s_wait_alu 0xfffe
	s_xor_b32 s0, exec_lo, s2
	s_cbranch_execz .LBB47_142
; %bb.141:
	v_add_f64_e32 v[20:21], v[25:26], v[32:33]
	v_add_f64_e32 v[23:24], v[30:31], v[30:31]
	s_delay_alu instid0(VALU_DEP_1) | instskip(NEXT) | instid1(VALU_DEP_1)
	v_div_scale_f64 v[25:26], null, v[23:24], v[23:24], v[20:21]
	v_rcp_f64_e32 v[30:31], v[25:26]
	s_delay_alu instid0(TRANS32_DEP_1) | instskip(NEXT) | instid1(VALU_DEP_1)
	v_fma_f64 v[32:33], -v[25:26], v[30:31], 1.0
	v_fma_f64 v[30:31], v[30:31], v[32:33], v[30:31]
	s_delay_alu instid0(VALU_DEP_1) | instskip(NEXT) | instid1(VALU_DEP_1)
	v_fma_f64 v[32:33], -v[25:26], v[30:31], 1.0
	v_fma_f64 v[30:31], v[30:31], v[32:33], v[30:31]
	v_div_scale_f64 v[32:33], vcc_lo, v[20:21], v[23:24], v[20:21]
	s_delay_alu instid0(VALU_DEP_1) | instskip(NEXT) | instid1(VALU_DEP_1)
	v_mul_f64_e32 v[34:35], v[32:33], v[30:31]
	v_fma_f64 v[25:26], -v[25:26], v[34:35], v[32:33]
                                        ; implicit-def: $vgpr32_vgpr33
	s_wait_alu 0xfffd
	s_delay_alu instid0(VALU_DEP_1) | instskip(NEXT) | instid1(VALU_DEP_1)
	v_div_fmas_f64 v[25:26], v[25:26], v[30:31], v[34:35]
	v_div_fixup_f64 v[20:21], v[25:26], v[23:24], v[20:21]
                                        ; implicit-def: $vgpr23_vgpr24
                                        ; implicit-def: $vgpr25_vgpr26
.LBB47_142:
	s_wait_alu 0xfffe
	s_and_not1_saveexec_b32 s0, s0
	s_cbranch_execz .LBB47_144
; %bb.143:
	v_add_f64_e32 v[20:21], v[23:24], v[23:24]
	v_add_f64_e64 v[23:24], v[32:33], -v[25:26]
	s_delay_alu instid0(VALU_DEP_1) | instskip(NEXT) | instid1(VALU_DEP_1)
	v_div_scale_f64 v[25:26], null, v[23:24], v[23:24], v[20:21]
	v_rcp_f64_e32 v[30:31], v[25:26]
	s_delay_alu instid0(TRANS32_DEP_1) | instskip(NEXT) | instid1(VALU_DEP_1)
	v_fma_f64 v[32:33], -v[25:26], v[30:31], 1.0
	v_fma_f64 v[30:31], v[30:31], v[32:33], v[30:31]
	s_delay_alu instid0(VALU_DEP_1) | instskip(NEXT) | instid1(VALU_DEP_1)
	v_fma_f64 v[32:33], -v[25:26], v[30:31], 1.0
	v_fma_f64 v[30:31], v[30:31], v[32:33], v[30:31]
	v_div_scale_f64 v[32:33], vcc_lo, v[20:21], v[23:24], v[20:21]
	s_delay_alu instid0(VALU_DEP_1) | instskip(NEXT) | instid1(VALU_DEP_1)
	v_mul_f64_e32 v[34:35], v[32:33], v[30:31]
	v_fma_f64 v[25:26], -v[25:26], v[34:35], v[32:33]
	s_wait_alu 0xfffd
	s_delay_alu instid0(VALU_DEP_1) | instskip(NEXT) | instid1(VALU_DEP_1)
	v_div_fmas_f64 v[25:26], v[25:26], v[30:31], v[34:35]
	v_div_fixup_f64 v[20:21], v[25:26], v[23:24], v[20:21]
.LBB47_144:
	s_wait_alu 0xfffe
	s_or_b32 exec_lo, exec_lo, s0
	v_mov_b32_e32 v26, 0
	v_dual_mov_b32 v27, 0 :: v_dual_mov_b32 v24, v28
	v_mov_b32_e32 v25, v29
.LBB47_145:
	s_or_b32 exec_lo, exec_lo, s1
	v_cmp_lt_i32_e64 s0, 1, v22
	v_dual_mov_b32 v23, v17 :: v_dual_mov_b32 v22, v16
	s_and_saveexec_b32 s2, s0
	s_cbranch_execz .LBB47_149
; %bb.146:
	v_dual_mov_b32 v23, v9 :: v_dual_mov_b32 v22, v8
	v_mov_b32_e32 v3, v0
	s_mov_b32 s4, 0
.LBB47_147:                             ; =>This Inner Loop Header: Depth=1
	global_load_b64 v[28:29], v[22:23], off
	v_add_nc_u32_e32 v3, -1, v3
	s_delay_alu instid0(VALU_DEP_1)
	v_cmp_eq_u32_e32 vcc_lo, 0, v3
	s_wait_alu 0xfffe
	s_or_b32 s4, vcc_lo, s4
	s_wait_loadcnt 0x0
	v_add_f64_e64 v[28:29], v[28:29], -v[16:17]
	global_store_b64 v[22:23], v[28:29], off
	v_add_co_u32 v22, s1, v22, 8
	s_wait_alu 0xf1ff
	v_add_co_ci_u32_e64 v23, null, 0, v23, s1
	s_wait_alu 0xfffe
	s_and_not1_b32 exec_lo, exec_lo, s4
	s_cbranch_execnz .LBB47_147
; %bb.148:
	s_or_b32 exec_lo, exec_lo, s4
	global_load_b64 v[22:23], v[10:11], off
.LBB47_149:
	s_wait_alu 0xfffe
	s_or_b32 exec_lo, exec_lo, s2
	s_wait_loadcnt 0x0
	v_add_f64_e64 v[30:31], v[22:23], -v[16:17]
	v_mov_b32_e32 v22, 0
	v_dual_mov_b32 v23, 0 :: v_dual_mov_b32 v28, 0
	v_dual_mov_b32 v32, 0 :: v_dual_mov_b32 v29, 0
	v_mov_b32_e32 v33, 0
	global_store_b64 v[10:11], v[30:31], off
	s_and_saveexec_b32 s2, s0
	s_cbranch_execz .LBB47_153
; %bb.150:
	v_mov_b32_e32 v28, 0
	v_dual_mov_b32 v22, 0 :: v_dual_mov_b32 v31, v13
	v_dual_mov_b32 v29, 0 :: v_dual_mov_b32 v32, 0
	;; [unrolled: 1-line block ×4, first 2 shown]
	v_mov_b32_e32 v33, 0
	v_mov_b32_e32 v3, v0
	s_mov_b32 s4, 0
.LBB47_151:                             ; =>This Inner Loop Header: Depth=1
	global_load_b64 v[36:37], v[34:35], off
	v_add_nc_u32_e32 v3, -1, v3
	s_wait_loadcnt 0x0
	v_add_f64_e64 v[36:37], v[36:37], -v[20:21]
	global_store_b64 v[34:35], v[36:37], off
	global_load_b64 v[38:39], v[30:31], off
	v_add_co_u32 v34, s1, v34, 8
	s_wait_alu 0xf1ff
	v_add_co_ci_u32_e64 v35, null, 0, v35, s1
	v_add_co_u32 v30, s1, v30, 8
	s_wait_alu 0xf1ff
	v_add_co_ci_u32_e64 v31, null, 0, v31, s1
	s_wait_loadcnt 0x0
	v_div_scale_f64 v[40:41], null, v[36:37], v[36:37], v[38:39]
	v_div_scale_f64 v[46:47], vcc_lo, v[38:39], v[36:37], v[38:39]
	s_delay_alu instid0(VALU_DEP_2) | instskip(NEXT) | instid1(TRANS32_DEP_1)
	v_rcp_f64_e32 v[42:43], v[40:41]
	v_fma_f64 v[44:45], -v[40:41], v[42:43], 1.0
	s_delay_alu instid0(VALU_DEP_1) | instskip(NEXT) | instid1(VALU_DEP_1)
	v_fma_f64 v[42:43], v[42:43], v[44:45], v[42:43]
	v_fma_f64 v[44:45], -v[40:41], v[42:43], 1.0
	s_delay_alu instid0(VALU_DEP_1) | instskip(NEXT) | instid1(VALU_DEP_1)
	v_fma_f64 v[42:43], v[42:43], v[44:45], v[42:43]
	v_mul_f64_e32 v[44:45], v[46:47], v[42:43]
	s_delay_alu instid0(VALU_DEP_1) | instskip(SKIP_1) | instid1(VALU_DEP_1)
	v_fma_f64 v[40:41], -v[40:41], v[44:45], v[46:47]
	s_wait_alu 0xfffd
	v_div_fmas_f64 v[40:41], v[40:41], v[42:43], v[44:45]
	v_cmp_eq_u32_e32 vcc_lo, 0, v3
	s_wait_alu 0xfffe
	s_or_b32 s4, vcc_lo, s4
	s_delay_alu instid0(VALU_DEP_2) | instskip(NEXT) | instid1(VALU_DEP_1)
	v_div_fixup_f64 v[36:37], v[40:41], v[36:37], v[38:39]
	v_fma_f64 v[32:33], v[38:39], v[36:37], v[32:33]
	v_fma_f64 v[22:23], v[36:37], v[36:37], v[22:23]
	s_delay_alu instid0(VALU_DEP_2)
	v_add_f64_e32 v[28:29], v[28:29], v[32:33]
	s_wait_alu 0xfffe
	s_and_not1_b32 exec_lo, exec_lo, s4
	s_cbranch_execnz .LBB47_151
; %bb.152:
	s_or_b32 exec_lo, exec_lo, s4
	global_load_b64 v[30:31], v[10:11], off
	v_and_b32_e32 v29, 0x7fffffff, v29
.LBB47_153:
	s_wait_alu 0xfffe
	s_or_b32 exec_lo, exec_lo, s2
	s_wait_loadcnt 0x0
	v_add_f64_e64 v[30:31], v[30:31], -v[20:21]
	s_mov_b32 s4, exec_lo
	global_store_b64 v[10:11], v[30:31], off
	global_load_b64 v[34:35], v[14:15], off
	s_wait_loadcnt 0x0
	v_div_scale_f64 v[36:37], null, v[30:31], v[30:31], v[34:35]
	s_delay_alu instid0(VALU_DEP_1) | instskip(NEXT) | instid1(TRANS32_DEP_1)
	v_rcp_f64_e32 v[38:39], v[36:37]
	v_fma_f64 v[40:41], -v[36:37], v[38:39], 1.0
	s_delay_alu instid0(VALU_DEP_1) | instskip(NEXT) | instid1(VALU_DEP_1)
	v_fma_f64 v[38:39], v[38:39], v[40:41], v[38:39]
	v_fma_f64 v[40:41], -v[36:37], v[38:39], 1.0
	s_delay_alu instid0(VALU_DEP_1) | instskip(SKIP_1) | instid1(VALU_DEP_1)
	v_fma_f64 v[38:39], v[38:39], v[40:41], v[38:39]
	v_div_scale_f64 v[40:41], vcc_lo, v[34:35], v[30:31], v[34:35]
	v_mul_f64_e32 v[42:43], v[40:41], v[38:39]
	s_delay_alu instid0(VALU_DEP_1) | instskip(SKIP_1) | instid1(VALU_DEP_1)
	v_fma_f64 v[36:37], -v[36:37], v[42:43], v[40:41]
	s_wait_alu 0xfffd
	v_div_fmas_f64 v[36:37], v[36:37], v[38:39], v[42:43]
	s_delay_alu instid0(VALU_DEP_1) | instskip(NEXT) | instid1(VALU_DEP_1)
	v_div_fixup_f64 v[36:37], v[36:37], v[30:31], v[34:35]
	v_fma_f64 v[38:39], v[34:35], v[36:37], 0
	v_fma_f64 v[34:35], v[36:37], v[36:37], v[22:23]
	s_delay_alu instid0(VALU_DEP_2) | instskip(SKIP_2) | instid1(VALU_DEP_3)
	v_add_f64_e32 v[40:41], v[32:33], v[38:39]
	v_add_f64_e32 v[28:29], v[28:29], v[38:39]
	;; [unrolled: 1-line block ×3, first 2 shown]
	v_ldexp_f64 v[40:41], -v[40:41], 3
	s_delay_alu instid0(VALU_DEP_1) | instskip(NEXT) | instid1(VALU_DEP_1)
	v_fma_f64 v[40:41], |v[20:21]|, v[34:35], v[40:41]
	v_add_f64_e64 v[40:41], v[40:41], -v[38:39]
	s_delay_alu instid0(VALU_DEP_1) | instskip(NEXT) | instid1(VALU_DEP_1)
	v_add_f64_e32 v[40:41], v[18:19], v[40:41]
	v_add_f64_e32 v[40:41], v[28:29], v[40:41]
	;; [unrolled: 1-line block ×3, first 2 shown]
	s_delay_alu instid0(VALU_DEP_2) | instskip(NEXT) | instid1(VALU_DEP_1)
	v_mul_f64_e32 v[32:33], s[14:15], v[40:41]
	v_cmpx_nle_f64_e64 |v[28:29]|, v[32:33]
	s_cbranch_execz .LBB47_195
; %bb.154:
	global_load_b64 v[38:39], v[1:2], off offset:-16
	v_mul_f64_e32 v[32:33], v[36:37], v[36:37]
	v_cmp_lt_f64_e32 vcc_lo, 0, v[28:29]
	v_cmp_lt_f64_e64 s1, v[20:21], v[24:25]
	s_and_b32 vcc_lo, s1, vcc_lo
	s_wait_loadcnt 0x0
	v_fma_f64 v[22:23], -v[22:23], v[38:39], v[28:29]
	s_delay_alu instid0(VALU_DEP_1) | instskip(SKIP_2) | instid1(VALU_DEP_2)
	v_fma_f64 v[36:37], -v[30:31], v[32:33], v[22:23]
	s_wait_alu 0xfffe
	v_dual_cndmask_b32 v23, v25, v21 :: v_dual_cndmask_b32 v22, v24, v20
                                        ; implicit-def: $vgpr32_vgpr33
	v_cmp_neq_f64_e64 s2, 0, v[36:37]
	s_and_saveexec_b32 s1, s2
	s_wait_alu 0xfffe
	s_xor_b32 s2, exec_lo, s1
	s_cbranch_execz .LBB47_160
; %bb.155:
	v_mul_f64_e32 v[32:33], v[30:31], v[38:39]
	v_add_f64_e32 v[38:39], v[30:31], v[38:39]
	s_delay_alu instid0(VALU_DEP_2) | instskip(SKIP_1) | instid1(VALU_DEP_2)
	v_mul_f64_e32 v[24:25], v[28:29], v[32:33]
	v_mul_f64_e32 v[32:33], v[34:35], v[32:33]
	v_mul_f64_e32 v[40:41], -4.0, v[24:25]
	s_delay_alu instid0(VALU_DEP_2) | instskip(NEXT) | instid1(VALU_DEP_2)
	v_fma_f64 v[38:39], v[28:29], v[38:39], -v[32:33]
	v_mul_f64_e64 v[32:33], v[40:41], |v[36:37]|
	s_delay_alu instid0(VALU_DEP_1) | instskip(NEXT) | instid1(VALU_DEP_1)
	v_fma_f64 v[32:33], v[38:39], v[38:39], v[32:33]
	v_cmp_gt_f64_e64 s1, 0x10000000, |v[32:33]|
	s_wait_alu 0xf1ff
	s_delay_alu instid0(VALU_DEP_1) | instskip(NEXT) | instid1(VALU_DEP_1)
	v_cndmask_b32_e64 v3, 0, 0x100, s1
	v_ldexp_f64 v[32:33], |v[32:33]|, v3
	v_cndmask_b32_e64 v3, 0, 0xffffff80, s1
	v_cmp_le_f64_e64 s1, 0, v[38:39]
	s_delay_alu instid0(VALU_DEP_3) | instskip(SKIP_1) | instid1(TRANS32_DEP_1)
	v_rsq_f64_e32 v[40:41], v[32:33]
	v_cmp_class_f64_e64 vcc_lo, v[32:33], 0x260
	v_mul_f64_e32 v[42:43], v[32:33], v[40:41]
	v_mul_f64_e32 v[40:41], 0.5, v[40:41]
	s_delay_alu instid0(VALU_DEP_1) | instskip(NEXT) | instid1(VALU_DEP_1)
	v_fma_f64 v[44:45], -v[40:41], v[42:43], 0.5
	v_fma_f64 v[42:43], v[42:43], v[44:45], v[42:43]
	v_fma_f64 v[40:41], v[40:41], v[44:45], v[40:41]
	s_delay_alu instid0(VALU_DEP_2) | instskip(NEXT) | instid1(VALU_DEP_1)
	v_fma_f64 v[44:45], -v[42:43], v[42:43], v[32:33]
	v_fma_f64 v[42:43], v[44:45], v[40:41], v[42:43]
	s_delay_alu instid0(VALU_DEP_1) | instskip(NEXT) | instid1(VALU_DEP_1)
	v_fma_f64 v[44:45], -v[42:43], v[42:43], v[32:33]
	v_fma_f64 v[40:41], v[44:45], v[40:41], v[42:43]
	s_delay_alu instid0(VALU_DEP_1) | instskip(SKIP_1) | instid1(VALU_DEP_1)
	v_ldexp_f64 v[40:41], v[40:41], v3
	s_wait_alu 0xfffd
	v_dual_cndmask_b32 v41, v41, v33 :: v_dual_cndmask_b32 v40, v40, v32
                                        ; implicit-def: $vgpr32_vgpr33
	s_and_saveexec_b32 s5, s1
	s_wait_alu 0xfffe
	s_xor_b32 s1, exec_lo, s5
	s_cbranch_execz .LBB47_157
; %bb.156:
	v_add_f64_e32 v[24:25], v[38:39], v[40:41]
	v_add_f64_e64 v[32:33], |v[36:37]|, |v[36:37]|
	s_delay_alu instid0(VALU_DEP_1) | instskip(NEXT) | instid1(VALU_DEP_1)
	v_div_scale_f64 v[36:37], null, v[32:33], v[32:33], v[24:25]
	v_rcp_f64_e32 v[38:39], v[36:37]
	s_delay_alu instid0(TRANS32_DEP_1) | instskip(NEXT) | instid1(VALU_DEP_1)
	v_fma_f64 v[40:41], -v[36:37], v[38:39], 1.0
	v_fma_f64 v[38:39], v[38:39], v[40:41], v[38:39]
	s_delay_alu instid0(VALU_DEP_1) | instskip(NEXT) | instid1(VALU_DEP_1)
	v_fma_f64 v[40:41], -v[36:37], v[38:39], 1.0
	v_fma_f64 v[38:39], v[38:39], v[40:41], v[38:39]
	v_div_scale_f64 v[40:41], vcc_lo, v[24:25], v[32:33], v[24:25]
	s_delay_alu instid0(VALU_DEP_1) | instskip(NEXT) | instid1(VALU_DEP_1)
	v_mul_f64_e32 v[42:43], v[40:41], v[38:39]
	v_fma_f64 v[36:37], -v[36:37], v[42:43], v[40:41]
                                        ; implicit-def: $vgpr40_vgpr41
	s_wait_alu 0xfffd
	s_delay_alu instid0(VALU_DEP_1) | instskip(NEXT) | instid1(VALU_DEP_1)
	v_div_fmas_f64 v[36:37], v[36:37], v[38:39], v[42:43]
                                        ; implicit-def: $vgpr38_vgpr39
	v_div_fixup_f64 v[32:33], v[36:37], v[32:33], v[24:25]
                                        ; implicit-def: $vgpr24_vgpr25
.LBB47_157:
	s_wait_alu 0xfffe
	s_and_not1_saveexec_b32 s1, s1
	s_cbranch_execz .LBB47_159
; %bb.158:
	v_add_f64_e32 v[24:25], v[24:25], v[24:25]
	v_add_f64_e64 v[32:33], v[38:39], -v[40:41]
	s_delay_alu instid0(VALU_DEP_1) | instskip(NEXT) | instid1(VALU_DEP_1)
	v_div_scale_f64 v[36:37], null, v[32:33], v[32:33], v[24:25]
	v_rcp_f64_e32 v[38:39], v[36:37]
	s_delay_alu instid0(TRANS32_DEP_1) | instskip(NEXT) | instid1(VALU_DEP_1)
	v_fma_f64 v[40:41], -v[36:37], v[38:39], 1.0
	v_fma_f64 v[38:39], v[38:39], v[40:41], v[38:39]
	s_delay_alu instid0(VALU_DEP_1) | instskip(NEXT) | instid1(VALU_DEP_1)
	v_fma_f64 v[40:41], -v[36:37], v[38:39], 1.0
	v_fma_f64 v[38:39], v[38:39], v[40:41], v[38:39]
	v_div_scale_f64 v[40:41], vcc_lo, v[24:25], v[32:33], v[24:25]
	s_delay_alu instid0(VALU_DEP_1) | instskip(NEXT) | instid1(VALU_DEP_1)
	v_mul_f64_e32 v[42:43], v[40:41], v[38:39]
	v_fma_f64 v[36:37], -v[36:37], v[42:43], v[40:41]
	s_wait_alu 0xfffd
	s_delay_alu instid0(VALU_DEP_1) | instskip(NEXT) | instid1(VALU_DEP_1)
	v_div_fmas_f64 v[36:37], v[36:37], v[38:39], v[42:43]
	v_div_fixup_f64 v[32:33], v[36:37], v[32:33], v[24:25]
.LBB47_159:
	s_wait_alu 0xfffe
	s_or_b32 exec_lo, exec_lo, s1
.LBB47_160:
	s_wait_alu 0xfffe
	s_and_not1_saveexec_b32 s1, s2
	s_cbranch_execz .LBB47_162
; %bb.161:
	v_add_f64_e64 v[32:33], v[22:23], -v[20:21]
.LBB47_162:
	s_wait_alu 0xfffe
	s_or_b32 exec_lo, exec_lo, s1
	s_delay_alu instid0(VALU_DEP_1) | instskip(SKIP_1) | instid1(VALU_DEP_1)
	v_mul_f64_e32 v[24:25], v[28:29], v[32:33]
	s_mov_b32 s1, exec_lo
	v_cmpx_lt_f64_e32 0, v[24:25]
	s_cbranch_execz .LBB47_164
; %bb.163:
	v_div_scale_f64 v[24:25], null, v[34:35], v[34:35], -v[28:29]
	s_delay_alu instid0(VALU_DEP_1) | instskip(NEXT) | instid1(TRANS32_DEP_1)
	v_rcp_f64_e32 v[32:33], v[24:25]
	v_fma_f64 v[36:37], -v[24:25], v[32:33], 1.0
	s_delay_alu instid0(VALU_DEP_1) | instskip(NEXT) | instid1(VALU_DEP_1)
	v_fma_f64 v[32:33], v[32:33], v[36:37], v[32:33]
	v_fma_f64 v[36:37], -v[24:25], v[32:33], 1.0
	s_delay_alu instid0(VALU_DEP_1) | instskip(SKIP_1) | instid1(VALU_DEP_1)
	v_fma_f64 v[32:33], v[32:33], v[36:37], v[32:33]
	v_div_scale_f64 v[36:37], vcc_lo, -v[28:29], v[34:35], -v[28:29]
	v_mul_f64_e32 v[38:39], v[36:37], v[32:33]
	s_delay_alu instid0(VALU_DEP_1) | instskip(SKIP_1) | instid1(VALU_DEP_1)
	v_fma_f64 v[24:25], -v[24:25], v[38:39], v[36:37]
	s_wait_alu 0xfffd
	v_div_fmas_f64 v[24:25], v[24:25], v[32:33], v[38:39]
	s_delay_alu instid0(VALU_DEP_1)
	v_div_fixup_f64 v[32:33], v[24:25], v[34:35], -v[28:29]
.LBB47_164:
	s_wait_alu 0xfffe
	s_or_b32 exec_lo, exec_lo, s1
	v_cmp_lt_f64_e32 vcc_lo, v[26:27], v[20:21]
	s_delay_alu instid0(VALU_DEP_2) | instskip(SKIP_4) | instid1(VALU_DEP_2)
	v_add_f64_e32 v[34:35], v[20:21], v[32:33]
	s_wait_alu 0xfffd
	v_dual_cndmask_b32 v3, v26, v20 :: v_dual_cndmask_b32 v24, v27, v21
	v_cmp_nge_f64_e32 vcc_lo, 0, v[28:29]
	s_wait_alu 0xfffd
	v_dual_cndmask_b32 v25, v24, v27 :: v_dual_cndmask_b32 v24, v3, v26
	s_delay_alu instid0(VALU_DEP_4) | instskip(NEXT) | instid1(VALU_DEP_2)
	v_cmp_gt_f64_e32 vcc_lo, v[34:35], v[22:23]
	v_cmp_lt_f64_e64 s1, v[34:35], v[24:25]
	s_or_b32 s2, vcc_lo, s1
	s_wait_alu 0xfffe
	s_and_saveexec_b32 s1, s2
	s_cbranch_execz .LBB47_170
; %bb.165:
	s_mov_b32 s2, exec_lo
                                        ; implicit-def: $vgpr32_vgpr33
	v_cmpx_ngt_f64_e32 0, v[28:29]
	s_wait_alu 0xfffe
	s_xor_b32 s2, exec_lo, s2
	s_cbranch_execz .LBB47_167
; %bb.166:
	v_add_f64_e64 v[26:27], v[24:25], -v[20:21]
	s_delay_alu instid0(VALU_DEP_1)
	v_mul_f64_e32 v[32:33], 0.5, v[26:27]
.LBB47_167:
	s_wait_alu 0xfffe
	s_and_not1_saveexec_b32 s2, s2
	s_cbranch_execz .LBB47_169
; %bb.168:
	v_add_f64_e64 v[26:27], v[22:23], -v[20:21]
	s_delay_alu instid0(VALU_DEP_1)
	v_mul_f64_e32 v[32:33], 0.5, v[26:27]
.LBB47_169:
	s_wait_alu 0xfffe
	s_or_b32 exec_lo, exec_lo, s2
.LBB47_170:
	s_wait_alu 0xfffe
	s_or_b32 exec_lo, exec_lo, s1
	v_mov_b32_e32 v28, 0
	v_dual_mov_b32 v29, 0 :: v_dual_mov_b32 v34, 0
	v_dual_mov_b32 v36, 0 :: v_dual_mov_b32 v35, 0
	v_mov_b32_e32 v37, 0
	s_and_saveexec_b32 s2, s0
	s_cbranch_execz .LBB47_174
; %bb.171:
	v_mov_b32_e32 v34, 0
	v_dual_mov_b32 v28, 0 :: v_dual_mov_b32 v27, v13
	v_dual_mov_b32 v35, 0 :: v_dual_mov_b32 v36, 0
	;; [unrolled: 1-line block ×4, first 2 shown]
	v_mov_b32_e32 v37, 0
	v_mov_b32_e32 v3, v0
	s_mov_b32 s5, 0
.LBB47_172:                             ; =>This Inner Loop Header: Depth=1
	global_load_b64 v[38:39], v[30:31], off
	v_add_nc_u32_e32 v3, -1, v3
	s_wait_loadcnt 0x0
	v_add_f64_e64 v[38:39], v[38:39], -v[32:33]
	global_store_b64 v[30:31], v[38:39], off
	global_load_b64 v[40:41], v[26:27], off
	v_add_co_u32 v30, s1, v30, 8
	s_wait_alu 0xf1ff
	v_add_co_ci_u32_e64 v31, null, 0, v31, s1
	v_add_co_u32 v26, s1, v26, 8
	s_wait_alu 0xf1ff
	v_add_co_ci_u32_e64 v27, null, 0, v27, s1
	s_wait_loadcnt 0x0
	v_div_scale_f64 v[42:43], null, v[38:39], v[38:39], v[40:41]
	v_div_scale_f64 v[48:49], vcc_lo, v[40:41], v[38:39], v[40:41]
	s_delay_alu instid0(VALU_DEP_2) | instskip(NEXT) | instid1(TRANS32_DEP_1)
	v_rcp_f64_e32 v[44:45], v[42:43]
	v_fma_f64 v[46:47], -v[42:43], v[44:45], 1.0
	s_delay_alu instid0(VALU_DEP_1) | instskip(NEXT) | instid1(VALU_DEP_1)
	v_fma_f64 v[44:45], v[44:45], v[46:47], v[44:45]
	v_fma_f64 v[46:47], -v[42:43], v[44:45], 1.0
	s_delay_alu instid0(VALU_DEP_1) | instskip(NEXT) | instid1(VALU_DEP_1)
	v_fma_f64 v[44:45], v[44:45], v[46:47], v[44:45]
	v_mul_f64_e32 v[46:47], v[48:49], v[44:45]
	s_delay_alu instid0(VALU_DEP_1) | instskip(SKIP_1) | instid1(VALU_DEP_1)
	v_fma_f64 v[42:43], -v[42:43], v[46:47], v[48:49]
	s_wait_alu 0xfffd
	v_div_fmas_f64 v[42:43], v[42:43], v[44:45], v[46:47]
	v_cmp_eq_u32_e32 vcc_lo, 0, v3
	s_wait_alu 0xfffe
	s_or_b32 s5, vcc_lo, s5
	s_delay_alu instid0(VALU_DEP_2) | instskip(NEXT) | instid1(VALU_DEP_1)
	v_div_fixup_f64 v[38:39], v[42:43], v[38:39], v[40:41]
	v_fma_f64 v[36:37], v[40:41], v[38:39], v[36:37]
	v_fma_f64 v[28:29], v[38:39], v[38:39], v[28:29]
	s_delay_alu instid0(VALU_DEP_2)
	v_add_f64_e32 v[34:35], v[34:35], v[36:37]
	s_wait_alu 0xfffe
	s_and_not1_b32 exec_lo, exec_lo, s5
	s_cbranch_execnz .LBB47_172
; %bb.173:
	s_or_b32 exec_lo, exec_lo, s5
	global_load_b64 v[30:31], v[10:11], off
	v_and_b32_e32 v35, 0x7fffffff, v35
.LBB47_174:
	s_wait_alu 0xfffe
	s_or_b32 exec_lo, exec_lo, s2
	s_wait_loadcnt 0x0
	v_add_f64_e64 v[26:27], v[30:31], -v[32:33]
	v_add_f64_e32 v[20:21], v[20:21], v[32:33]
	s_mov_b32 s5, exec_lo
	global_store_b64 v[10:11], v[26:27], off
	global_load_b64 v[38:39], v[14:15], off
	s_wait_loadcnt 0x0
	v_div_scale_f64 v[30:31], null, v[26:27], v[26:27], v[38:39]
	s_delay_alu instid0(VALU_DEP_1) | instskip(NEXT) | instid1(TRANS32_DEP_1)
	v_rcp_f64_e32 v[40:41], v[30:31]
	v_fma_f64 v[42:43], -v[30:31], v[40:41], 1.0
	s_delay_alu instid0(VALU_DEP_1) | instskip(NEXT) | instid1(VALU_DEP_1)
	v_fma_f64 v[40:41], v[40:41], v[42:43], v[40:41]
	v_fma_f64 v[42:43], -v[30:31], v[40:41], 1.0
	s_delay_alu instid0(VALU_DEP_1) | instskip(SKIP_1) | instid1(VALU_DEP_1)
	v_fma_f64 v[40:41], v[40:41], v[42:43], v[40:41]
	v_div_scale_f64 v[42:43], vcc_lo, v[38:39], v[26:27], v[38:39]
	v_mul_f64_e32 v[44:45], v[42:43], v[40:41]
	s_delay_alu instid0(VALU_DEP_1) | instskip(SKIP_1) | instid1(VALU_DEP_1)
	v_fma_f64 v[30:31], -v[30:31], v[44:45], v[42:43]
	s_wait_alu 0xfffd
	v_div_fmas_f64 v[30:31], v[30:31], v[40:41], v[44:45]
	s_delay_alu instid0(VALU_DEP_1) | instskip(NEXT) | instid1(VALU_DEP_1)
	v_div_fixup_f64 v[30:31], v[30:31], v[26:27], v[38:39]
	v_fma_f64 v[38:39], v[38:39], v[30:31], 0
	v_fma_f64 v[32:33], v[30:31], v[30:31], v[28:29]
	s_delay_alu instid0(VALU_DEP_2) | instskip(SKIP_2) | instid1(VALU_DEP_3)
	v_add_f64_e32 v[40:41], v[36:37], v[38:39]
	v_add_f64_e32 v[34:35], v[34:35], v[38:39]
	;; [unrolled: 1-line block ×3, first 2 shown]
	v_ldexp_f64 v[40:41], -v[40:41], 3
	s_delay_alu instid0(VALU_DEP_1) | instskip(NEXT) | instid1(VALU_DEP_1)
	v_fma_f64 v[32:33], |v[20:21]|, v[32:33], v[40:41]
	v_add_f64_e64 v[32:33], v[32:33], -v[38:39]
	s_delay_alu instid0(VALU_DEP_1) | instskip(NEXT) | instid1(VALU_DEP_1)
	v_add_f64_e32 v[32:33], v[18:19], v[32:33]
	v_add_f64_e32 v[34:35], v[34:35], v[32:33]
	;; [unrolled: 1-line block ×3, first 2 shown]
	s_delay_alu instid0(VALU_DEP_2) | instskip(NEXT) | instid1(VALU_DEP_1)
	v_mul_f64_e32 v[34:35], s[14:15], v[34:35]
	v_cmpx_nle_f64_e64 |v[32:33]|, v[34:35]
	s_cbranch_execz .LBB47_194
; %bb.175:
	v_mul_f64_e32 v[30:31], v[30:31], v[30:31]
	s_mov_b32 s7, 1
	s_mov_b32 s6, 0
	s_branch .LBB47_177
.LBB47_176:                             ;   in Loop: Header=BB47_177 Depth=1
	s_wait_alu 0xfffe
	s_or_b32 exec_lo, exec_lo, s2
	s_wait_loadcnt 0x0
	v_add_f64_e64 v[26:27], v[26:27], -v[30:31]
	v_add_f64_e32 v[20:21], v[20:21], v[30:31]
	s_add_co_i32 s2, s7, 1
	s_cmp_gt_u32 s7, 48
	s_cselect_b32 s7, -1, 0
	global_store_b64 v[10:11], v[26:27], off
	global_load_b64 v[36:37], v[14:15], off
	s_wait_loadcnt 0x0
	v_div_scale_f64 v[38:39], null, v[26:27], v[26:27], v[36:37]
	s_delay_alu instid0(VALU_DEP_1) | instskip(NEXT) | instid1(TRANS32_DEP_1)
	v_rcp_f64_e32 v[40:41], v[38:39]
	v_fma_f64 v[42:43], -v[38:39], v[40:41], 1.0
	s_delay_alu instid0(VALU_DEP_1) | instskip(NEXT) | instid1(VALU_DEP_1)
	v_fma_f64 v[40:41], v[40:41], v[42:43], v[40:41]
	v_fma_f64 v[42:43], -v[38:39], v[40:41], 1.0
	s_delay_alu instid0(VALU_DEP_1) | instskip(SKIP_1) | instid1(VALU_DEP_1)
	v_fma_f64 v[40:41], v[40:41], v[42:43], v[40:41]
	v_div_scale_f64 v[42:43], vcc_lo, v[36:37], v[26:27], v[36:37]
	v_mul_f64_e32 v[44:45], v[42:43], v[40:41]
	s_delay_alu instid0(VALU_DEP_1) | instskip(SKIP_1) | instid1(VALU_DEP_1)
	v_fma_f64 v[38:39], -v[38:39], v[44:45], v[42:43]
	s_wait_alu 0xfffd
	v_div_fmas_f64 v[38:39], v[38:39], v[40:41], v[44:45]
	s_delay_alu instid0(VALU_DEP_1) | instskip(NEXT) | instid1(VALU_DEP_1)
	v_div_fixup_f64 v[38:39], v[38:39], v[26:27], v[36:37]
	v_fma_f64 v[36:37], v[36:37], v[38:39], 0
	v_fma_f64 v[30:31], v[38:39], v[38:39], v[28:29]
	s_delay_alu instid0(VALU_DEP_2) | instskip(SKIP_2) | instid1(VALU_DEP_3)
	v_add_f64_e32 v[40:41], v[34:35], v[36:37]
	v_add_f64_e32 v[32:33], v[32:33], v[36:37]
	;; [unrolled: 1-line block ×3, first 2 shown]
	v_ldexp_f64 v[40:41], -v[40:41], 3
	s_delay_alu instid0(VALU_DEP_1) | instskip(NEXT) | instid1(VALU_DEP_1)
	v_fma_f64 v[30:31], |v[20:21]|, v[30:31], v[40:41]
	v_add_f64_e64 v[30:31], v[30:31], -v[36:37]
	s_delay_alu instid0(VALU_DEP_1) | instskip(NEXT) | instid1(VALU_DEP_1)
	v_add_f64_e32 v[30:31], v[18:19], v[30:31]
	v_add_f64_e32 v[30:31], v[32:33], v[30:31]
	;; [unrolled: 1-line block ×3, first 2 shown]
	s_delay_alu instid0(VALU_DEP_2) | instskip(NEXT) | instid1(VALU_DEP_1)
	v_mul_f64_e32 v[30:31], s[14:15], v[30:31]
	v_cmp_le_f64_e64 s1, |v[32:33]|, v[30:31]
	v_mul_f64_e32 v[30:31], v[38:39], v[38:39]
	s_wait_alu 0xfffe
	s_or_b32 s1, s7, s1
	s_mov_b32 s7, s2
	s_wait_alu 0xfffe
	s_and_b32 s1, exec_lo, s1
	s_wait_alu 0xfffe
	s_or_b32 s6, s1, s6
	s_wait_alu 0xfffe
	s_and_not1_b32 exec_lo, exec_lo, s6
	s_cbranch_execz .LBB47_193
.LBB47_177:                             ; =>This Loop Header: Depth=1
                                        ;     Child Loop BB47_191 Depth 2
	global_load_b64 v[36:37], v[1:2], off offset:-16
	s_wait_loadcnt 0x0
	v_mul_f64_e32 v[40:41], v[26:27], v[36:37]
	v_fma_f64 v[38:39], -v[28:29], v[36:37], v[32:33]
	v_add_f64_e32 v[28:29], v[30:31], v[28:29]
	v_add_f64_e32 v[36:37], v[26:27], v[36:37]
	s_delay_alu instid0(VALU_DEP_4) | instskip(NEXT) | instid1(VALU_DEP_4)
	v_mul_f64_e32 v[34:35], v[32:33], v[40:41]
	v_fma_f64 v[38:39], -v[26:27], v[30:31], v[38:39]
	s_delay_alu instid0(VALU_DEP_4) | instskip(NEXT) | instid1(VALU_DEP_3)
	v_mul_f64_e32 v[30:31], v[28:29], v[40:41]
	v_mul_f64_e32 v[40:41], -4.0, v[34:35]
	s_delay_alu instid0(VALU_DEP_2) | instskip(NEXT) | instid1(VALU_DEP_2)
	v_fma_f64 v[36:37], v[32:33], v[36:37], -v[30:31]
	v_mul_f64_e32 v[30:31], v[40:41], v[38:39]
	s_delay_alu instid0(VALU_DEP_1) | instskip(NEXT) | instid1(VALU_DEP_1)
	v_fma_f64 v[30:31], v[36:37], v[36:37], v[30:31]
	v_cmp_gt_f64_e64 s1, 0x10000000, |v[30:31]|
	s_wait_alu 0xf1ff
	s_delay_alu instid0(VALU_DEP_1) | instskip(NEXT) | instid1(VALU_DEP_1)
	v_cndmask_b32_e64 v3, 0, 0x100, s1
	v_ldexp_f64 v[30:31], |v[30:31]|, v3
	v_cndmask_b32_e64 v3, 0, 0xffffff80, s1
	v_cmp_le_f64_e64 s1, 0, v[36:37]
	s_delay_alu instid0(VALU_DEP_3) | instskip(SKIP_1) | instid1(TRANS32_DEP_1)
	v_rsq_f64_e32 v[40:41], v[30:31]
	v_cmp_class_f64_e64 vcc_lo, v[30:31], 0x260
	v_mul_f64_e32 v[42:43], v[30:31], v[40:41]
	v_mul_f64_e32 v[40:41], 0.5, v[40:41]
	s_delay_alu instid0(VALU_DEP_1) | instskip(NEXT) | instid1(VALU_DEP_1)
	v_fma_f64 v[44:45], -v[40:41], v[42:43], 0.5
	v_fma_f64 v[42:43], v[42:43], v[44:45], v[42:43]
	v_fma_f64 v[40:41], v[40:41], v[44:45], v[40:41]
	s_delay_alu instid0(VALU_DEP_2) | instskip(NEXT) | instid1(VALU_DEP_1)
	v_fma_f64 v[44:45], -v[42:43], v[42:43], v[30:31]
	v_fma_f64 v[42:43], v[44:45], v[40:41], v[42:43]
	s_delay_alu instid0(VALU_DEP_1) | instskip(NEXT) | instid1(VALU_DEP_1)
	v_fma_f64 v[44:45], -v[42:43], v[42:43], v[30:31]
	v_fma_f64 v[40:41], v[44:45], v[40:41], v[42:43]
	s_delay_alu instid0(VALU_DEP_1) | instskip(SKIP_1) | instid1(VALU_DEP_1)
	v_ldexp_f64 v[40:41], v[40:41], v3
	s_wait_alu 0xfffd
	v_dual_cndmask_b32 v41, v41, v31 :: v_dual_cndmask_b32 v40, v40, v30
                                        ; implicit-def: $vgpr30_vgpr31
	s_and_saveexec_b32 s2, s1
	s_wait_alu 0xfffe
	s_xor_b32 s1, exec_lo, s2
	s_cbranch_execz .LBB47_179
; %bb.178:                              ;   in Loop: Header=BB47_177 Depth=1
	v_add_f64_e32 v[30:31], v[36:37], v[40:41]
	v_add_f64_e32 v[34:35], v[38:39], v[38:39]
	s_delay_alu instid0(VALU_DEP_1) | instskip(NEXT) | instid1(VALU_DEP_1)
	v_div_scale_f64 v[36:37], null, v[34:35], v[34:35], v[30:31]
	v_rcp_f64_e32 v[38:39], v[36:37]
	s_delay_alu instid0(TRANS32_DEP_1) | instskip(NEXT) | instid1(VALU_DEP_1)
	v_fma_f64 v[40:41], -v[36:37], v[38:39], 1.0
	v_fma_f64 v[38:39], v[38:39], v[40:41], v[38:39]
	s_delay_alu instid0(VALU_DEP_1) | instskip(NEXT) | instid1(VALU_DEP_1)
	v_fma_f64 v[40:41], -v[36:37], v[38:39], 1.0
	v_fma_f64 v[38:39], v[38:39], v[40:41], v[38:39]
	v_div_scale_f64 v[40:41], vcc_lo, v[30:31], v[34:35], v[30:31]
	s_delay_alu instid0(VALU_DEP_1) | instskip(NEXT) | instid1(VALU_DEP_1)
	v_mul_f64_e32 v[42:43], v[40:41], v[38:39]
	v_fma_f64 v[36:37], -v[36:37], v[42:43], v[40:41]
                                        ; implicit-def: $vgpr40_vgpr41
	s_wait_alu 0xfffd
	s_delay_alu instid0(VALU_DEP_1) | instskip(NEXT) | instid1(VALU_DEP_1)
	v_div_fmas_f64 v[36:37], v[36:37], v[38:39], v[42:43]
	v_div_fixup_f64 v[30:31], v[36:37], v[34:35], v[30:31]
                                        ; implicit-def: $vgpr34_vgpr35
                                        ; implicit-def: $vgpr36_vgpr37
.LBB47_179:                             ;   in Loop: Header=BB47_177 Depth=1
	s_wait_alu 0xfffe
	s_and_not1_saveexec_b32 s1, s1
	s_cbranch_execz .LBB47_181
; %bb.180:                              ;   in Loop: Header=BB47_177 Depth=1
	v_add_f64_e32 v[30:31], v[34:35], v[34:35]
	v_add_f64_e64 v[34:35], v[36:37], -v[40:41]
	s_delay_alu instid0(VALU_DEP_1) | instskip(NEXT) | instid1(VALU_DEP_1)
	v_div_scale_f64 v[36:37], null, v[34:35], v[34:35], v[30:31]
	v_rcp_f64_e32 v[38:39], v[36:37]
	s_delay_alu instid0(TRANS32_DEP_1) | instskip(NEXT) | instid1(VALU_DEP_1)
	v_fma_f64 v[40:41], -v[36:37], v[38:39], 1.0
	v_fma_f64 v[38:39], v[38:39], v[40:41], v[38:39]
	s_delay_alu instid0(VALU_DEP_1) | instskip(NEXT) | instid1(VALU_DEP_1)
	v_fma_f64 v[40:41], -v[36:37], v[38:39], 1.0
	v_fma_f64 v[38:39], v[38:39], v[40:41], v[38:39]
	v_div_scale_f64 v[40:41], vcc_lo, v[30:31], v[34:35], v[30:31]
	s_delay_alu instid0(VALU_DEP_1) | instskip(NEXT) | instid1(VALU_DEP_1)
	v_mul_f64_e32 v[42:43], v[40:41], v[38:39]
	v_fma_f64 v[36:37], -v[36:37], v[42:43], v[40:41]
	s_wait_alu 0xfffd
	s_delay_alu instid0(VALU_DEP_1) | instskip(NEXT) | instid1(VALU_DEP_1)
	v_div_fmas_f64 v[36:37], v[36:37], v[38:39], v[42:43]
	v_div_fixup_f64 v[30:31], v[36:37], v[34:35], v[30:31]
.LBB47_181:                             ;   in Loop: Header=BB47_177 Depth=1
	s_wait_alu 0xfffe
	s_or_b32 exec_lo, exec_lo, s1
	s_delay_alu instid0(VALU_DEP_1) | instskip(SKIP_1) | instid1(VALU_DEP_1)
	v_mul_f64_e32 v[34:35], v[32:33], v[30:31]
	s_mov_b32 s1, exec_lo
	v_cmpx_lt_f64_e32 0, v[34:35]
	s_cbranch_execz .LBB47_183
; %bb.182:                              ;   in Loop: Header=BB47_177 Depth=1
	v_div_scale_f64 v[30:31], null, v[28:29], v[28:29], -v[32:33]
	s_delay_alu instid0(VALU_DEP_1) | instskip(NEXT) | instid1(TRANS32_DEP_1)
	v_rcp_f64_e32 v[34:35], v[30:31]
	v_fma_f64 v[36:37], -v[30:31], v[34:35], 1.0
	s_delay_alu instid0(VALU_DEP_1) | instskip(NEXT) | instid1(VALU_DEP_1)
	v_fma_f64 v[34:35], v[34:35], v[36:37], v[34:35]
	v_fma_f64 v[36:37], -v[30:31], v[34:35], 1.0
	s_delay_alu instid0(VALU_DEP_1) | instskip(SKIP_1) | instid1(VALU_DEP_1)
	v_fma_f64 v[34:35], v[34:35], v[36:37], v[34:35]
	v_div_scale_f64 v[36:37], vcc_lo, -v[32:33], v[28:29], -v[32:33]
	v_mul_f64_e32 v[38:39], v[36:37], v[34:35]
	s_delay_alu instid0(VALU_DEP_1) | instskip(SKIP_1) | instid1(VALU_DEP_1)
	v_fma_f64 v[30:31], -v[30:31], v[38:39], v[36:37]
	s_wait_alu 0xfffd
	v_div_fmas_f64 v[30:31], v[30:31], v[34:35], v[38:39]
	s_delay_alu instid0(VALU_DEP_1)
	v_div_fixup_f64 v[30:31], v[30:31], v[28:29], -v[32:33]
.LBB47_183:                             ;   in Loop: Header=BB47_177 Depth=1
	s_wait_alu 0xfffe
	s_or_b32 exec_lo, exec_lo, s1
	v_cmp_lt_f64_e32 vcc_lo, v[24:25], v[20:21]
	v_cmp_lt_f64_e64 s1, 0, v[32:33]
	v_cmp_lt_f64_e64 s2, v[20:21], v[22:23]
	s_delay_alu instid0(VALU_DEP_4)
	v_add_f64_e32 v[28:29], v[20:21], v[30:31]
	s_wait_alu 0xfffd
	v_dual_cndmask_b32 v3, v24, v20 :: v_dual_cndmask_b32 v34, v25, v21
	v_cmp_nge_f64_e32 vcc_lo, 0, v[32:33]
	s_and_b32 s1, s1, s2
	s_wait_alu 0xfffe
	v_cndmask_b32_e64 v23, v23, v21, s1
	v_cndmask_b32_e64 v22, v22, v20, s1
	s_wait_alu 0xfffd
	v_dual_cndmask_b32 v25, v34, v25 :: v_dual_cndmask_b32 v24, v3, v24
	s_delay_alu instid0(VALU_DEP_2) | instskip(NEXT) | instid1(VALU_DEP_2)
	v_cmp_gt_f64_e32 vcc_lo, v[28:29], v[22:23]
	v_cmp_lt_f64_e64 s1, v[28:29], v[24:25]
	s_or_b32 s2, vcc_lo, s1
	s_wait_alu 0xfffe
	s_and_saveexec_b32 s1, s2
	s_cbranch_execz .LBB47_189
; %bb.184:                              ;   in Loop: Header=BB47_177 Depth=1
	s_mov_b32 s2, exec_lo
                                        ; implicit-def: $vgpr30_vgpr31
	v_cmpx_ngt_f64_e32 0, v[32:33]
	s_wait_alu 0xfffe
	s_xor_b32 s2, exec_lo, s2
	s_cbranch_execz .LBB47_186
; %bb.185:                              ;   in Loop: Header=BB47_177 Depth=1
	v_add_f64_e64 v[28:29], v[24:25], -v[20:21]
	s_delay_alu instid0(VALU_DEP_1)
	v_mul_f64_e32 v[30:31], 0.5, v[28:29]
.LBB47_186:                             ;   in Loop: Header=BB47_177 Depth=1
	s_wait_alu 0xfffe
	s_and_not1_saveexec_b32 s2, s2
	s_cbranch_execz .LBB47_188
; %bb.187:                              ;   in Loop: Header=BB47_177 Depth=1
	v_add_f64_e64 v[28:29], v[22:23], -v[20:21]
	s_delay_alu instid0(VALU_DEP_1)
	v_mul_f64_e32 v[30:31], 0.5, v[28:29]
.LBB47_188:                             ;   in Loop: Header=BB47_177 Depth=1
	s_wait_alu 0xfffe
	s_or_b32 exec_lo, exec_lo, s2
.LBB47_189:                             ;   in Loop: Header=BB47_177 Depth=1
	s_wait_alu 0xfffe
	s_or_b32 exec_lo, exec_lo, s1
	v_mov_b32_e32 v28, 0
	v_dual_mov_b32 v29, 0 :: v_dual_mov_b32 v32, 0
	v_dual_mov_b32 v34, 0 :: v_dual_mov_b32 v33, 0
	v_mov_b32_e32 v35, 0
	s_and_saveexec_b32 s2, s0
	s_cbranch_execz .LBB47_176
; %bb.190:                              ;   in Loop: Header=BB47_177 Depth=1
	v_mov_b32_e32 v32, 0
	v_dual_mov_b32 v28, 0 :: v_dual_mov_b32 v27, v13
	v_dual_mov_b32 v33, 0 :: v_dual_mov_b32 v34, 0
	;; [unrolled: 1-line block ×4, first 2 shown]
	v_mov_b32_e32 v35, 0
	v_mov_b32_e32 v3, v0
	s_mov_b32 s8, 0
.LBB47_191:                             ;   Parent Loop BB47_177 Depth=1
                                        ; =>  This Inner Loop Header: Depth=2
	global_load_b64 v[38:39], v[36:37], off
	v_add_nc_u32_e32 v3, -1, v3
	s_wait_loadcnt 0x0
	v_add_f64_e64 v[38:39], v[38:39], -v[30:31]
	global_store_b64 v[36:37], v[38:39], off
	global_load_b64 v[40:41], v[26:27], off
	v_add_co_u32 v36, s1, v36, 8
	s_wait_alu 0xf1ff
	v_add_co_ci_u32_e64 v37, null, 0, v37, s1
	v_add_co_u32 v26, s1, v26, 8
	s_wait_alu 0xf1ff
	v_add_co_ci_u32_e64 v27, null, 0, v27, s1
	s_wait_loadcnt 0x0
	v_div_scale_f64 v[42:43], null, v[38:39], v[38:39], v[40:41]
	v_div_scale_f64 v[48:49], vcc_lo, v[40:41], v[38:39], v[40:41]
	s_delay_alu instid0(VALU_DEP_2) | instskip(NEXT) | instid1(TRANS32_DEP_1)
	v_rcp_f64_e32 v[44:45], v[42:43]
	v_fma_f64 v[46:47], -v[42:43], v[44:45], 1.0
	s_delay_alu instid0(VALU_DEP_1) | instskip(NEXT) | instid1(VALU_DEP_1)
	v_fma_f64 v[44:45], v[44:45], v[46:47], v[44:45]
	v_fma_f64 v[46:47], -v[42:43], v[44:45], 1.0
	s_delay_alu instid0(VALU_DEP_1) | instskip(NEXT) | instid1(VALU_DEP_1)
	v_fma_f64 v[44:45], v[44:45], v[46:47], v[44:45]
	v_mul_f64_e32 v[46:47], v[48:49], v[44:45]
	s_delay_alu instid0(VALU_DEP_1) | instskip(SKIP_1) | instid1(VALU_DEP_1)
	v_fma_f64 v[42:43], -v[42:43], v[46:47], v[48:49]
	s_wait_alu 0xfffd
	v_div_fmas_f64 v[42:43], v[42:43], v[44:45], v[46:47]
	v_cmp_eq_u32_e32 vcc_lo, 0, v3
	s_wait_alu 0xfffe
	s_or_b32 s8, vcc_lo, s8
	s_delay_alu instid0(VALU_DEP_2) | instskip(NEXT) | instid1(VALU_DEP_1)
	v_div_fixup_f64 v[38:39], v[42:43], v[38:39], v[40:41]
	v_fma_f64 v[34:35], v[40:41], v[38:39], v[34:35]
	v_fma_f64 v[28:29], v[38:39], v[38:39], v[28:29]
	s_delay_alu instid0(VALU_DEP_2)
	v_add_f64_e32 v[32:33], v[32:33], v[34:35]
	s_wait_alu 0xfffe
	s_and_not1_b32 exec_lo, exec_lo, s8
	s_cbranch_execnz .LBB47_191
; %bb.192:                              ;   in Loop: Header=BB47_177 Depth=1
	s_or_b32 exec_lo, exec_lo, s8
	global_load_b64 v[26:27], v[10:11], off
	v_and_b32_e32 v33, 0x7fffffff, v33
	s_branch .LBB47_176
.LBB47_193:
	s_or_b32 exec_lo, exec_lo, s6
.LBB47_194:
	s_wait_alu 0xfffe
	s_or_b32 exec_lo, exec_lo, s5
.LBB47_195:
	s_wait_alu 0xfffe
	s_or_b32 exec_lo, exec_lo, s4
	v_add_f64_e32 v[1:2], v[16:17], v[20:21]
.LBB47_196:
	s_wait_alu 0xfffe
	s_or_b32 exec_lo, exec_lo, s3
	s_wait_loadcnt 0x1
	v_cmp_gt_f64_e32 vcc_lo, 0, v[6:7]
	v_add_co_u32 v3, s0, s12, v4
	s_wait_alu 0xf1ff
	v_add_co_ci_u32_e64 v4, null, s13, v5, s0
	global_store_b64 v[3:4], v[1:2], off
	s_and_b32 exec_lo, exec_lo, vcc_lo
	s_cbranch_execz .LBB47_198
; %bb.197:
	v_xor_b32_e32 v2, 0x80000000, v2
	global_store_b64 v[3:4], v[1:2], off
.LBB47_198:
	s_endpgm
	.section	.rodata,"a",@progbits
	.p2align	6, 0x0
	.amdhsa_kernel _ZN9rocsolver6v33100L30stedc_mergeValues_Solve_kernelIdEEviiPT_lS3_lS3_S3_PiS2_S2_S2_
		.amdhsa_group_segment_fixed_size 0
		.amdhsa_private_segment_fixed_size 0
		.amdhsa_kernarg_size 344
		.amdhsa_user_sgpr_count 2
		.amdhsa_user_sgpr_dispatch_ptr 0
		.amdhsa_user_sgpr_queue_ptr 0
		.amdhsa_user_sgpr_kernarg_segment_ptr 1
		.amdhsa_user_sgpr_dispatch_id 0
		.amdhsa_user_sgpr_private_segment_size 0
		.amdhsa_wavefront_size32 1
		.amdhsa_uses_dynamic_stack 0
		.amdhsa_enable_private_segment 0
		.amdhsa_system_sgpr_workgroup_id_x 1
		.amdhsa_system_sgpr_workgroup_id_y 1
		.amdhsa_system_sgpr_workgroup_id_z 0
		.amdhsa_system_sgpr_workgroup_info 0
		.amdhsa_system_vgpr_workitem_id 0
		.amdhsa_next_free_vgpr 76
		.amdhsa_next_free_sgpr 28
		.amdhsa_reserve_vcc 1
		.amdhsa_float_round_mode_32 0
		.amdhsa_float_round_mode_16_64 0
		.amdhsa_float_denorm_mode_32 3
		.amdhsa_float_denorm_mode_16_64 3
		.amdhsa_fp16_overflow 0
		.amdhsa_workgroup_processor_mode 1
		.amdhsa_memory_ordered 1
		.amdhsa_forward_progress 1
		.amdhsa_inst_pref_size 127
		.amdhsa_round_robin_scheduling 0
		.amdhsa_exception_fp_ieee_invalid_op 0
		.amdhsa_exception_fp_denorm_src 0
		.amdhsa_exception_fp_ieee_div_zero 0
		.amdhsa_exception_fp_ieee_overflow 0
		.amdhsa_exception_fp_ieee_underflow 0
		.amdhsa_exception_fp_ieee_inexact 0
		.amdhsa_exception_int_div_zero 0
	.end_amdhsa_kernel
	.section	.text._ZN9rocsolver6v33100L30stedc_mergeValues_Solve_kernelIdEEviiPT_lS3_lS3_S3_PiS2_S2_S2_,"axG",@progbits,_ZN9rocsolver6v33100L30stedc_mergeValues_Solve_kernelIdEEviiPT_lS3_lS3_S3_PiS2_S2_S2_,comdat
.Lfunc_end47:
	.size	_ZN9rocsolver6v33100L30stedc_mergeValues_Solve_kernelIdEEviiPT_lS3_lS3_S3_PiS2_S2_S2_, .Lfunc_end47-_ZN9rocsolver6v33100L30stedc_mergeValues_Solve_kernelIdEEviiPT_lS3_lS3_S3_PiS2_S2_S2_
                                        ; -- End function
	.set _ZN9rocsolver6v33100L30stedc_mergeValues_Solve_kernelIdEEviiPT_lS3_lS3_S3_PiS2_S2_S2_.num_vgpr, 76
	.set _ZN9rocsolver6v33100L30stedc_mergeValues_Solve_kernelIdEEviiPT_lS3_lS3_S3_PiS2_S2_S2_.num_agpr, 0
	.set _ZN9rocsolver6v33100L30stedc_mergeValues_Solve_kernelIdEEviiPT_lS3_lS3_S3_PiS2_S2_S2_.numbered_sgpr, 28
	.set _ZN9rocsolver6v33100L30stedc_mergeValues_Solve_kernelIdEEviiPT_lS3_lS3_S3_PiS2_S2_S2_.num_named_barrier, 0
	.set _ZN9rocsolver6v33100L30stedc_mergeValues_Solve_kernelIdEEviiPT_lS3_lS3_S3_PiS2_S2_S2_.private_seg_size, 0
	.set _ZN9rocsolver6v33100L30stedc_mergeValues_Solve_kernelIdEEviiPT_lS3_lS3_S3_PiS2_S2_S2_.uses_vcc, 1
	.set _ZN9rocsolver6v33100L30stedc_mergeValues_Solve_kernelIdEEviiPT_lS3_lS3_S3_PiS2_S2_S2_.uses_flat_scratch, 0
	.set _ZN9rocsolver6v33100L30stedc_mergeValues_Solve_kernelIdEEviiPT_lS3_lS3_S3_PiS2_S2_S2_.has_dyn_sized_stack, 0
	.set _ZN9rocsolver6v33100L30stedc_mergeValues_Solve_kernelIdEEviiPT_lS3_lS3_S3_PiS2_S2_S2_.has_recursion, 0
	.set _ZN9rocsolver6v33100L30stedc_mergeValues_Solve_kernelIdEEviiPT_lS3_lS3_S3_PiS2_S2_S2_.has_indirect_call, 0
	.section	.AMDGPU.csdata,"",@progbits
; Kernel info:
; codeLenInByte = 16208
; TotalNumSgprs: 30
; NumVgprs: 76
; ScratchSize: 0
; MemoryBound: 1
; FloatMode: 240
; IeeeMode: 1
; LDSByteSize: 0 bytes/workgroup (compile time only)
; SGPRBlocks: 0
; VGPRBlocks: 9
; NumSGPRsForWavesPerEU: 30
; NumVGPRsForWavesPerEU: 76
; Occupancy: 16
; WaveLimiterHint : 1
; COMPUTE_PGM_RSRC2:SCRATCH_EN: 0
; COMPUTE_PGM_RSRC2:USER_SGPR: 2
; COMPUTE_PGM_RSRC2:TRAP_HANDLER: 0
; COMPUTE_PGM_RSRC2:TGID_X_EN: 1
; COMPUTE_PGM_RSRC2:TGID_Y_EN: 1
; COMPUTE_PGM_RSRC2:TGID_Z_EN: 0
; COMPUTE_PGM_RSRC2:TIDIG_COMP_CNT: 0
	.section	.text._ZN9rocsolver6v33100L32stedc_mergeValues_Rescale_kernelIdEEviiPT_lS3_lS3_S3_PiS2_S2_S2_,"axG",@progbits,_ZN9rocsolver6v33100L32stedc_mergeValues_Rescale_kernelIdEEviiPT_lS3_lS3_S3_PiS2_S2_S2_,comdat
	.globl	_ZN9rocsolver6v33100L32stedc_mergeValues_Rescale_kernelIdEEviiPT_lS3_lS3_S3_PiS2_S2_S2_ ; -- Begin function _ZN9rocsolver6v33100L32stedc_mergeValues_Rescale_kernelIdEEviiPT_lS3_lS3_S3_PiS2_S2_S2_
	.p2align	8
	.type	_ZN9rocsolver6v33100L32stedc_mergeValues_Rescale_kernelIdEEviiPT_lS3_lS3_S3_PiS2_S2_S2_,@function
_ZN9rocsolver6v33100L32stedc_mergeValues_Rescale_kernelIdEEviiPT_lS3_lS3_S3_PiS2_S2_S2_: ; @_ZN9rocsolver6v33100L32stedc_mergeValues_Rescale_kernelIdEEviiPT_lS3_lS3_S3_PiS2_S2_S2_
; %bb.0:
	s_clause 0x1
	s_load_b32 s12, s[0:1], 0x4
	s_load_b64 s[4:5], s[0:1], 0x38
	s_mov_b32 s2, ttmp9
	s_ashr_i32 s3, ttmp9, 31
	s_wait_kmcnt 0x0
	s_mul_i32 s14, s12, ttmp7
	s_mul_i32 s8, s12, 6
	s_mul_i32 s6, s14, 13
	s_ashr_i32 s9, s8, 31
	s_ashr_i32 s7, s6, 31
	s_ashr_i32 s13, s12, 31
	s_lshl_b64 s[6:7], s[6:7], 2
	s_lshl_b64 s[8:9], s[8:9], 2
	s_add_nc_u64 s[4:5], s[4:5], s[6:7]
	s_lshl_b64 s[6:7], s[12:13], 2
	s_add_nc_u64 s[4:5], s[4:5], s[8:9]
	;; [unrolled: 2-line block ×3, first 2 shown]
	s_add_nc_u64 s[4:5], s[4:5], s[8:9]
	s_add_nc_u64 s[6:7], s[6:7], s[8:9]
	s_clause 0x1
	s_load_b32 s13, s[4:5], 0x0
	s_load_b32 s15, s[6:7], 0x0
	s_wait_kmcnt 0x0
	s_sub_co_i32 s4, ttmp9, s13
	s_delay_alu instid0(SALU_CYCLE_1)
	s_cmp_ge_i32 s4, s15
	s_cbranch_scc1 .LBB48_17
; %bb.1:
	s_load_b128 s[4:7], s[0:1], 0x28
	s_mov_b32 s9, exec_lo
                                        ; implicit-def: $sgpr8
	v_cmpx_le_i32_e64 s15, v0
	s_xor_b32 s9, exec_lo, s9
; %bb.2:
	s_load_b32 s8, s[0:1], 0x64
; %bb.3:
	s_or_saveexec_b32 s16, s9
	s_wait_kmcnt 0x0
	v_dual_mov_b32 v1, 0 :: v_dual_mov_b32 v4, s8
	v_mov_b32_e32 v2, 0x3ff00000
	s_xor_b32 exec_lo, exec_lo, s16
	s_cbranch_execz .LBB48_9
; %bb.4:
	s_clause 0x1
	s_load_b128 s[8:11], s[0:1], 0x8
	s_load_b32 s17, s[0:1], 0x64
	v_add_nc_u32_e32 v3, s13, v0
	v_dual_mov_b32 v1, 0 :: v_dual_mov_b32 v6, v0
	v_mov_b32_e32 v2, 0x3ff00000
	s_mul_i32 s19, s14, s12
	s_delay_alu instid0(VALU_DEP_3)
	v_mad_co_u64_u32 v[3:4], null, s12, v3, s[2:3]
	s_mov_b32 s20, ttmp7
	s_ashr_i32 s21, ttmp7, 31
	s_lshl_b32 s24, s19, 1
	s_mul_i32 s0, s12, s12
	s_ashr_i32 s25, s24, 31
	s_mov_b32 s1, 0
	s_lshl_b64 s[24:25], s[24:25], 3
	v_subrev_nc_u32_e32 v3, s13, v3
	s_lshl_b64 s[22:23], s[2:3], 3
	s_lshl_b64 s[26:27], s[0:1], 3
	s_add_nc_u64 s[6:7], s[6:7], s[24:25]
	s_wait_kmcnt 0x0
	s_mul_u64 s[10:11], s[10:11], s[20:21]
	s_and_b32 s0, s17, 0xffff
	s_lshl_b64 s[10:11], s[10:11], 3
	s_sub_co_i32 s18, s13, s2
	s_add_nc_u64 s[8:9], s[8:9], s[10:11]
	s_add_nc_u64 s[6:7], s[6:7], s[26:27]
	s_wait_alu 0xfffe
	s_add_nc_u64 s[10:11], s[8:9], s[22:23]
	s_mul_i32 s19, s12, s0
	s_branch .LBB48_6
.LBB48_5:                               ;   in Loop: Header=BB48_6 Depth=1
	s_or_b32 exec_lo, exec_lo, s20
	s_wait_loadcnt 0x0
	s_delay_alu instid0(VALU_DEP_1) | instskip(SKIP_2) | instid1(VALU_DEP_2)
	v_mul_f64_e32 v[1:2], v[1:2], v[4:5]
	v_add_nc_u32_e32 v6, s0, v6
	v_add_nc_u32_e32 v3, s19, v3
	v_cmp_le_i32_e32 vcc_lo, s15, v6
	s_or_b32 s1, vcc_lo, s1
	s_wait_alu 0xfffe
	s_and_not1_b32 exec_lo, exec_lo, s1
	s_cbranch_execz .LBB48_8
.LBB48_6:                               ; =>This Inner Loop Header: Depth=1
	v_ashrrev_i32_e32 v4, 31, v3
	v_add_nc_u32_e32 v7, s18, v6
	s_mov_b32 s20, exec_lo
	s_delay_alu instid0(VALU_DEP_2) | instskip(NEXT) | instid1(VALU_DEP_1)
	v_lshlrev_b64_e32 v[4:5], 3, v[3:4]
	v_add_co_u32 v4, vcc_lo, s6, v4
	s_wait_alu 0xfffd
	s_delay_alu instid0(VALU_DEP_2)
	v_add_co_ci_u32_e64 v5, null, s7, v5, vcc_lo
	global_load_b64 v[4:5], v[4:5], off
	v_cmpx_ne_u32_e32 0, v7
	s_cbranch_execz .LBB48_5
; %bb.7:                                ;   in Loop: Header=BB48_6 Depth=1
	v_add_nc_u32_e32 v7, s13, v6
	s_load_b64 s[22:23], s[10:11], 0x0
	s_delay_alu instid0(VALU_DEP_1) | instskip(NEXT) | instid1(VALU_DEP_1)
	v_ashrrev_i32_e32 v8, 31, v7
	v_lshlrev_b64_e32 v[7:8], 3, v[7:8]
	s_delay_alu instid0(VALU_DEP_1) | instskip(SKIP_1) | instid1(VALU_DEP_2)
	v_add_co_u32 v7, vcc_lo, s8, v7
	s_wait_alu 0xfffd
	v_add_co_ci_u32_e64 v8, null, s9, v8, vcc_lo
	global_load_b64 v[7:8], v[7:8], off
	s_wait_loadcnt 0x0
	s_wait_kmcnt 0x0
	v_add_f64_e64 v[7:8], s[22:23], -v[7:8]
	s_delay_alu instid0(VALU_DEP_1) | instskip(NEXT) | instid1(VALU_DEP_1)
	v_div_scale_f64 v[9:10], null, v[7:8], v[7:8], v[4:5]
	v_rcp_f64_e32 v[11:12], v[9:10]
	s_delay_alu instid0(TRANS32_DEP_1) | instskip(NEXT) | instid1(VALU_DEP_1)
	v_fma_f64 v[13:14], -v[9:10], v[11:12], 1.0
	v_fma_f64 v[11:12], v[11:12], v[13:14], v[11:12]
	s_delay_alu instid0(VALU_DEP_1) | instskip(NEXT) | instid1(VALU_DEP_1)
	v_fma_f64 v[13:14], -v[9:10], v[11:12], 1.0
	v_fma_f64 v[11:12], v[11:12], v[13:14], v[11:12]
	v_div_scale_f64 v[13:14], vcc_lo, v[4:5], v[7:8], v[4:5]
	s_delay_alu instid0(VALU_DEP_1) | instskip(NEXT) | instid1(VALU_DEP_1)
	v_mul_f64_e32 v[15:16], v[13:14], v[11:12]
	v_fma_f64 v[9:10], -v[9:10], v[15:16], v[13:14]
	s_wait_alu 0xfffd
	s_delay_alu instid0(VALU_DEP_1) | instskip(NEXT) | instid1(VALU_DEP_1)
	v_div_fmas_f64 v[9:10], v[9:10], v[11:12], v[15:16]
	v_div_fixup_f64 v[4:5], v[9:10], v[7:8], v[4:5]
	s_branch .LBB48_5
.LBB48_8:
	s_or_b32 exec_lo, exec_lo, s1
	v_mov_b32_e32 v4, s17
.LBB48_9:
	s_or_b32 exec_lo, exec_lo, s16
	v_lshlrev_b32_e32 v3, 3, v0
	s_mov_b32 s0, exec_lo
	ds_store_b64 v3, v[1:2]
	s_wait_dscnt 0x0
	s_barrier_signal -1
	s_barrier_wait -1
	global_inv scope:SCOPE_SE
	v_cmpx_lt_u16_e32 1, v4
	s_cbranch_execz .LBB48_15
; %bb.10:
	v_lshrrev_b16 v4, 1, v4
	s_mov_b32 s1, 0
	s_delay_alu instid0(VALU_DEP_1)
	v_and_b32_e32 v4, 0xffff, v4
	s_branch .LBB48_12
.LBB48_11:                              ;   in Loop: Header=BB48_12 Depth=1
	s_wait_alu 0xfffe
	s_or_b32 exec_lo, exec_lo, s6
	v_lshrrev_b32_e32 v5, 1, v4
	v_cmp_gt_u32_e32 vcc_lo, 2, v4
	s_wait_loadcnt_dscnt 0x0
	s_barrier_signal -1
	s_barrier_wait -1
	v_mov_b32_e32 v4, v5
	s_or_b32 s1, vcc_lo, s1
	global_inv scope:SCOPE_SE
	s_wait_alu 0xfffe
	s_and_not1_b32 exec_lo, exec_lo, s1
	s_cbranch_execz .LBB48_14
.LBB48_12:                              ; =>This Inner Loop Header: Depth=1
	s_mov_b32 s6, exec_lo
	s_delay_alu instid0(VALU_DEP_1)
	v_cmpx_lt_u32_e64 v0, v4
	s_cbranch_execz .LBB48_11
; %bb.13:                               ;   in Loop: Header=BB48_12 Depth=1
	v_lshl_add_u32 v5, v4, 3, v3
	ds_load_b64 v[5:6], v5
	s_wait_dscnt 0x0
	v_mul_f64_e32 v[1:2], v[1:2], v[5:6]
	ds_store_b64 v3, v[1:2]
	s_branch .LBB48_11
.LBB48_14:
	s_or_b32 exec_lo, exec_lo, s1
.LBB48_15:
	s_wait_alu 0xfffe
	s_or_b32 exec_lo, exec_lo, s0
	s_delay_alu instid0(SALU_CYCLE_1)
	s_mov_b32 s0, exec_lo
	v_cmpx_eq_u32_e32 0, v0
	s_cbranch_execz .LBB48_17
; %bb.16:
	v_cmp_gt_f64_e64 s0, 0x10000000, |v[1:2]|
	s_lshl_b32 s6, s12, 3
	s_lshl_b64 s[2:3], s[2:3], 3
	s_wait_alu 0xfffe
	s_ashr_i32 s7, s6, 31
	s_wait_alu 0xfffe
	s_lshl_b64 s[6:7], s[6:7], 3
	v_cndmask_b32_e64 v0, 0, 0x100, s0
	s_delay_alu instid0(VALU_DEP_1) | instskip(NEXT) | instid1(VALU_DEP_1)
	v_ldexp_f64 v[0:1], |v[1:2]|, v0
	v_rsq_f64_e32 v[2:3], v[0:1]
	v_cmp_class_f64_e64 vcc_lo, v[0:1], 0x260
	s_delay_alu instid0(TRANS32_DEP_1) | instskip(SKIP_1) | instid1(VALU_DEP_1)
	v_mul_f64_e32 v[4:5], v[0:1], v[2:3]
	v_mul_f64_e32 v[2:3], 0.5, v[2:3]
	v_fma_f64 v[6:7], -v[2:3], v[4:5], 0.5
	s_delay_alu instid0(VALU_DEP_1) | instskip(SKIP_1) | instid1(VALU_DEP_2)
	v_fma_f64 v[4:5], v[4:5], v[6:7], v[4:5]
	v_fma_f64 v[2:3], v[2:3], v[6:7], v[2:3]
	v_fma_f64 v[6:7], -v[4:5], v[4:5], v[0:1]
	s_delay_alu instid0(VALU_DEP_1) | instskip(NEXT) | instid1(VALU_DEP_1)
	v_fma_f64 v[4:5], v[6:7], v[2:3], v[4:5]
	v_fma_f64 v[6:7], -v[4:5], v[4:5], v[0:1]
	s_delay_alu instid0(VALU_DEP_1)
	v_fma_f64 v[2:3], v[6:7], v[2:3], v[4:5]
	v_cndmask_b32_e64 v4, 0, 0xffffff80, s0
	s_mul_i32 s0, s14, 10
	s_wait_alu 0xfffe
	s_ashr_i32 s1, s0, 31
	s_wait_alu 0xfffe
	s_lshl_b64 s[0:1], s[0:1], 3
	s_wait_alu 0xfffe
	s_add_nc_u64 s[0:1], s[4:5], s[0:1]
	s_wait_alu 0xfffe
	s_add_nc_u64 s[0:1], s[0:1], s[6:7]
	;; [unrolled: 2-line block ×3, first 2 shown]
	s_load_b64 s[2:3], s[0:1], 0x0
	s_delay_alu instid0(VALU_DEP_2) | instskip(NEXT) | instid1(VALU_DEP_1)
	v_ldexp_f64 v[2:3], v[2:3], v4
	v_dual_cndmask_b32 v0, v2, v0 :: v_dual_cndmask_b32 v1, v3, v1
	s_wait_kmcnt 0x0
	v_cmp_lt_f64_e64 vcc_lo, s[2:3], 0
	v_mov_b32_e32 v3, 0
	s_delay_alu instid0(VALU_DEP_3) | instskip(SKIP_1) | instid1(VALU_DEP_1)
	v_xor_b32_e32 v2, 0x80000000, v1
	s_wait_alu 0xfffd
	v_cndmask_b32_e32 v1, v1, v2, vcc_lo
	global_store_b64 v3, v[0:1], s[0:1]
.LBB48_17:
	s_endpgm
	.section	.rodata,"a",@progbits
	.p2align	6, 0x0
	.amdhsa_kernel _ZN9rocsolver6v33100L32stedc_mergeValues_Rescale_kernelIdEEviiPT_lS3_lS3_S3_PiS2_S2_S2_
		.amdhsa_group_segment_fixed_size 4096
		.amdhsa_private_segment_fixed_size 0
		.amdhsa_kernarg_size 344
		.amdhsa_user_sgpr_count 2
		.amdhsa_user_sgpr_dispatch_ptr 0
		.amdhsa_user_sgpr_queue_ptr 0
		.amdhsa_user_sgpr_kernarg_segment_ptr 1
		.amdhsa_user_sgpr_dispatch_id 0
		.amdhsa_user_sgpr_private_segment_size 0
		.amdhsa_wavefront_size32 1
		.amdhsa_uses_dynamic_stack 0
		.amdhsa_enable_private_segment 0
		.amdhsa_system_sgpr_workgroup_id_x 1
		.amdhsa_system_sgpr_workgroup_id_y 1
		.amdhsa_system_sgpr_workgroup_id_z 0
		.amdhsa_system_sgpr_workgroup_info 0
		.amdhsa_system_vgpr_workitem_id 0
		.amdhsa_next_free_vgpr 17
		.amdhsa_next_free_sgpr 28
		.amdhsa_reserve_vcc 1
		.amdhsa_float_round_mode_32 0
		.amdhsa_float_round_mode_16_64 0
		.amdhsa_float_denorm_mode_32 3
		.amdhsa_float_denorm_mode_16_64 3
		.amdhsa_fp16_overflow 0
		.amdhsa_workgroup_processor_mode 1
		.amdhsa_memory_ordered 1
		.amdhsa_forward_progress 1
		.amdhsa_inst_pref_size 10
		.amdhsa_round_robin_scheduling 0
		.amdhsa_exception_fp_ieee_invalid_op 0
		.amdhsa_exception_fp_denorm_src 0
		.amdhsa_exception_fp_ieee_div_zero 0
		.amdhsa_exception_fp_ieee_overflow 0
		.amdhsa_exception_fp_ieee_underflow 0
		.amdhsa_exception_fp_ieee_inexact 0
		.amdhsa_exception_int_div_zero 0
	.end_amdhsa_kernel
	.section	.text._ZN9rocsolver6v33100L32stedc_mergeValues_Rescale_kernelIdEEviiPT_lS3_lS3_S3_PiS2_S2_S2_,"axG",@progbits,_ZN9rocsolver6v33100L32stedc_mergeValues_Rescale_kernelIdEEviiPT_lS3_lS3_S3_PiS2_S2_S2_,comdat
.Lfunc_end48:
	.size	_ZN9rocsolver6v33100L32stedc_mergeValues_Rescale_kernelIdEEviiPT_lS3_lS3_S3_PiS2_S2_S2_, .Lfunc_end48-_ZN9rocsolver6v33100L32stedc_mergeValues_Rescale_kernelIdEEviiPT_lS3_lS3_S3_PiS2_S2_S2_
                                        ; -- End function
	.set _ZN9rocsolver6v33100L32stedc_mergeValues_Rescale_kernelIdEEviiPT_lS3_lS3_S3_PiS2_S2_S2_.num_vgpr, 17
	.set _ZN9rocsolver6v33100L32stedc_mergeValues_Rescale_kernelIdEEviiPT_lS3_lS3_S3_PiS2_S2_S2_.num_agpr, 0
	.set _ZN9rocsolver6v33100L32stedc_mergeValues_Rescale_kernelIdEEviiPT_lS3_lS3_S3_PiS2_S2_S2_.numbered_sgpr, 28
	.set _ZN9rocsolver6v33100L32stedc_mergeValues_Rescale_kernelIdEEviiPT_lS3_lS3_S3_PiS2_S2_S2_.num_named_barrier, 0
	.set _ZN9rocsolver6v33100L32stedc_mergeValues_Rescale_kernelIdEEviiPT_lS3_lS3_S3_PiS2_S2_S2_.private_seg_size, 0
	.set _ZN9rocsolver6v33100L32stedc_mergeValues_Rescale_kernelIdEEviiPT_lS3_lS3_S3_PiS2_S2_S2_.uses_vcc, 1
	.set _ZN9rocsolver6v33100L32stedc_mergeValues_Rescale_kernelIdEEviiPT_lS3_lS3_S3_PiS2_S2_S2_.uses_flat_scratch, 0
	.set _ZN9rocsolver6v33100L32stedc_mergeValues_Rescale_kernelIdEEviiPT_lS3_lS3_S3_PiS2_S2_S2_.has_dyn_sized_stack, 0
	.set _ZN9rocsolver6v33100L32stedc_mergeValues_Rescale_kernelIdEEviiPT_lS3_lS3_S3_PiS2_S2_S2_.has_recursion, 0
	.set _ZN9rocsolver6v33100L32stedc_mergeValues_Rescale_kernelIdEEviiPT_lS3_lS3_S3_PiS2_S2_S2_.has_indirect_call, 0
	.section	.AMDGPU.csdata,"",@progbits
; Kernel info:
; codeLenInByte = 1160
; TotalNumSgprs: 30
; NumVgprs: 17
; ScratchSize: 0
; MemoryBound: 0
; FloatMode: 240
; IeeeMode: 1
; LDSByteSize: 4096 bytes/workgroup (compile time only)
; SGPRBlocks: 0
; VGPRBlocks: 2
; NumSGPRsForWavesPerEU: 30
; NumVGPRsForWavesPerEU: 17
; Occupancy: 16
; WaveLimiterHint : 1
; COMPUTE_PGM_RSRC2:SCRATCH_EN: 0
; COMPUTE_PGM_RSRC2:USER_SGPR: 2
; COMPUTE_PGM_RSRC2:TRAP_HANDLER: 0
; COMPUTE_PGM_RSRC2:TGID_X_EN: 1
; COMPUTE_PGM_RSRC2:TGID_Y_EN: 1
; COMPUTE_PGM_RSRC2:TGID_Z_EN: 0
; COMPUTE_PGM_RSRC2:TIDIG_COMP_CNT: 0
	.section	.text._ZN9rocsolver6v33100L25stedc_mergeVectors_kernelILb1EdEEviiPT0_iilS3_S3_Pi,"axG",@progbits,_ZN9rocsolver6v33100L25stedc_mergeVectors_kernelILb1EdEEviiPT0_iilS3_S3_Pi,comdat
	.globl	_ZN9rocsolver6v33100L25stedc_mergeVectors_kernelILb1EdEEviiPT0_iilS3_S3_Pi ; -- Begin function _ZN9rocsolver6v33100L25stedc_mergeVectors_kernelILb1EdEEviiPT0_iilS3_S3_Pi
	.p2align	8
	.type	_ZN9rocsolver6v33100L25stedc_mergeVectors_kernelILb1EdEEviiPT0_iilS3_S3_Pi,@function
_ZN9rocsolver6v33100L25stedc_mergeVectors_kernelILb1EdEEviiPT0_iilS3_S3_Pi: ; @_ZN9rocsolver6v33100L25stedc_mergeVectors_kernelILb1EdEEviiPT0_iilS3_S3_Pi
; %bb.0:
	s_clause 0x3
	s_load_b32 s2, s[0:1], 0x4
	s_load_b64 s[10:11], s[0:1], 0x30
	s_load_b128 s[4:7], s[0:1], 0x20
	s_load_b32 s16, s[0:1], 0x44
	s_mov_b32 s8, ttmp9
	s_ashr_i32 s9, ttmp9, 31
	s_delay_alu instid0(SALU_CYCLE_1)
	s_lshl_b64 s[8:9], s[8:9], 2
	s_wait_kmcnt 0x0
	s_mul_i32 s0, s2, ttmp7
	s_mul_i32 s14, s2, 5
	s_mul_i32 s12, s0, 13
	s_ashr_i32 s15, s14, 31
	s_ashr_i32 s13, s12, 31
	s_ashr_i32 s3, s2, 31
	s_lshl_b64 s[12:13], s[12:13], 2
	s_lshl_b64 s[14:15], s[14:15], 2
	s_add_nc_u64 s[10:11], s[10:11], s[12:13]
	s_lshl_b64 s[12:13], s[2:3], 2
	s_add_nc_u64 s[10:11], s[10:11], s[14:15]
	s_delay_alu instid0(SALU_CYCLE_1) | instskip(NEXT) | instid1(SALU_CYCLE_1)
	s_add_nc_u64 s[14:15], s[10:11], s[12:13]
	s_add_nc_u64 s[12:13], s[14:15], s[12:13]
	;; [unrolled: 1-line block ×4, first 2 shown]
	s_clause 0x1
	s_load_b32 s1, s[14:15], 0x0
	s_load_b32 s14, s[12:13], 0x0
	s_add_nc_u64 s[8:9], s[10:11], s[8:9]
	s_and_b32 s15, s16, 0xffff
	s_load_b32 s3, s[8:9], 0x0
	s_mul_i32 s8, s0, s2
	s_mul_i32 s10, s2, s2
	s_lshl_b32 s8, s8, 1
	s_mov_b32 s11, 0
	s_ashr_i32 s9, s8, 31
	s_barrier_signal -1
	s_barrier_wait -1
	global_inv scope:SCOPE_SE
	s_wait_kmcnt 0x0
	s_sub_co_i32 s12, ttmp9, s1
	s_delay_alu instid0(SALU_CYCLE_1) | instskip(SKIP_1) | instid1(SALU_CYCLE_1)
	s_cmp_ge_i32 s12, s14
	s_cselect_b32 s16, -1, 0
	s_and_b32 vcc_lo, exec_lo, s16
	s_cbranch_vccnz .LBB49_10
; %bb.1:
	v_mov_b32_e32 v1, 0
	v_mov_b32_e32 v2, 0
	s_mov_b32 s17, exec_lo
	v_cmpx_gt_i32_e64 s14, v0
	s_cbranch_execz .LBB49_5
; %bb.2:
	v_mad_co_u64_u32 v[1:2], null, s2, ttmp9, v[0:1]
	v_add_nc_u32_e32 v5, s1, v0
	s_lshl_b64 s[22:23], s[8:9], 3
	s_mul_i32 s18, s0, 10
	s_lshl_b32 s20, s2, 3
	s_lshl_b64 s[24:25], s[10:11], 3
	v_ashrrev_i32_e32 v6, 31, v5
	s_delay_alu instid0(VALU_DEP_3)
	v_ashrrev_i32_e32 v2, 31, v1
	s_ashr_i32 s19, s18, 31
	s_ashr_i32 s21, s20, 31
	s_add_nc_u64 s[24:25], s[6:7], s[24:25]
	s_lshl_b64 s[18:19], s[18:19], 3
	v_lshlrev_b64_e32 v[1:2], 3, v[1:2]
	s_lshl_b64 s[20:21], s[20:21], 3
	v_mov_b32_e32 v9, v0
	s_add_nc_u64 s[18:19], s[18:19], s[20:21]
	s_mov_b32 s13, 0
	s_add_nc_u64 s[4:5], s[4:5], s[18:19]
	v_add_co_u32 v7, vcc_lo, s22, v1
	s_delay_alu instid0(VALU_DEP_1) | instskip(SKIP_1) | instid1(VALU_DEP_3)
	v_add_co_ci_u32_e64 v8, null, s23, v2, vcc_lo
	v_lshlrev_b64_e32 v[1:2], 3, v[5:6]
	v_add_co_u32 v3, vcc_lo, s24, v7
	s_wait_alu 0xfffd
	s_delay_alu instid0(VALU_DEP_3)
	v_add_co_ci_u32_e64 v4, null, s25, v8, vcc_lo
	v_add_co_u32 v5, vcc_lo, s6, v7
	s_wait_alu 0xfffd
	v_add_co_ci_u32_e64 v6, null, s7, v8, vcc_lo
	v_add_co_u32 v7, vcc_lo, s4, v1
	s_wait_alu 0xfffd
	v_add_co_ci_u32_e64 v8, null, s5, v2, vcc_lo
	v_mov_b32_e32 v1, 0
	v_mov_b32_e32 v2, 0
	s_lshl_b32 s12, s15, 3
	s_mov_b64 s[4:5], 0
	s_mov_b32 s18, s13
.LBB49_3:                               ; =>This Inner Loop Header: Depth=1
	s_wait_alu 0xfffe
	v_add_co_u32 v10, vcc_lo, v7, s4
	s_wait_alu 0xfffd
	v_add_co_ci_u32_e64 v11, null, s5, v8, vcc_lo
	v_add_co_u32 v12, vcc_lo, v3, s4
	s_wait_alu 0xfffd
	v_add_co_ci_u32_e64 v13, null, s5, v4, vcc_lo
	global_load_b64 v[10:11], v[10:11], off
	global_load_b64 v[12:13], v[12:13], off
	v_add_nc_u32_e32 v9, s15, v9
	s_delay_alu instid0(VALU_DEP_1) | instskip(SKIP_4) | instid1(VALU_DEP_2)
	v_cmp_le_i32_e64 s0, s14, v9
	s_or_b32 s18, s0, s18
	s_wait_loadcnt 0x0
	v_div_scale_f64 v[14:15], null, v[12:13], v[12:13], v[10:11]
	v_div_scale_f64 v[20:21], vcc_lo, v[10:11], v[12:13], v[10:11]
	v_rcp_f64_e32 v[16:17], v[14:15]
	s_delay_alu instid0(TRANS32_DEP_1) | instskip(NEXT) | instid1(VALU_DEP_1)
	v_fma_f64 v[18:19], -v[14:15], v[16:17], 1.0
	v_fma_f64 v[16:17], v[16:17], v[18:19], v[16:17]
	s_delay_alu instid0(VALU_DEP_1) | instskip(NEXT) | instid1(VALU_DEP_1)
	v_fma_f64 v[18:19], -v[14:15], v[16:17], 1.0
	v_fma_f64 v[16:17], v[16:17], v[18:19], v[16:17]
	s_delay_alu instid0(VALU_DEP_1) | instskip(NEXT) | instid1(VALU_DEP_1)
	v_mul_f64_e32 v[18:19], v[20:21], v[16:17]
	v_fma_f64 v[14:15], -v[14:15], v[18:19], v[20:21]
	s_wait_alu 0xfffd
	s_delay_alu instid0(VALU_DEP_1) | instskip(NEXT) | instid1(VALU_DEP_1)
	v_div_fmas_f64 v[14:15], v[14:15], v[16:17], v[18:19]
	v_div_fixup_f64 v[10:11], v[14:15], v[12:13], v[10:11]
	v_add_co_u32 v12, vcc_lo, v5, s4
	s_wait_alu 0xfffd
	v_add_co_ci_u32_e64 v13, null, s5, v6, vcc_lo
	s_add_nc_u64 s[4:5], s[4:5], s[12:13]
	v_fma_f64 v[1:2], v[10:11], v[10:11], v[1:2]
	global_store_b64 v[12:13], v[10:11], off
	s_and_not1_b32 exec_lo, exec_lo, s18
	s_cbranch_execnz .LBB49_3
; %bb.4:
	s_or_b32 exec_lo, exec_lo, s18
.LBB49_5:
	s_delay_alu instid0(SALU_CYCLE_1)
	s_or_b32 exec_lo, exec_lo, s17
	v_lshlrev_b32_e32 v3, 3, v0
	s_cmp_lt_u32 s15, 2
	ds_store_b64 v3, v[1:2]
	s_cbranch_scc1 .LBB49_11
; %bb.6:
	s_mov_b32 s0, s15
	s_branch .LBB49_8
.LBB49_7:                               ;   in Loop: Header=BB49_8 Depth=1
	s_or_b32 exec_lo, exec_lo, s5
	s_cmp_lt_u32 s0, 4
	s_mov_b32 s0, s4
	s_cbranch_scc1 .LBB49_11
.LBB49_8:                               ; =>This Inner Loop Header: Depth=1
	s_wait_alu 0xfffe
	s_lshr_b32 s4, s0, 1
	s_mov_b32 s5, exec_lo
	s_wait_storecnt 0x0
	s_wait_loadcnt_dscnt 0x0
	s_barrier_signal -1
	s_barrier_wait -1
	global_inv scope:SCOPE_SE
	s_wait_alu 0xfffe
	v_cmpx_gt_u32_e64 s4, v0
	s_cbranch_execz .LBB49_7
; %bb.9:                                ;   in Loop: Header=BB49_8 Depth=1
	v_lshl_add_u32 v4, s4, 3, v3
	ds_load_b64 v[4:5], v4
	s_wait_dscnt 0x0
	v_add_f64_e32 v[1:2], v[1:2], v[4:5]
	ds_store_b64 v3, v[1:2]
	s_branch .LBB49_7
.LBB49_10:
                                        ; implicit-def: $vgpr1_vgpr2
	s_add_co_i32 s12, s3, s1
	s_mov_b32 s0, exec_lo
	v_cmpx_gt_i32_e64 s12, v0
	s_cbranch_execnz .LBB49_12
	s_branch .LBB49_18
.LBB49_11:
	v_mov_b32_e32 v1, 0
	s_wait_storecnt 0x0
	s_wait_loadcnt_dscnt 0x0
	s_barrier_signal -1
	s_barrier_wait -1
	global_inv scope:SCOPE_SE
	ds_load_b64 v[1:2], v1
	s_wait_dscnt 0x0
	v_cmp_gt_f64_e32 vcc_lo, 0x10000000, v[1:2]
	s_and_b32 s0, vcc_lo, exec_lo
	s_cselect_b32 s0, 0x100, 0
	s_wait_alu 0xfffe
	v_ldexp_f64 v[1:2], v[1:2], s0
	s_cselect_b32 s0, 0xffffff80, 0
	s_delay_alu instid0(VALU_DEP_1) | instskip(SKIP_1) | instid1(TRANS32_DEP_1)
	v_rsq_f64_e32 v[3:4], v[1:2]
	v_cmp_class_f64_e64 vcc_lo, v[1:2], 0x260
	v_mul_f64_e32 v[5:6], v[1:2], v[3:4]
	v_mul_f64_e32 v[3:4], 0.5, v[3:4]
	s_delay_alu instid0(VALU_DEP_1) | instskip(NEXT) | instid1(VALU_DEP_1)
	v_fma_f64 v[7:8], -v[3:4], v[5:6], 0.5
	v_fma_f64 v[5:6], v[5:6], v[7:8], v[5:6]
	v_fma_f64 v[3:4], v[3:4], v[7:8], v[3:4]
	s_delay_alu instid0(VALU_DEP_2) | instskip(NEXT) | instid1(VALU_DEP_1)
	v_fma_f64 v[7:8], -v[5:6], v[5:6], v[1:2]
	v_fma_f64 v[5:6], v[7:8], v[3:4], v[5:6]
	s_delay_alu instid0(VALU_DEP_1) | instskip(NEXT) | instid1(VALU_DEP_1)
	v_fma_f64 v[7:8], -v[5:6], v[5:6], v[1:2]
	v_fma_f64 v[3:4], v[7:8], v[3:4], v[5:6]
	s_wait_alu 0xfffe
	s_delay_alu instid0(VALU_DEP_1) | instskip(SKIP_1) | instid1(VALU_DEP_1)
	v_ldexp_f64 v[3:4], v[3:4], s0
	s_wait_alu 0xfffd
	v_dual_cndmask_b32 v2, v4, v2 :: v_dual_cndmask_b32 v1, v3, v1
	s_add_co_i32 s12, s3, s1
	s_mov_b32 s0, exec_lo
	v_cmpx_gt_i32_e64 s12, v0
	s_cbranch_execz .LBB49_18
.LBB49_12:
	s_lshl_b64 s[4:5], s[8:9], 3
	s_lshl_b64 s[8:9], s[10:11], 3
	s_wait_alu 0xfffe
	s_add_nc_u64 s[4:5], s[6:7], s[4:5]
	s_mul_i32 s6, s2, ttmp9
	s_wait_alu 0xfffe
	s_add_nc_u64 s[2:3], s[4:5], s[8:9]
	s_mov_b32 s7, 0
	s_sub_co_i32 s8, 0, s1
	s_sub_co_i32 s9, s6, s1
	s_xor_b32 s10, s16, -1
	s_branch .LBB49_15
.LBB49_13:                              ;   in Loop: Header=BB49_15 Depth=1
	s_or_b32 exec_lo, exec_lo, s11
.LBB49_14:                              ;   in Loop: Header=BB49_15 Depth=1
	s_wait_alu 0xfffe
	s_or_b32 exec_lo, exec_lo, s0
	v_add_nc_u32_e32 v5, s6, v0
	v_add_nc_u32_e32 v0, s15, v0
	s_delay_alu instid0(VALU_DEP_2) | instskip(NEXT) | instid1(VALU_DEP_2)
	v_ashrrev_i32_e32 v6, 31, v5
	v_cmp_le_i32_e32 vcc_lo, s12, v0
	s_delay_alu instid0(VALU_DEP_2) | instskip(SKIP_1) | instid1(VALU_DEP_1)
	v_lshlrev_b64_e32 v[5:6], 3, v[5:6]
	s_or_b32 s7, vcc_lo, s7
	v_add_co_u32 v5, s0, s2, v5
	s_wait_alu 0xf1ff
	s_delay_alu instid0(VALU_DEP_2)
	v_add_co_ci_u32_e64 v6, null, s3, v6, s0
	global_store_b64 v[5:6], v[3:4], off
	s_wait_alu 0xfffe
	s_and_not1_b32 exec_lo, exec_lo, s7
	s_cbranch_execz .LBB49_18
.LBB49_15:                              ; =>This Inner Loop Header: Depth=1
	v_cmp_le_i32_e32 vcc_lo, s1, v0
	v_mov_b32_e32 v3, 0
	v_mov_b32_e32 v4, 0
	s_and_b32 s11, s10, vcc_lo
	s_delay_alu instid0(SALU_CYCLE_1)
	s_and_saveexec_b32 s0, s11
	s_cbranch_execz .LBB49_14
; %bb.16:                               ;   in Loop: Header=BB49_15 Depth=1
	v_mov_b32_e32 v3, 0
	v_dual_mov_b32 v4, 0 :: v_dual_add_nc_u32 v5, s8, v0
	s_mov_b32 s11, exec_lo
	s_delay_alu instid0(VALU_DEP_1)
	v_cmpx_gt_i32_e64 s14, v5
	s_cbranch_execz .LBB49_13
; %bb.17:                               ;   in Loop: Header=BB49_15 Depth=1
	v_add_nc_u32_e32 v3, s9, v0
	s_delay_alu instid0(VALU_DEP_1) | instskip(NEXT) | instid1(VALU_DEP_1)
	v_ashrrev_i32_e32 v4, 31, v3
	v_lshlrev_b64_e32 v[3:4], 3, v[3:4]
	s_delay_alu instid0(VALU_DEP_1) | instskip(SKIP_1) | instid1(VALU_DEP_2)
	v_add_co_u32 v3, vcc_lo, s4, v3
	s_wait_alu 0xfffd
	v_add_co_ci_u32_e64 v4, null, s5, v4, vcc_lo
	global_load_b64 v[3:4], v[3:4], off
	s_wait_loadcnt 0x0
	v_div_scale_f64 v[5:6], null, v[1:2], v[1:2], v[3:4]
	s_delay_alu instid0(VALU_DEP_1) | instskip(NEXT) | instid1(TRANS32_DEP_1)
	v_rcp_f64_e32 v[7:8], v[5:6]
	v_fma_f64 v[9:10], -v[5:6], v[7:8], 1.0
	s_delay_alu instid0(VALU_DEP_1) | instskip(NEXT) | instid1(VALU_DEP_1)
	v_fma_f64 v[7:8], v[7:8], v[9:10], v[7:8]
	v_fma_f64 v[9:10], -v[5:6], v[7:8], 1.0
	s_delay_alu instid0(VALU_DEP_1) | instskip(SKIP_1) | instid1(VALU_DEP_1)
	v_fma_f64 v[7:8], v[7:8], v[9:10], v[7:8]
	v_div_scale_f64 v[9:10], vcc_lo, v[3:4], v[1:2], v[3:4]
	v_mul_f64_e32 v[11:12], v[9:10], v[7:8]
	s_delay_alu instid0(VALU_DEP_1) | instskip(SKIP_1) | instid1(VALU_DEP_1)
	v_fma_f64 v[5:6], -v[5:6], v[11:12], v[9:10]
	s_wait_alu 0xfffd
	v_div_fmas_f64 v[5:6], v[5:6], v[7:8], v[11:12]
	s_delay_alu instid0(VALU_DEP_1)
	v_div_fixup_f64 v[3:4], v[5:6], v[1:2], v[3:4]
	s_branch .LBB49_13
.LBB49_18:
	s_endpgm
	.section	.rodata,"a",@progbits
	.p2align	6, 0x0
	.amdhsa_kernel _ZN9rocsolver6v33100L25stedc_mergeVectors_kernelILb1EdEEviiPT0_iilS3_S3_Pi
		.amdhsa_group_segment_fixed_size 4096
		.amdhsa_private_segment_fixed_size 0
		.amdhsa_kernarg_size 312
		.amdhsa_user_sgpr_count 2
		.amdhsa_user_sgpr_dispatch_ptr 0
		.amdhsa_user_sgpr_queue_ptr 0
		.amdhsa_user_sgpr_kernarg_segment_ptr 1
		.amdhsa_user_sgpr_dispatch_id 0
		.amdhsa_user_sgpr_private_segment_size 0
		.amdhsa_wavefront_size32 1
		.amdhsa_uses_dynamic_stack 0
		.amdhsa_enable_private_segment 0
		.amdhsa_system_sgpr_workgroup_id_x 1
		.amdhsa_system_sgpr_workgroup_id_y 1
		.amdhsa_system_sgpr_workgroup_id_z 0
		.amdhsa_system_sgpr_workgroup_info 0
		.amdhsa_system_vgpr_workitem_id 0
		.amdhsa_next_free_vgpr 22
		.amdhsa_next_free_sgpr 26
		.amdhsa_reserve_vcc 1
		.amdhsa_float_round_mode_32 0
		.amdhsa_float_round_mode_16_64 0
		.amdhsa_float_denorm_mode_32 3
		.amdhsa_float_denorm_mode_16_64 3
		.amdhsa_fp16_overflow 0
		.amdhsa_workgroup_processor_mode 1
		.amdhsa_memory_ordered 1
		.amdhsa_forward_progress 1
		.amdhsa_inst_pref_size 12
		.amdhsa_round_robin_scheduling 0
		.amdhsa_exception_fp_ieee_invalid_op 0
		.amdhsa_exception_fp_denorm_src 0
		.amdhsa_exception_fp_ieee_div_zero 0
		.amdhsa_exception_fp_ieee_overflow 0
		.amdhsa_exception_fp_ieee_underflow 0
		.amdhsa_exception_fp_ieee_inexact 0
		.amdhsa_exception_int_div_zero 0
	.end_amdhsa_kernel
	.section	.text._ZN9rocsolver6v33100L25stedc_mergeVectors_kernelILb1EdEEviiPT0_iilS3_S3_Pi,"axG",@progbits,_ZN9rocsolver6v33100L25stedc_mergeVectors_kernelILb1EdEEviiPT0_iilS3_S3_Pi,comdat
.Lfunc_end49:
	.size	_ZN9rocsolver6v33100L25stedc_mergeVectors_kernelILb1EdEEviiPT0_iilS3_S3_Pi, .Lfunc_end49-_ZN9rocsolver6v33100L25stedc_mergeVectors_kernelILb1EdEEviiPT0_iilS3_S3_Pi
                                        ; -- End function
	.set _ZN9rocsolver6v33100L25stedc_mergeVectors_kernelILb1EdEEviiPT0_iilS3_S3_Pi.num_vgpr, 22
	.set _ZN9rocsolver6v33100L25stedc_mergeVectors_kernelILb1EdEEviiPT0_iilS3_S3_Pi.num_agpr, 0
	.set _ZN9rocsolver6v33100L25stedc_mergeVectors_kernelILb1EdEEviiPT0_iilS3_S3_Pi.numbered_sgpr, 26
	.set _ZN9rocsolver6v33100L25stedc_mergeVectors_kernelILb1EdEEviiPT0_iilS3_S3_Pi.num_named_barrier, 0
	.set _ZN9rocsolver6v33100L25stedc_mergeVectors_kernelILb1EdEEviiPT0_iilS3_S3_Pi.private_seg_size, 0
	.set _ZN9rocsolver6v33100L25stedc_mergeVectors_kernelILb1EdEEviiPT0_iilS3_S3_Pi.uses_vcc, 1
	.set _ZN9rocsolver6v33100L25stedc_mergeVectors_kernelILb1EdEEviiPT0_iilS3_S3_Pi.uses_flat_scratch, 0
	.set _ZN9rocsolver6v33100L25stedc_mergeVectors_kernelILb1EdEEviiPT0_iilS3_S3_Pi.has_dyn_sized_stack, 0
	.set _ZN9rocsolver6v33100L25stedc_mergeVectors_kernelILb1EdEEviiPT0_iilS3_S3_Pi.has_recursion, 0
	.set _ZN9rocsolver6v33100L25stedc_mergeVectors_kernelILb1EdEEviiPT0_iilS3_S3_Pi.has_indirect_call, 0
	.section	.AMDGPU.csdata,"",@progbits
; Kernel info:
; codeLenInByte = 1452
; TotalNumSgprs: 28
; NumVgprs: 22
; ScratchSize: 0
; MemoryBound: 0
; FloatMode: 240
; IeeeMode: 1
; LDSByteSize: 4096 bytes/workgroup (compile time only)
; SGPRBlocks: 0
; VGPRBlocks: 2
; NumSGPRsForWavesPerEU: 28
; NumVGPRsForWavesPerEU: 22
; Occupancy: 16
; WaveLimiterHint : 1
; COMPUTE_PGM_RSRC2:SCRATCH_EN: 0
; COMPUTE_PGM_RSRC2:USER_SGPR: 2
; COMPUTE_PGM_RSRC2:TRAP_HANDLER: 0
; COMPUTE_PGM_RSRC2:TGID_X_EN: 1
; COMPUTE_PGM_RSRC2:TGID_Y_EN: 1
; COMPUTE_PGM_RSRC2:TGID_Z_EN: 0
; COMPUTE_PGM_RSRC2:TIDIG_COMP_CNT: 0
	.section	.text._ZN9rocsolver6v33100L24stedc_mergeUpdate_kernelIdEEviiPT_lS3_iilS3_S3_Pi,"axG",@progbits,_ZN9rocsolver6v33100L24stedc_mergeUpdate_kernelIdEEviiPT_lS3_iilS3_S3_Pi,comdat
	.globl	_ZN9rocsolver6v33100L24stedc_mergeUpdate_kernelIdEEviiPT_lS3_iilS3_S3_Pi ; -- Begin function _ZN9rocsolver6v33100L24stedc_mergeUpdate_kernelIdEEviiPT_lS3_iilS3_S3_Pi
	.p2align	8
	.type	_ZN9rocsolver6v33100L24stedc_mergeUpdate_kernelIdEEviiPT_lS3_iilS3_S3_Pi,@function
_ZN9rocsolver6v33100L24stedc_mergeUpdate_kernelIdEEviiPT_lS3_iilS3_S3_Pi: ; @_ZN9rocsolver6v33100L24stedc_mergeUpdate_kernelIdEEviiPT_lS3_iilS3_S3_Pi
; %bb.0:
	s_clause 0x1
	s_load_b32 s18, s[0:1], 0x4
	s_load_b256 s[4:11], s[0:1], 0x28
	s_mov_b32 s2, ttmp9
	s_ashr_i32 s3, ttmp9, 31
	s_wait_kmcnt 0x0
	s_mul_i32 s22, s18, ttmp7
	s_mul_i32 s12, s18, 7
	s_mul_i32 s14, s22, 13
	s_ashr_i32 s19, s18, 31
	s_ashr_i32 s15, s14, 31
	;; [unrolled: 1-line block ×3, first 2 shown]
	s_lshl_b64 s[14:15], s[14:15], 2
	s_lshl_b64 s[20:21], s[18:19], 3
	;; [unrolled: 1-line block ×3, first 2 shown]
	s_add_nc_u64 s[10:11], s[10:11], s[14:15]
	s_sub_nc_u64 s[14:15], 0, s[20:21]
	s_add_nc_u64 s[24:25], s[10:11], s[12:13]
	s_lshl_b64 s[12:13], s[18:19], 2
	s_add_nc_u64 s[10:11], s[24:25], s[14:15]
	s_delay_alu instid0(SALU_CYCLE_1) | instskip(SKIP_1) | instid1(SALU_CYCLE_1)
	s_add_nc_u64 s[14:15], s[10:11], s[12:13]
	s_lshl_b64 s[12:13], s[2:3], 2
	s_add_nc_u64 s[14:15], s[14:15], s[12:13]
	s_add_nc_u64 s[24:25], s[24:25], s[12:13]
	s_clause 0x1
	s_load_b32 s19, s[14:15], 0x0
	s_load_b32 s14, s[24:25], 0x0
	s_wait_kmcnt 0x0
	s_sub_co_i32 s15, ttmp9, s19
	s_delay_alu instid0(SALU_CYCLE_1)
	s_cmp_ge_i32 s15, s14
	s_cbranch_scc1 .LBB50_6
; %bb.1:
	s_add_nc_u64 s[24:25], s[10:11], s[12:13]
	s_clause 0x1
	s_load_b128 s[12:15], s[0:1], 0x8
	s_load_b64 s[10:11], s[0:1], 0x18
	s_load_b32 s23, s[24:25], 0x0
	s_mov_b32 s16, ttmp7
	s_ashr_i32 s17, ttmp7, 31
	s_mov_b32 s24, exec_lo
	v_cmpx_eq_u32_e32 0, v0
	s_cbranch_execz .LBB50_3
; %bb.2:
	s_mul_i32 s26, s22, 10
	s_wait_kmcnt 0x0
	s_mul_u64 s[14:15], s[14:15], s[16:17]
	s_ashr_i32 s27, s26, 31
	s_lshl_b64 s[14:15], s[14:15], 3
	s_lshl_b64 s[26:27], s[26:27], 3
	s_delay_alu instid0(SALU_CYCLE_1) | instskip(SKIP_2) | instid1(SALU_CYCLE_1)
	s_add_nc_u64 s[6:7], s[6:7], s[26:27]
	s_lshl_b64 s[26:27], s[2:3], 3
	s_add_nc_u64 s[6:7], s[6:7], s[20:21]
	s_add_nc_u64 s[6:7], s[6:7], s[26:27]
	s_load_b64 s[6:7], s[6:7], 0x0
	v_mov_b32_e32 v3, 0
	s_wait_kmcnt 0x0
	v_dual_mov_b32 v1, s6 :: v_dual_mov_b32 v2, s7
	s_add_nc_u64 s[6:7], s[12:13], s[14:15]
	s_wait_alu 0xfffe
	s_add_nc_u64 s[6:7], s[6:7], s[26:27]
	global_store_b64 v3, v[1:2], s[6:7]
.LBB50_3:
	s_or_b32 exec_lo, exec_lo, s24
	v_add_nc_u32_e32 v0, s19, v0
	s_wait_kmcnt 0x0
	s_add_co_i32 s6, s23, s19
	s_mov_b32 s3, exec_lo
	s_wait_alu 0xfffe
	v_cmpx_gt_i32_e64 s6, v0
	s_cbranch_execz .LBB50_6
; %bb.4:
	s_clause 0x1
	s_load_b64 s[12:13], s[0:1], 0x20
	s_load_b32 s0, s[0:1], 0x54
	s_mul_i32 s22, s22, s18
	s_mul_u64 s[4:5], s[4:5], s[16:17]
	s_lshl_b32 s14, s22, 1
	s_lshl_b64 s[4:5], s[4:5], 3
	s_ashr_i32 s15, s14, 31
	s_add_nc_u64 s[10:11], s[10:11], s[4:5]
	s_lshl_b64 s[14:15], s[14:15], 3
	s_mul_i32 s1, s18, s2
	s_add_nc_u64 s[4:5], s[8:9], s[14:15]
	s_wait_kmcnt 0x0
	s_ashr_i32 s9, s12, 31
	s_mov_b32 s8, s12
	s_mul_i32 s7, s13, s2
	s_lshl_b64 s[2:3], s[8:9], 3
	s_and_b32 s8, s0, 0xffff
	s_add_nc_u64 s[2:3], s[10:11], s[2:3]
	s_mov_b32 s9, 0
.LBB50_5:                               ; =>This Inner Loop Header: Depth=1
	v_add_nc_u32_e32 v1, s1, v0
	s_wait_alu 0xfffe
	v_add_nc_u32_e32 v3, s7, v0
	v_add_nc_u32_e32 v0, s8, v0
	s_delay_alu instid0(VALU_DEP_3) | instskip(NEXT) | instid1(VALU_DEP_3)
	v_ashrrev_i32_e32 v2, 31, v1
	v_ashrrev_i32_e32 v4, 31, v3
	s_delay_alu instid0(VALU_DEP_2) | instskip(NEXT) | instid1(VALU_DEP_2)
	v_lshlrev_b64_e32 v[1:2], 3, v[1:2]
	v_lshlrev_b64_e32 v[3:4], 3, v[3:4]
	s_delay_alu instid0(VALU_DEP_2) | instskip(SKIP_1) | instid1(VALU_DEP_3)
	v_add_co_u32 v1, vcc_lo, s4, v1
	s_wait_alu 0xfffd
	v_add_co_ci_u32_e64 v2, null, s5, v2, vcc_lo
	v_cmp_le_i32_e32 vcc_lo, s6, v0
	s_delay_alu instid0(VALU_DEP_4)
	v_add_co_u32 v3, s0, s2, v3
	global_load_b64 v[1:2], v[1:2], off
	s_wait_alu 0xf1ff
	v_add_co_ci_u32_e64 v4, null, s3, v4, s0
	s_or_b32 s9, vcc_lo, s9
	s_wait_loadcnt 0x0
	global_store_b64 v[3:4], v[1:2], off
	s_wait_alu 0xfffe
	s_and_not1_b32 exec_lo, exec_lo, s9
	s_cbranch_execnz .LBB50_5
.LBB50_6:
	s_endpgm
	.section	.rodata,"a",@progbits
	.p2align	6, 0x0
	.amdhsa_kernel _ZN9rocsolver6v33100L24stedc_mergeUpdate_kernelIdEEviiPT_lS3_iilS3_S3_Pi
		.amdhsa_group_segment_fixed_size 0
		.amdhsa_private_segment_fixed_size 0
		.amdhsa_kernarg_size 328
		.amdhsa_user_sgpr_count 2
		.amdhsa_user_sgpr_dispatch_ptr 0
		.amdhsa_user_sgpr_queue_ptr 0
		.amdhsa_user_sgpr_kernarg_segment_ptr 1
		.amdhsa_user_sgpr_dispatch_id 0
		.amdhsa_user_sgpr_private_segment_size 0
		.amdhsa_wavefront_size32 1
		.amdhsa_uses_dynamic_stack 0
		.amdhsa_enable_private_segment 0
		.amdhsa_system_sgpr_workgroup_id_x 1
		.amdhsa_system_sgpr_workgroup_id_y 1
		.amdhsa_system_sgpr_workgroup_id_z 0
		.amdhsa_system_sgpr_workgroup_info 0
		.amdhsa_system_vgpr_workitem_id 0
		.amdhsa_next_free_vgpr 5
		.amdhsa_next_free_sgpr 28
		.amdhsa_reserve_vcc 1
		.amdhsa_float_round_mode_32 0
		.amdhsa_float_round_mode_16_64 0
		.amdhsa_float_denorm_mode_32 3
		.amdhsa_float_denorm_mode_16_64 3
		.amdhsa_fp16_overflow 0
		.amdhsa_workgroup_processor_mode 1
		.amdhsa_memory_ordered 1
		.amdhsa_forward_progress 1
		.amdhsa_inst_pref_size 5
		.amdhsa_round_robin_scheduling 0
		.amdhsa_exception_fp_ieee_invalid_op 0
		.amdhsa_exception_fp_denorm_src 0
		.amdhsa_exception_fp_ieee_div_zero 0
		.amdhsa_exception_fp_ieee_overflow 0
		.amdhsa_exception_fp_ieee_underflow 0
		.amdhsa_exception_fp_ieee_inexact 0
		.amdhsa_exception_int_div_zero 0
	.end_amdhsa_kernel
	.section	.text._ZN9rocsolver6v33100L24stedc_mergeUpdate_kernelIdEEviiPT_lS3_iilS3_S3_Pi,"axG",@progbits,_ZN9rocsolver6v33100L24stedc_mergeUpdate_kernelIdEEviiPT_lS3_iilS3_S3_Pi,comdat
.Lfunc_end50:
	.size	_ZN9rocsolver6v33100L24stedc_mergeUpdate_kernelIdEEviiPT_lS3_iilS3_S3_Pi, .Lfunc_end50-_ZN9rocsolver6v33100L24stedc_mergeUpdate_kernelIdEEviiPT_lS3_iilS3_S3_Pi
                                        ; -- End function
	.set _ZN9rocsolver6v33100L24stedc_mergeUpdate_kernelIdEEviiPT_lS3_iilS3_S3_Pi.num_vgpr, 5
	.set _ZN9rocsolver6v33100L24stedc_mergeUpdate_kernelIdEEviiPT_lS3_iilS3_S3_Pi.num_agpr, 0
	.set _ZN9rocsolver6v33100L24stedc_mergeUpdate_kernelIdEEviiPT_lS3_iilS3_S3_Pi.numbered_sgpr, 28
	.set _ZN9rocsolver6v33100L24stedc_mergeUpdate_kernelIdEEviiPT_lS3_iilS3_S3_Pi.num_named_barrier, 0
	.set _ZN9rocsolver6v33100L24stedc_mergeUpdate_kernelIdEEviiPT_lS3_iilS3_S3_Pi.private_seg_size, 0
	.set _ZN9rocsolver6v33100L24stedc_mergeUpdate_kernelIdEEviiPT_lS3_iilS3_S3_Pi.uses_vcc, 1
	.set _ZN9rocsolver6v33100L24stedc_mergeUpdate_kernelIdEEviiPT_lS3_iilS3_S3_Pi.uses_flat_scratch, 0
	.set _ZN9rocsolver6v33100L24stedc_mergeUpdate_kernelIdEEviiPT_lS3_iilS3_S3_Pi.has_dyn_sized_stack, 0
	.set _ZN9rocsolver6v33100L24stedc_mergeUpdate_kernelIdEEviiPT_lS3_iilS3_S3_Pi.has_recursion, 0
	.set _ZN9rocsolver6v33100L24stedc_mergeUpdate_kernelIdEEviiPT_lS3_iilS3_S3_Pi.has_indirect_call, 0
	.section	.AMDGPU.csdata,"",@progbits
; Kernel info:
; codeLenInByte = 560
; TotalNumSgprs: 30
; NumVgprs: 5
; ScratchSize: 0
; MemoryBound: 0
; FloatMode: 240
; IeeeMode: 1
; LDSByteSize: 0 bytes/workgroup (compile time only)
; SGPRBlocks: 0
; VGPRBlocks: 0
; NumSGPRsForWavesPerEU: 30
; NumVGPRsForWavesPerEU: 5
; Occupancy: 16
; WaveLimiterHint : 0
; COMPUTE_PGM_RSRC2:SCRATCH_EN: 0
; COMPUTE_PGM_RSRC2:USER_SGPR: 2
; COMPUTE_PGM_RSRC2:TRAP_HANDLER: 0
; COMPUTE_PGM_RSRC2:TGID_X_EN: 1
; COMPUTE_PGM_RSRC2:TGID_Y_EN: 1
; COMPUTE_PGM_RSRC2:TGID_Z_EN: 0
; COMPUTE_PGM_RSRC2:TIDIG_COMP_CNT: 0
	.section	.text._ZN9rocsolver6v33100L8copy_matIdPdNS0_7no_maskEEEvNS0_17copymat_directionEiiT0_iilPT_T1_13rocblas_fill_17rocblas_diagonal_,"axG",@progbits,_ZN9rocsolver6v33100L8copy_matIdPdNS0_7no_maskEEEvNS0_17copymat_directionEiiT0_iilPT_T1_13rocblas_fill_17rocblas_diagonal_,comdat
	.globl	_ZN9rocsolver6v33100L8copy_matIdPdNS0_7no_maskEEEvNS0_17copymat_directionEiiT0_iilPT_T1_13rocblas_fill_17rocblas_diagonal_ ; -- Begin function _ZN9rocsolver6v33100L8copy_matIdPdNS0_7no_maskEEEvNS0_17copymat_directionEiiT0_iilPT_T1_13rocblas_fill_17rocblas_diagonal_
	.p2align	8
	.type	_ZN9rocsolver6v33100L8copy_matIdPdNS0_7no_maskEEEvNS0_17copymat_directionEiiT0_iilPT_T1_13rocblas_fill_17rocblas_diagonal_,@function
_ZN9rocsolver6v33100L8copy_matIdPdNS0_7no_maskEEEvNS0_17copymat_directionEiiT0_iilPT_T1_13rocblas_fill_17rocblas_diagonal_: ; @_ZN9rocsolver6v33100L8copy_matIdPdNS0_7no_maskEEEvNS0_17copymat_directionEiiT0_iilPT_T1_13rocblas_fill_17rocblas_diagonal_
; %bb.0:
	s_clause 0x1
	s_load_b32 s2, s[0:1], 0x4c
	s_load_b96 s[8:10], s[0:1], 0x0
	v_and_b32_e32 v1, 0x3ff, v0
	v_bfe_u32 v2, v0, 10, 10
	s_and_b32 s3, ttmp7, 0xffff
	s_wait_kmcnt 0x0
	s_lshr_b32 s4, s2, 16
	s_and_b32 s2, s2, 0xffff
	s_delay_alu instid0(SALU_CYCLE_1) | instskip(SKIP_1) | instid1(VALU_DEP_2)
	v_mad_co_u64_u32 v[0:1], null, ttmp9, s2, v[1:2]
	v_mad_co_u64_u32 v[1:2], null, s3, s4, v[2:3]
	v_cmp_gt_u32_e32 vcc_lo, s9, v0
	s_delay_alu instid0(VALU_DEP_2)
	v_cmp_gt_u32_e64 s2, s10, v1
	s_and_b32 s2, s2, vcc_lo
	s_wait_alu 0xfffe
	s_and_saveexec_b32 s3, s2
	s_cbranch_execz .LBB51_14
; %bb.1:
	s_load_b64 s[4:5], s[0:1], 0x34
	s_wait_kmcnt 0x0
	s_cmp_lt_i32 s4, 0x7a
	s_cbranch_scc1 .LBB51_4
; %bb.2:
	s_cmp_gt_i32 s4, 0x7a
	s_cbranch_scc0 .LBB51_5
; %bb.3:
	s_cmp_lg_u32 s4, 0x7b
	s_mov_b32 s3, -1
	s_cselect_b32 s6, -1, 0
	s_cbranch_execz .LBB51_6
	s_branch .LBB51_7
.LBB51_4:
	s_mov_b32 s6, 0
	s_mov_b32 s3, 0
	s_cbranch_execnz .LBB51_8
	s_branch .LBB51_10
.LBB51_5:
	s_mov_b32 s3, 0
	s_mov_b32 s6, 0
.LBB51_6:
	v_cmp_gt_u32_e32 vcc_lo, v0, v1
	v_cmp_le_u32_e64 s2, v0, v1
	s_wait_alu 0xfffe
	s_and_not1_b32 s3, s3, exec_lo
	s_and_not1_b32 s6, s6, exec_lo
	s_and_b32 s7, vcc_lo, exec_lo
	s_and_b32 s2, s2, exec_lo
	s_wait_alu 0xfffe
	s_or_b32 s3, s3, s7
	s_or_b32 s6, s6, s2
.LBB51_7:
	s_branch .LBB51_10
.LBB51_8:
	s_cmp_eq_u32 s4, 0x79
	s_mov_b32 s6, -1
	s_cbranch_scc0 .LBB51_10
; %bb.9:
	v_cmp_gt_u32_e32 vcc_lo, v1, v0
	v_cmp_le_u32_e64 s2, v1, v0
	s_wait_alu 0xfffe
	s_and_not1_b32 s3, s3, exec_lo
	s_and_b32 s4, vcc_lo, exec_lo
	s_or_not1_b32 s6, s2, exec_lo
	s_wait_alu 0xfffe
	s_or_b32 s3, s3, s4
.LBB51_10:
	s_and_saveexec_b32 s2, s6
; %bb.11:
	v_cmp_eq_u32_e32 vcc_lo, v0, v1
	s_cmp_eq_u32 s5, 0x83
	s_cselect_b32 s4, -1, 0
	s_wait_alu 0xfffe
	s_and_not1_b32 s3, s3, exec_lo
	s_and_b32 s4, s4, vcc_lo
	s_wait_alu 0xfffe
	s_and_b32 s4, s4, exec_lo
	s_wait_alu 0xfffe
	s_or_b32 s3, s3, s4
; %bb.12:
	s_or_b32 exec_lo, exec_lo, s2
	s_wait_alu 0xfffe
	s_and_b32 exec_lo, exec_lo, s3
	s_cbranch_execz .LBB51_14
; %bb.13:
	s_load_b256 s[0:7], s[0:1], 0x10
	s_ashr_i32 s13, s9, 31
	s_mov_b32 s12, s9
	s_mov_b32 s15, 0
	s_lshr_b32 s14, ttmp7, 16
	s_ashr_i32 s11, s10, 31
	s_mul_u64 s[12:13], s[12:13], s[14:15]
	s_wait_alu 0xfffe
	s_mul_u64 s[10:11], s[12:13], s[10:11]
	s_wait_alu 0xfffe
	s_lshl_b64 s[10:11], s[10:11], 3
	s_wait_kmcnt 0x0
	s_ashr_i32 s13, s2, 31
	s_mul_u64 s[4:5], s[4:5], s[14:15]
	s_mov_b32 s12, s2
	s_wait_alu 0xfffe
	s_lshl_b64 s[4:5], s[4:5], 3
	s_lshl_b64 s[12:13], s[12:13], 3
	s_cmp_eq_u32 s8, 0
	s_wait_alu 0xfffe
	s_add_nc_u64 s[0:1], s[0:1], s[4:5]
	s_cselect_b32 s2, s3, s9
	s_add_nc_u64 s[6:7], s[6:7], s[10:11]
	s_wait_alu 0xfffe
	v_mad_co_u64_u32 v[2:3], null, v1, s2, v[0:1]
	v_mov_b32_e32 v3, 0
	s_add_nc_u64 s[0:1], s[0:1], s[12:13]
	s_wait_alu 0xfffe
	s_cselect_b32 s4, s0, s6
	s_cselect_b32 s2, s1, s7
	;; [unrolled: 1-line block ×3, first 2 shown]
	s_delay_alu instid0(VALU_DEP_2) | instskip(SKIP_2) | instid1(VALU_DEP_1)
	v_lshlrev_b64_e32 v[4:5], 3, v[2:3]
	s_cselect_b32 s1, s7, s1
	s_wait_alu 0xfffe
	v_add_co_u32 v4, vcc_lo, s4, v4
	s_delay_alu instid0(VALU_DEP_1)
	v_add_co_ci_u32_e64 v5, null, s2, v5, vcc_lo
	s_cselect_b32 s2, s9, s3
	s_wait_alu 0xfffe
	v_mad_co_u64_u32 v[0:1], null, v1, s2, v[0:1]
	global_load_b64 v[4:5], v[4:5], off
	v_mov_b32_e32 v1, v3
	s_delay_alu instid0(VALU_DEP_1) | instskip(NEXT) | instid1(VALU_DEP_1)
	v_lshlrev_b64_e32 v[0:1], 3, v[0:1]
	v_add_co_u32 v0, vcc_lo, s0, v0
	s_wait_alu 0xfffd
	s_delay_alu instid0(VALU_DEP_2)
	v_add_co_ci_u32_e64 v1, null, s1, v1, vcc_lo
	s_wait_loadcnt 0x0
	global_store_b64 v[0:1], v[4:5], off
.LBB51_14:
	s_endpgm
	.section	.rodata,"a",@progbits
	.p2align	6, 0x0
	.amdhsa_kernel _ZN9rocsolver6v33100L8copy_matIdPdNS0_7no_maskEEEvNS0_17copymat_directionEiiT0_iilPT_T1_13rocblas_fill_17rocblas_diagonal_
		.amdhsa_group_segment_fixed_size 0
		.amdhsa_private_segment_fixed_size 0
		.amdhsa_kernarg_size 320
		.amdhsa_user_sgpr_count 2
		.amdhsa_user_sgpr_dispatch_ptr 0
		.amdhsa_user_sgpr_queue_ptr 0
		.amdhsa_user_sgpr_kernarg_segment_ptr 1
		.amdhsa_user_sgpr_dispatch_id 0
		.amdhsa_user_sgpr_private_segment_size 0
		.amdhsa_wavefront_size32 1
		.amdhsa_uses_dynamic_stack 0
		.amdhsa_enable_private_segment 0
		.amdhsa_system_sgpr_workgroup_id_x 1
		.amdhsa_system_sgpr_workgroup_id_y 1
		.amdhsa_system_sgpr_workgroup_id_z 1
		.amdhsa_system_sgpr_workgroup_info 0
		.amdhsa_system_vgpr_workitem_id 1
		.amdhsa_next_free_vgpr 6
		.amdhsa_next_free_sgpr 16
		.amdhsa_reserve_vcc 1
		.amdhsa_float_round_mode_32 0
		.amdhsa_float_round_mode_16_64 0
		.amdhsa_float_denorm_mode_32 3
		.amdhsa_float_denorm_mode_16_64 3
		.amdhsa_fp16_overflow 0
		.amdhsa_workgroup_processor_mode 1
		.amdhsa_memory_ordered 1
		.amdhsa_forward_progress 1
		.amdhsa_inst_pref_size 5
		.amdhsa_round_robin_scheduling 0
		.amdhsa_exception_fp_ieee_invalid_op 0
		.amdhsa_exception_fp_denorm_src 0
		.amdhsa_exception_fp_ieee_div_zero 0
		.amdhsa_exception_fp_ieee_overflow 0
		.amdhsa_exception_fp_ieee_underflow 0
		.amdhsa_exception_fp_ieee_inexact 0
		.amdhsa_exception_int_div_zero 0
	.end_amdhsa_kernel
	.section	.text._ZN9rocsolver6v33100L8copy_matIdPdNS0_7no_maskEEEvNS0_17copymat_directionEiiT0_iilPT_T1_13rocblas_fill_17rocblas_diagonal_,"axG",@progbits,_ZN9rocsolver6v33100L8copy_matIdPdNS0_7no_maskEEEvNS0_17copymat_directionEiiT0_iilPT_T1_13rocblas_fill_17rocblas_diagonal_,comdat
.Lfunc_end51:
	.size	_ZN9rocsolver6v33100L8copy_matIdPdNS0_7no_maskEEEvNS0_17copymat_directionEiiT0_iilPT_T1_13rocblas_fill_17rocblas_diagonal_, .Lfunc_end51-_ZN9rocsolver6v33100L8copy_matIdPdNS0_7no_maskEEEvNS0_17copymat_directionEiiT0_iilPT_T1_13rocblas_fill_17rocblas_diagonal_
                                        ; -- End function
	.set _ZN9rocsolver6v33100L8copy_matIdPdNS0_7no_maskEEEvNS0_17copymat_directionEiiT0_iilPT_T1_13rocblas_fill_17rocblas_diagonal_.num_vgpr, 6
	.set _ZN9rocsolver6v33100L8copy_matIdPdNS0_7no_maskEEEvNS0_17copymat_directionEiiT0_iilPT_T1_13rocblas_fill_17rocblas_diagonal_.num_agpr, 0
	.set _ZN9rocsolver6v33100L8copy_matIdPdNS0_7no_maskEEEvNS0_17copymat_directionEiiT0_iilPT_T1_13rocblas_fill_17rocblas_diagonal_.numbered_sgpr, 16
	.set _ZN9rocsolver6v33100L8copy_matIdPdNS0_7no_maskEEEvNS0_17copymat_directionEiiT0_iilPT_T1_13rocblas_fill_17rocblas_diagonal_.num_named_barrier, 0
	.set _ZN9rocsolver6v33100L8copy_matIdPdNS0_7no_maskEEEvNS0_17copymat_directionEiiT0_iilPT_T1_13rocblas_fill_17rocblas_diagonal_.private_seg_size, 0
	.set _ZN9rocsolver6v33100L8copy_matIdPdNS0_7no_maskEEEvNS0_17copymat_directionEiiT0_iilPT_T1_13rocblas_fill_17rocblas_diagonal_.uses_vcc, 1
	.set _ZN9rocsolver6v33100L8copy_matIdPdNS0_7no_maskEEEvNS0_17copymat_directionEiiT0_iilPT_T1_13rocblas_fill_17rocblas_diagonal_.uses_flat_scratch, 0
	.set _ZN9rocsolver6v33100L8copy_matIdPdNS0_7no_maskEEEvNS0_17copymat_directionEiiT0_iilPT_T1_13rocblas_fill_17rocblas_diagonal_.has_dyn_sized_stack, 0
	.set _ZN9rocsolver6v33100L8copy_matIdPdNS0_7no_maskEEEvNS0_17copymat_directionEiiT0_iilPT_T1_13rocblas_fill_17rocblas_diagonal_.has_recursion, 0
	.set _ZN9rocsolver6v33100L8copy_matIdPdNS0_7no_maskEEEvNS0_17copymat_directionEiiT0_iilPT_T1_13rocblas_fill_17rocblas_diagonal_.has_indirect_call, 0
	.section	.AMDGPU.csdata,"",@progbits
; Kernel info:
; codeLenInByte = 612
; TotalNumSgprs: 18
; NumVgprs: 6
; ScratchSize: 0
; MemoryBound: 0
; FloatMode: 240
; IeeeMode: 1
; LDSByteSize: 0 bytes/workgroup (compile time only)
; SGPRBlocks: 0
; VGPRBlocks: 0
; NumSGPRsForWavesPerEU: 18
; NumVGPRsForWavesPerEU: 6
; Occupancy: 16
; WaveLimiterHint : 0
; COMPUTE_PGM_RSRC2:SCRATCH_EN: 0
; COMPUTE_PGM_RSRC2:USER_SGPR: 2
; COMPUTE_PGM_RSRC2:TRAP_HANDLER: 0
; COMPUTE_PGM_RSRC2:TGID_X_EN: 1
; COMPUTE_PGM_RSRC2:TGID_Y_EN: 1
; COMPUTE_PGM_RSRC2:TGID_Z_EN: 1
; COMPUTE_PGM_RSRC2:TIDIG_COMP_CNT: 1
	.section	.text._ZN9rocsolver6v33100L11stedc_copyDIdEEviPT_lS3_l,"axG",@progbits,_ZN9rocsolver6v33100L11stedc_copyDIdEEviPT_lS3_l,comdat
	.globl	_ZN9rocsolver6v33100L11stedc_copyDIdEEviPT_lS3_l ; -- Begin function _ZN9rocsolver6v33100L11stedc_copyDIdEEviPT_lS3_l
	.p2align	8
	.type	_ZN9rocsolver6v33100L11stedc_copyDIdEEviPT_lS3_l,@function
_ZN9rocsolver6v33100L11stedc_copyDIdEEviPT_lS3_l: ; @_ZN9rocsolver6v33100L11stedc_copyDIdEEviPT_lS3_l
; %bb.0:
	s_clause 0x1
	s_load_b32 s2, s[0:1], 0x34
	s_load_b32 s22, s[0:1], 0x0
	s_wait_kmcnt 0x0
	s_and_b32 s20, s2, 0xffff
	s_add_co_i32 s4, s22, -1
	s_lshl_b32 s21, s20, 4
	s_abs_i32 s5, s4
	s_cvt_f32_u32 s2, s21
	s_sub_co_i32 s3, 0, s21
	s_ashr_i32 s4, s4, 31
	s_delay_alu instid0(SALU_CYCLE_1) | instskip(NEXT) | instid1(TRANS32_DEP_1)
	v_rcp_iflag_f32_e32 v1, s2
	v_readfirstlane_b32 s2, v1
	s_mul_f32 s2, s2, 0x4f7ffffe
	s_wait_alu 0xfffe
	s_delay_alu instid0(SALU_CYCLE_2) | instskip(SKIP_1) | instid1(SALU_CYCLE_2)
	s_cvt_u32_f32 s2, s2
	s_wait_alu 0xfffe
	s_mul_i32 s3, s3, s2
	s_wait_alu 0xfffe
	s_mul_hi_u32 s3, s2, s3
	s_wait_alu 0xfffe
	s_add_co_i32 s2, s2, s3
	s_wait_alu 0xfffe
	s_mul_hi_u32 s2, s5, s2
	s_wait_alu 0xfffe
	s_mul_i32 s3, s2, s21
	s_wait_alu 0xfffe
	s_sub_co_i32 s3, s5, s3
	s_add_co_i32 s5, s2, 1
	s_wait_alu 0xfffe
	s_sub_co_i32 s6, s3, s21
	s_cmp_ge_u32 s3, s21
	s_cselect_b32 s2, s5, s2
	s_cselect_b32 s3, s6, s3
	s_wait_alu 0xfffe
	s_add_co_i32 s5, s2, 1
	s_cmp_ge_u32 s3, s21
	s_cselect_b32 s2, s5, s2
	s_wait_alu 0xfffe
	s_xor_b32 s2, s2, s4
	s_wait_alu 0xfffe
	s_sub_co_i32 s8, s2, s4
	s_delay_alu instid0(SALU_CYCLE_1)
	s_cmp_lt_i32 s8, 0
	s_cbranch_scc1 .LBB52_67
; %bb.1:
	s_load_b256 s[0:7], s[0:1], 0x8
	v_mov_b32_e32 v2, 0
	s_mov_b32 s10, ttmp7
	s_ashr_i32 s11, ttmp7, 31
	s_add_co_i32 s23, s8, 1
	s_lshl_b32 s24, s20, 1
	v_dual_mov_b32 v3, v2 :: v_dual_mov_b32 v4, v2
	v_dual_mov_b32 v5, v2 :: v_dual_mov_b32 v6, v2
	;; [unrolled: 1-line block ×7, first 2 shown]
	s_wait_kmcnt 0x0
	s_mul_u64 s[2:3], s[2:3], s[10:11]
	s_mul_u64 s[6:7], s[6:7], s[10:11]
	v_dual_mov_b32 v17, v2 :: v_dual_mov_b32 v18, v2
	v_dual_mov_b32 v19, v2 :: v_dual_mov_b32 v20, v2
	;; [unrolled: 1-line block ×8, first 2 shown]
	v_mov_b32_e32 v33, v2
	s_wait_alu 0xfffe
	s_lshl_b64 s[2:3], s[2:3], 3
	s_lshl_b64 s[6:7], s[6:7], 3
	s_mul_i32 s25, s20, 3
	s_lshl_b32 s26, s20, 2
	s_mul_i32 s27, s20, 5
	s_mul_i32 s28, s20, 6
	;; [unrolled: 1-line block ×3, first 2 shown]
	s_lshl_b32 s30, s20, 3
	s_mul_i32 s31, s20, 9
	s_mul_i32 s33, s20, 10
	;; [unrolled: 1-line block ×4, first 2 shown]
	s_wait_alu 0xfffe
	s_add_nc_u64 s[16:17], s[0:1], s[2:3]
	s_add_nc_u64 s[18:19], s[4:5], s[6:7]
	s_mul_i32 s36, s20, 13
	s_mul_i32 s37, s20, 14
	;; [unrolled: 1-line block ×3, first 2 shown]
	s_branch .LBB52_3
.LBB52_2:                               ;   in Loop: Header=BB52_3 Depth=1
	s_wait_alu 0xfffe
	s_or_b32 exec_lo, exec_lo, s0
	v_add_nc_u32_e32 v0, s21, v0
	s_add_co_i32 s23, s23, -1
	s_wait_alu 0xfffe
	s_cmp_eq_u32 s23, 0
	s_cbranch_scc1 .LBB52_67
.LBB52_3:                               ; =>This Inner Loop Header: Depth=1
	v_cmp_gt_i32_e32 vcc_lo, s22, v0
	v_ashrrev_i32_e32 v1, 31, v0
	s_and_saveexec_b32 s1, vcc_lo
	s_cbranch_execz .LBB52_5
; %bb.4:                                ;   in Loop: Header=BB52_3 Depth=1
	s_wait_loadcnt 0x0
	s_delay_alu instid0(VALU_DEP_1) | instskip(NEXT) | instid1(VALU_DEP_1)
	v_lshlrev_b64_e32 v[2:3], 3, v[0:1]
	v_add_co_u32 v2, s0, s16, v2
	s_wait_alu 0xf1ff
	s_delay_alu instid0(VALU_DEP_2)
	v_add_co_ci_u32_e64 v3, null, s17, v3, s0
	global_load_b64 v[2:3], v[2:3], off
.LBB52_5:                               ;   in Loop: Header=BB52_3 Depth=1
	s_wait_alu 0xfffe
	s_or_b32 exec_lo, exec_lo, s1
	v_add_nc_u32_e32 v34, s20, v0
	s_delay_alu instid0(VALU_DEP_1)
	v_cmp_gt_i32_e64 s0, s22, v34
	v_ashrrev_i32_e32 v35, 31, v34
	s_and_saveexec_b32 s2, s0
	s_cbranch_execz .LBB52_7
; %bb.6:                                ;   in Loop: Header=BB52_3 Depth=1
	s_wait_loadcnt 0x0
	s_delay_alu instid0(VALU_DEP_1) | instskip(NEXT) | instid1(VALU_DEP_1)
	v_lshlrev_b64_e32 v[4:5], 3, v[34:35]
	v_add_co_u32 v4, s1, s16, v4
	s_wait_alu 0xf1ff
	s_delay_alu instid0(VALU_DEP_2)
	v_add_co_ci_u32_e64 v5, null, s17, v5, s1
	global_load_b64 v[4:5], v[4:5], off
.LBB52_7:                               ;   in Loop: Header=BB52_3 Depth=1
	s_wait_alu 0xfffe
	s_or_b32 exec_lo, exec_lo, s2
	v_add_nc_u32_e32 v38, s20, v34
	v_add_nc_u32_e32 v36, s24, v0
	s_delay_alu instid0(VALU_DEP_2) | instskip(NEXT) | instid1(VALU_DEP_2)
	v_cmp_gt_i32_e64 s1, s22, v38
	v_ashrrev_i32_e32 v37, 31, v36
	s_and_saveexec_b32 s3, s1
	s_cbranch_execz .LBB52_9
; %bb.8:                                ;   in Loop: Header=BB52_3 Depth=1
	s_wait_loadcnt 0x0
	s_delay_alu instid0(VALU_DEP_1) | instskip(NEXT) | instid1(VALU_DEP_1)
	v_lshlrev_b64_e32 v[6:7], 3, v[36:37]
	v_add_co_u32 v6, s2, s16, v6
	s_wait_alu 0xf1ff
	s_delay_alu instid0(VALU_DEP_2)
	v_add_co_ci_u32_e64 v7, null, s17, v7, s2
	global_load_b64 v[6:7], v[6:7], off
.LBB52_9:                               ;   in Loop: Header=BB52_3 Depth=1
	s_wait_alu 0xfffe
	s_or_b32 exec_lo, exec_lo, s3
	v_add_nc_u32_e32 v40, s20, v38
	v_add_nc_u32_e32 v38, s25, v0
	s_delay_alu instid0(VALU_DEP_2) | instskip(NEXT) | instid1(VALU_DEP_2)
	v_cmp_gt_i32_e64 s2, s22, v40
	v_ashrrev_i32_e32 v39, 31, v38
	s_and_saveexec_b32 s4, s2
	s_cbranch_execz .LBB52_11
; %bb.10:                               ;   in Loop: Header=BB52_3 Depth=1
	s_wait_loadcnt 0x0
	s_delay_alu instid0(VALU_DEP_1) | instskip(NEXT) | instid1(VALU_DEP_1)
	v_lshlrev_b64_e32 v[8:9], 3, v[38:39]
	v_add_co_u32 v8, s3, s16, v8
	s_wait_alu 0xf1ff
	s_delay_alu instid0(VALU_DEP_2)
	v_add_co_ci_u32_e64 v9, null, s17, v9, s3
	global_load_b64 v[8:9], v[8:9], off
.LBB52_11:                              ;   in Loop: Header=BB52_3 Depth=1
	s_wait_alu 0xfffe
	s_or_b32 exec_lo, exec_lo, s4
	v_add_nc_u32_e32 v42, s20, v40
	v_add_nc_u32_e32 v40, s26, v0
	s_delay_alu instid0(VALU_DEP_2) | instskip(NEXT) | instid1(VALU_DEP_2)
	v_cmp_gt_i32_e64 s3, s22, v42
	v_ashrrev_i32_e32 v41, 31, v40
	s_and_saveexec_b32 s5, s3
	s_cbranch_execz .LBB52_13
; %bb.12:                               ;   in Loop: Header=BB52_3 Depth=1
	s_wait_loadcnt 0x0
	s_delay_alu instid0(VALU_DEP_1) | instskip(NEXT) | instid1(VALU_DEP_1)
	v_lshlrev_b64_e32 v[10:11], 3, v[40:41]
	v_add_co_u32 v10, s4, s16, v10
	s_wait_alu 0xf1ff
	s_delay_alu instid0(VALU_DEP_2)
	v_add_co_ci_u32_e64 v11, null, s17, v11, s4
	global_load_b64 v[10:11], v[10:11], off
.LBB52_13:                              ;   in Loop: Header=BB52_3 Depth=1
	;; [unrolled: 19-line block ×12, first 2 shown]
	s_wait_alu 0xfffe
	s_or_b32 exec_lo, exec_lo, s15
	v_add_nc_u32_e32 v63, s20, v62
	v_add_nc_u32_e32 v62, s38, v0
	s_delay_alu instid0(VALU_DEP_2) | instskip(NEXT) | instid1(VALU_DEP_2)
	v_cmp_gt_i32_e64 s14, s22, v63
	v_ashrrev_i32_e32 v63, 31, v62
	s_and_saveexec_b32 s39, s14
	s_cbranch_execnz .LBB52_50
; %bb.34:                               ;   in Loop: Header=BB52_3 Depth=1
	s_wait_alu 0xfffe
	s_or_b32 exec_lo, exec_lo, s39
	s_and_saveexec_b32 s15, vcc_lo
	s_cbranch_execnz .LBB52_51
.LBB52_35:                              ;   in Loop: Header=BB52_3 Depth=1
	s_wait_alu 0xfffe
	s_or_b32 exec_lo, exec_lo, s15
	s_and_saveexec_b32 s15, s0
	s_cbranch_execnz .LBB52_52
.LBB52_36:                              ;   in Loop: Header=BB52_3 Depth=1
	s_wait_alu 0xfffe
	s_or_b32 exec_lo, exec_lo, s15
	s_and_saveexec_b32 s0, s1
	s_cbranch_execnz .LBB52_53
.LBB52_37:                              ;   in Loop: Header=BB52_3 Depth=1
	s_wait_alu 0xfffe
	s_or_b32 exec_lo, exec_lo, s0
	s_and_saveexec_b32 s0, s2
	s_cbranch_execnz .LBB52_54
.LBB52_38:                              ;   in Loop: Header=BB52_3 Depth=1
	s_wait_alu 0xfffe
	s_or_b32 exec_lo, exec_lo, s0
	s_and_saveexec_b32 s0, s3
	s_cbranch_execnz .LBB52_55
.LBB52_39:                              ;   in Loop: Header=BB52_3 Depth=1
	s_wait_alu 0xfffe
	s_or_b32 exec_lo, exec_lo, s0
	s_and_saveexec_b32 s0, s4
	s_cbranch_execnz .LBB52_56
.LBB52_40:                              ;   in Loop: Header=BB52_3 Depth=1
	s_wait_alu 0xfffe
	s_or_b32 exec_lo, exec_lo, s0
	s_and_saveexec_b32 s0, s5
	s_cbranch_execnz .LBB52_57
.LBB52_41:                              ;   in Loop: Header=BB52_3 Depth=1
	s_wait_alu 0xfffe
	s_or_b32 exec_lo, exec_lo, s0
	s_and_saveexec_b32 s0, s6
	s_cbranch_execnz .LBB52_58
.LBB52_42:                              ;   in Loop: Header=BB52_3 Depth=1
	s_wait_alu 0xfffe
	s_or_b32 exec_lo, exec_lo, s0
	s_and_saveexec_b32 s0, s7
	s_cbranch_execnz .LBB52_59
.LBB52_43:                              ;   in Loop: Header=BB52_3 Depth=1
	s_wait_alu 0xfffe
	s_or_b32 exec_lo, exec_lo, s0
	s_and_saveexec_b32 s0, s8
	s_cbranch_execnz .LBB52_60
.LBB52_44:                              ;   in Loop: Header=BB52_3 Depth=1
	s_wait_alu 0xfffe
	s_or_b32 exec_lo, exec_lo, s0
	s_and_saveexec_b32 s0, s9
	s_cbranch_execnz .LBB52_61
.LBB52_45:                              ;   in Loop: Header=BB52_3 Depth=1
	s_wait_alu 0xfffe
	s_or_b32 exec_lo, exec_lo, s0
	s_and_saveexec_b32 s0, s10
	s_cbranch_execnz .LBB52_62
.LBB52_46:                              ;   in Loop: Header=BB52_3 Depth=1
	s_wait_alu 0xfffe
	s_or_b32 exec_lo, exec_lo, s0
	s_and_saveexec_b32 s0, s11
	s_cbranch_execnz .LBB52_63
.LBB52_47:                              ;   in Loop: Header=BB52_3 Depth=1
	s_wait_alu 0xfffe
	s_or_b32 exec_lo, exec_lo, s0
	s_and_saveexec_b32 s0, s12
	s_cbranch_execnz .LBB52_64
.LBB52_48:                              ;   in Loop: Header=BB52_3 Depth=1
	s_wait_alu 0xfffe
	s_or_b32 exec_lo, exec_lo, s0
	s_and_saveexec_b32 s0, s13
	s_cbranch_execnz .LBB52_65
.LBB52_49:                              ;   in Loop: Header=BB52_3 Depth=1
	s_wait_alu 0xfffe
	s_or_b32 exec_lo, exec_lo, s0
	s_and_saveexec_b32 s0, s14
	s_cbranch_execz .LBB52_2
	s_branch .LBB52_66
.LBB52_50:                              ;   in Loop: Header=BB52_3 Depth=1
	s_wait_loadcnt 0x0
	s_delay_alu instid0(VALU_DEP_1) | instskip(NEXT) | instid1(VALU_DEP_1)
	v_lshlrev_b64_e32 v[32:33], 3, v[62:63]
	v_add_co_u32 v32, s15, s16, v32
	s_wait_alu 0xf1ff
	s_delay_alu instid0(VALU_DEP_2)
	v_add_co_ci_u32_e64 v33, null, s17, v33, s15
	global_load_b64 v[32:33], v[32:33], off
	s_wait_alu 0xfffe
	s_or_b32 exec_lo, exec_lo, s39
	s_and_saveexec_b32 s15, vcc_lo
	s_cbranch_execz .LBB52_35
.LBB52_51:                              ;   in Loop: Header=BB52_3 Depth=1
	v_lshlrev_b64_e32 v[64:65], 3, v[0:1]
	s_delay_alu instid0(VALU_DEP_1) | instskip(SKIP_1) | instid1(VALU_DEP_2)
	v_add_co_u32 v64, vcc_lo, s18, v64
	s_wait_alu 0xfffd
	v_add_co_ci_u32_e64 v65, null, s19, v65, vcc_lo
	s_wait_loadcnt 0x0
	global_store_b64 v[64:65], v[2:3], off
	s_wait_alu 0xfffe
	s_or_b32 exec_lo, exec_lo, s15
	s_and_saveexec_b32 s15, s0
	s_cbranch_execz .LBB52_36
.LBB52_52:                              ;   in Loop: Header=BB52_3 Depth=1
	v_lshlrev_b64_e32 v[34:35], 3, v[34:35]
	s_delay_alu instid0(VALU_DEP_1) | instskip(SKIP_1) | instid1(VALU_DEP_2)
	v_add_co_u32 v34, vcc_lo, s18, v34
	s_wait_alu 0xfffd
	v_add_co_ci_u32_e64 v35, null, s19, v35, vcc_lo
	s_wait_loadcnt 0x0
	global_store_b64 v[34:35], v[4:5], off
	s_wait_alu 0xfffe
	s_or_b32 exec_lo, exec_lo, s15
	s_and_saveexec_b32 s0, s1
	s_cbranch_execz .LBB52_37
.LBB52_53:                              ;   in Loop: Header=BB52_3 Depth=1
	v_lshlrev_b64_e32 v[34:35], 3, v[36:37]
	s_delay_alu instid0(VALU_DEP_1) | instskip(SKIP_1) | instid1(VALU_DEP_2)
	v_add_co_u32 v34, vcc_lo, s18, v34
	s_wait_alu 0xfffd
	v_add_co_ci_u32_e64 v35, null, s19, v35, vcc_lo
	s_wait_loadcnt 0x0
	global_store_b64 v[34:35], v[6:7], off
	s_wait_alu 0xfffe
	s_or_b32 exec_lo, exec_lo, s0
	s_and_saveexec_b32 s0, s2
	s_cbranch_execz .LBB52_38
.LBB52_54:                              ;   in Loop: Header=BB52_3 Depth=1
	v_lshlrev_b64_e32 v[34:35], 3, v[38:39]
	s_delay_alu instid0(VALU_DEP_1) | instskip(SKIP_1) | instid1(VALU_DEP_2)
	v_add_co_u32 v34, vcc_lo, s18, v34
	s_wait_alu 0xfffd
	v_add_co_ci_u32_e64 v35, null, s19, v35, vcc_lo
	s_wait_loadcnt 0x0
	global_store_b64 v[34:35], v[8:9], off
	s_wait_alu 0xfffe
	s_or_b32 exec_lo, exec_lo, s0
	s_and_saveexec_b32 s0, s3
	s_cbranch_execz .LBB52_39
.LBB52_55:                              ;   in Loop: Header=BB52_3 Depth=1
	v_lshlrev_b64_e32 v[34:35], 3, v[40:41]
	s_delay_alu instid0(VALU_DEP_1) | instskip(SKIP_1) | instid1(VALU_DEP_2)
	v_add_co_u32 v34, vcc_lo, s18, v34
	s_wait_alu 0xfffd
	v_add_co_ci_u32_e64 v35, null, s19, v35, vcc_lo
	s_wait_loadcnt 0x0
	global_store_b64 v[34:35], v[10:11], off
	s_wait_alu 0xfffe
	s_or_b32 exec_lo, exec_lo, s0
	s_and_saveexec_b32 s0, s4
	s_cbranch_execz .LBB52_40
.LBB52_56:                              ;   in Loop: Header=BB52_3 Depth=1
	v_lshlrev_b64_e32 v[34:35], 3, v[42:43]
	s_delay_alu instid0(VALU_DEP_1) | instskip(SKIP_1) | instid1(VALU_DEP_2)
	v_add_co_u32 v34, vcc_lo, s18, v34
	s_wait_alu 0xfffd
	v_add_co_ci_u32_e64 v35, null, s19, v35, vcc_lo
	s_wait_loadcnt 0x0
	global_store_b64 v[34:35], v[12:13], off
	s_wait_alu 0xfffe
	s_or_b32 exec_lo, exec_lo, s0
	s_and_saveexec_b32 s0, s5
	s_cbranch_execz .LBB52_41
.LBB52_57:                              ;   in Loop: Header=BB52_3 Depth=1
	v_lshlrev_b64_e32 v[34:35], 3, v[44:45]
	s_delay_alu instid0(VALU_DEP_1) | instskip(SKIP_1) | instid1(VALU_DEP_2)
	v_add_co_u32 v34, vcc_lo, s18, v34
	s_wait_alu 0xfffd
	v_add_co_ci_u32_e64 v35, null, s19, v35, vcc_lo
	s_wait_loadcnt 0x0
	global_store_b64 v[34:35], v[14:15], off
	s_wait_alu 0xfffe
	s_or_b32 exec_lo, exec_lo, s0
	s_and_saveexec_b32 s0, s6
	s_cbranch_execz .LBB52_42
.LBB52_58:                              ;   in Loop: Header=BB52_3 Depth=1
	v_lshlrev_b64_e32 v[34:35], 3, v[46:47]
	s_delay_alu instid0(VALU_DEP_1) | instskip(SKIP_1) | instid1(VALU_DEP_2)
	v_add_co_u32 v34, vcc_lo, s18, v34
	s_wait_alu 0xfffd
	v_add_co_ci_u32_e64 v35, null, s19, v35, vcc_lo
	s_wait_loadcnt 0x0
	global_store_b64 v[34:35], v[16:17], off
	s_wait_alu 0xfffe
	s_or_b32 exec_lo, exec_lo, s0
	s_and_saveexec_b32 s0, s7
	s_cbranch_execz .LBB52_43
.LBB52_59:                              ;   in Loop: Header=BB52_3 Depth=1
	v_lshlrev_b64_e32 v[34:35], 3, v[48:49]
	s_delay_alu instid0(VALU_DEP_1) | instskip(SKIP_1) | instid1(VALU_DEP_2)
	v_add_co_u32 v34, vcc_lo, s18, v34
	s_wait_alu 0xfffd
	v_add_co_ci_u32_e64 v35, null, s19, v35, vcc_lo
	s_wait_loadcnt 0x0
	global_store_b64 v[34:35], v[18:19], off
	s_wait_alu 0xfffe
	s_or_b32 exec_lo, exec_lo, s0
	s_and_saveexec_b32 s0, s8
	s_cbranch_execz .LBB52_44
.LBB52_60:                              ;   in Loop: Header=BB52_3 Depth=1
	v_lshlrev_b64_e32 v[34:35], 3, v[50:51]
	s_delay_alu instid0(VALU_DEP_1) | instskip(SKIP_1) | instid1(VALU_DEP_2)
	v_add_co_u32 v34, vcc_lo, s18, v34
	s_wait_alu 0xfffd
	v_add_co_ci_u32_e64 v35, null, s19, v35, vcc_lo
	s_wait_loadcnt 0x0
	global_store_b64 v[34:35], v[20:21], off
	s_wait_alu 0xfffe
	s_or_b32 exec_lo, exec_lo, s0
	s_and_saveexec_b32 s0, s9
	s_cbranch_execz .LBB52_45
.LBB52_61:                              ;   in Loop: Header=BB52_3 Depth=1
	v_lshlrev_b64_e32 v[34:35], 3, v[52:53]
	s_delay_alu instid0(VALU_DEP_1) | instskip(SKIP_1) | instid1(VALU_DEP_2)
	v_add_co_u32 v34, vcc_lo, s18, v34
	s_wait_alu 0xfffd
	v_add_co_ci_u32_e64 v35, null, s19, v35, vcc_lo
	s_wait_loadcnt 0x0
	global_store_b64 v[34:35], v[22:23], off
	s_wait_alu 0xfffe
	s_or_b32 exec_lo, exec_lo, s0
	s_and_saveexec_b32 s0, s10
	s_cbranch_execz .LBB52_46
.LBB52_62:                              ;   in Loop: Header=BB52_3 Depth=1
	v_lshlrev_b64_e32 v[34:35], 3, v[54:55]
	s_delay_alu instid0(VALU_DEP_1) | instskip(SKIP_1) | instid1(VALU_DEP_2)
	v_add_co_u32 v34, vcc_lo, s18, v34
	s_wait_alu 0xfffd
	v_add_co_ci_u32_e64 v35, null, s19, v35, vcc_lo
	s_wait_loadcnt 0x0
	global_store_b64 v[34:35], v[24:25], off
	s_wait_alu 0xfffe
	s_or_b32 exec_lo, exec_lo, s0
	s_and_saveexec_b32 s0, s11
	s_cbranch_execz .LBB52_47
.LBB52_63:                              ;   in Loop: Header=BB52_3 Depth=1
	v_lshlrev_b64_e32 v[34:35], 3, v[56:57]
	s_delay_alu instid0(VALU_DEP_1) | instskip(SKIP_1) | instid1(VALU_DEP_2)
	v_add_co_u32 v34, vcc_lo, s18, v34
	s_wait_alu 0xfffd
	v_add_co_ci_u32_e64 v35, null, s19, v35, vcc_lo
	s_wait_loadcnt 0x0
	global_store_b64 v[34:35], v[26:27], off
	s_wait_alu 0xfffe
	s_or_b32 exec_lo, exec_lo, s0
	s_and_saveexec_b32 s0, s12
	s_cbranch_execz .LBB52_48
.LBB52_64:                              ;   in Loop: Header=BB52_3 Depth=1
	v_lshlrev_b64_e32 v[34:35], 3, v[58:59]
	s_delay_alu instid0(VALU_DEP_1) | instskip(SKIP_1) | instid1(VALU_DEP_2)
	v_add_co_u32 v34, vcc_lo, s18, v34
	s_wait_alu 0xfffd
	v_add_co_ci_u32_e64 v35, null, s19, v35, vcc_lo
	s_wait_loadcnt 0x0
	global_store_b64 v[34:35], v[28:29], off
	s_wait_alu 0xfffe
	s_or_b32 exec_lo, exec_lo, s0
	s_and_saveexec_b32 s0, s13
	s_cbranch_execz .LBB52_49
.LBB52_65:                              ;   in Loop: Header=BB52_3 Depth=1
	v_lshlrev_b64_e32 v[34:35], 3, v[60:61]
	s_delay_alu instid0(VALU_DEP_1) | instskip(SKIP_1) | instid1(VALU_DEP_2)
	v_add_co_u32 v34, vcc_lo, s18, v34
	s_wait_alu 0xfffd
	v_add_co_ci_u32_e64 v35, null, s19, v35, vcc_lo
	s_wait_loadcnt 0x0
	global_store_b64 v[34:35], v[30:31], off
	s_wait_alu 0xfffe
	s_or_b32 exec_lo, exec_lo, s0
	s_and_saveexec_b32 s0, s14
	s_cbranch_execz .LBB52_2
.LBB52_66:                              ;   in Loop: Header=BB52_3 Depth=1
	v_lshlrev_b64_e32 v[34:35], 3, v[62:63]
	s_delay_alu instid0(VALU_DEP_1) | instskip(SKIP_1) | instid1(VALU_DEP_2)
	v_add_co_u32 v34, vcc_lo, s18, v34
	s_wait_alu 0xfffd
	v_add_co_ci_u32_e64 v35, null, s19, v35, vcc_lo
	s_wait_loadcnt 0x0
	global_store_b64 v[34:35], v[32:33], off
	s_branch .LBB52_2
.LBB52_67:
	s_endpgm
	.section	.rodata,"a",@progbits
	.p2align	6, 0x0
	.amdhsa_kernel _ZN9rocsolver6v33100L11stedc_copyDIdEEviPT_lS3_l
		.amdhsa_group_segment_fixed_size 0
		.amdhsa_private_segment_fixed_size 0
		.amdhsa_kernarg_size 296
		.amdhsa_user_sgpr_count 2
		.amdhsa_user_sgpr_dispatch_ptr 0
		.amdhsa_user_sgpr_queue_ptr 0
		.amdhsa_user_sgpr_kernarg_segment_ptr 1
		.amdhsa_user_sgpr_dispatch_id 0
		.amdhsa_user_sgpr_private_segment_size 0
		.amdhsa_wavefront_size32 1
		.amdhsa_uses_dynamic_stack 0
		.amdhsa_enable_private_segment 0
		.amdhsa_system_sgpr_workgroup_id_x 1
		.amdhsa_system_sgpr_workgroup_id_y 1
		.amdhsa_system_sgpr_workgroup_id_z 0
		.amdhsa_system_sgpr_workgroup_info 0
		.amdhsa_system_vgpr_workitem_id 0
		.amdhsa_next_free_vgpr 66
		.amdhsa_next_free_sgpr 40
		.amdhsa_reserve_vcc 1
		.amdhsa_float_round_mode_32 0
		.amdhsa_float_round_mode_16_64 0
		.amdhsa_float_denorm_mode_32 3
		.amdhsa_float_denorm_mode_16_64 3
		.amdhsa_fp16_overflow 0
		.amdhsa_workgroup_processor_mode 1
		.amdhsa_memory_ordered 1
		.amdhsa_forward_progress 1
		.amdhsa_inst_pref_size 25
		.amdhsa_round_robin_scheduling 0
		.amdhsa_exception_fp_ieee_invalid_op 0
		.amdhsa_exception_fp_denorm_src 0
		.amdhsa_exception_fp_ieee_div_zero 0
		.amdhsa_exception_fp_ieee_overflow 0
		.amdhsa_exception_fp_ieee_underflow 0
		.amdhsa_exception_fp_ieee_inexact 0
		.amdhsa_exception_int_div_zero 0
	.end_amdhsa_kernel
	.section	.text._ZN9rocsolver6v33100L11stedc_copyDIdEEviPT_lS3_l,"axG",@progbits,_ZN9rocsolver6v33100L11stedc_copyDIdEEviPT_lS3_l,comdat
.Lfunc_end52:
	.size	_ZN9rocsolver6v33100L11stedc_copyDIdEEviPT_lS3_l, .Lfunc_end52-_ZN9rocsolver6v33100L11stedc_copyDIdEEviPT_lS3_l
                                        ; -- End function
	.set _ZN9rocsolver6v33100L11stedc_copyDIdEEviPT_lS3_l.num_vgpr, 66
	.set _ZN9rocsolver6v33100L11stedc_copyDIdEEviPT_lS3_l.num_agpr, 0
	.set _ZN9rocsolver6v33100L11stedc_copyDIdEEviPT_lS3_l.numbered_sgpr, 40
	.set _ZN9rocsolver6v33100L11stedc_copyDIdEEviPT_lS3_l.num_named_barrier, 0
	.set _ZN9rocsolver6v33100L11stedc_copyDIdEEviPT_lS3_l.private_seg_size, 0
	.set _ZN9rocsolver6v33100L11stedc_copyDIdEEviPT_lS3_l.uses_vcc, 1
	.set _ZN9rocsolver6v33100L11stedc_copyDIdEEviPT_lS3_l.uses_flat_scratch, 0
	.set _ZN9rocsolver6v33100L11stedc_copyDIdEEviPT_lS3_l.has_dyn_sized_stack, 0
	.set _ZN9rocsolver6v33100L11stedc_copyDIdEEviPT_lS3_l.has_recursion, 0
	.set _ZN9rocsolver6v33100L11stedc_copyDIdEEviPT_lS3_l.has_indirect_call, 0
	.section	.AMDGPU.csdata,"",@progbits
; Kernel info:
; codeLenInByte = 3084
; TotalNumSgprs: 42
; NumVgprs: 66
; ScratchSize: 0
; MemoryBound: 0
; FloatMode: 240
; IeeeMode: 1
; LDSByteSize: 0 bytes/workgroup (compile time only)
; SGPRBlocks: 0
; VGPRBlocks: 8
; NumSGPRsForWavesPerEU: 42
; NumVGPRsForWavesPerEU: 66
; Occupancy: 16
; WaveLimiterHint : 0
; COMPUTE_PGM_RSRC2:SCRATCH_EN: 0
; COMPUTE_PGM_RSRC2:USER_SGPR: 2
; COMPUTE_PGM_RSRC2:TRAP_HANDLER: 0
; COMPUTE_PGM_RSRC2:TGID_X_EN: 1
; COMPUTE_PGM_RSRC2:TGID_Y_EN: 1
; COMPUTE_PGM_RSRC2:TGID_Z_EN: 0
; COMPUTE_PGM_RSRC2:TIDIG_COMP_CNT: 0
	.section	.text._ZN9rocsolver6v33100L10stedc_sortIddPdS2_EEviPT0_lS4_lT1_iilT2_iil,"axG",@progbits,_ZN9rocsolver6v33100L10stedc_sortIddPdS2_EEviPT0_lS4_lT1_iilT2_iil,comdat
	.globl	_ZN9rocsolver6v33100L10stedc_sortIddPdS2_EEviPT0_lS4_lT1_iilT2_iil ; -- Begin function _ZN9rocsolver6v33100L10stedc_sortIddPdS2_EEviPT0_lS4_lT1_iilT2_iil
	.p2align	8
	.type	_ZN9rocsolver6v33100L10stedc_sortIddPdS2_EEviPT0_lS4_lT1_iilT2_iil,@function
_ZN9rocsolver6v33100L10stedc_sortIddPdS2_EEviPT0_lS4_lT1_iilT2_iil: ; @_ZN9rocsolver6v33100L10stedc_sortIddPdS2_EEviPT0_lS4_lT1_iilT2_iil
; %bb.0:
	s_clause 0x3
	s_load_b32 s2, s[0:1], 0x64
	s_load_b64 s[28:29], s[0:1], 0x28
	s_load_b256 s[16:23], s[0:1], 0x8
	s_load_b32 s39, s[0:1], 0x0
	s_mov_b32 s24, ttmp7
	s_ashr_i32 s25, ttmp7, 31
	s_mov_b32 s26, ttmp9
	s_ashr_i32 s27, ttmp9, 31
	s_delay_alu instid0(SALU_CYCLE_1)
	s_lshl_b64 s[30:31], s[26:27], 3
	s_wait_kmcnt 0x0
	s_and_b32 s33, s2, 0xffff
	s_mul_u64 s[4:5], s[18:19], s[24:25]
	s_lshl_b32 s38, s33, 4
	s_add_co_i32 s6, s39, -1
	s_cvt_f32_u32 s2, s38
	s_sub_co_i32 s8, 0, s38
	s_lshl_b64 s[4:5], s[4:5], 3
	s_ashr_i32 s7, s6, 31
	v_rcp_iflag_f32_e32 v1, s2
	s_abs_i32 s6, s6
	s_add_nc_u64 s[36:37], s[16:17], s[4:5]
	s_mov_b32 s2, -1
	s_add_nc_u64 s[4:5], s[36:37], s[30:31]
	s_mul_i32 s27, s33, 3
	s_load_b64 s[34:35], s[4:5], 0x0
	s_mul_i32 s40, s33, 5
	s_mul_i32 s41, s33, 6
	;; [unrolled: 1-line block ×3, first 2 shown]
	v_readfirstlane_b32 s3, v1
	s_mul_i32 s43, s33, 9
	s_mul_i32 s44, s33, 10
	;; [unrolled: 1-line block ×4, first 2 shown]
	s_mul_f32 s3, s3, 0x4f7ffffe
	s_mul_i32 s47, s33, 13
	s_mul_i32 s48, s33, 14
	;; [unrolled: 1-line block ×3, first 2 shown]
	s_wait_alu 0xfffe
	s_cvt_u32_f32 s3, s3
	s_wait_alu 0xfffe
	s_delay_alu instid0(SALU_CYCLE_2) | instskip(NEXT) | instid1(SALU_CYCLE_1)
	s_mul_i32 s8, s8, s3
	s_mul_hi_u32 s8, s3, s8
	s_delay_alu instid0(SALU_CYCLE_1)
	s_add_co_i32 s3, s3, s8
	s_wait_alu 0xfffe
	s_mul_hi_u32 s3, s6, s3
	s_wait_alu 0xfffe
	s_mul_i32 s8, s3, s38
	s_add_co_i32 s5, s3, 1
	s_sub_co_i32 s4, s6, s8
	s_delay_alu instid0(SALU_CYCLE_1)
	s_sub_co_i32 s6, s4, s38
	s_cmp_ge_u32 s4, s38
	s_cselect_b32 s3, s5, s3
	s_cselect_b32 s4, s6, s4
	s_wait_alu 0xfffe
	s_add_co_i32 s5, s3, 1
	s_cmp_ge_u32 s4, s38
	s_cselect_b32 s3, s5, s3
	s_wait_alu 0xfffe
	s_xor_b32 s3, s3, s7
	s_wait_alu 0xfffe
	s_sub_co_i32 s19, s3, s7
	s_delay_alu instid0(SALU_CYCLE_1)
	s_cmp_gt_i32 s19, -1
	s_cselect_b32 s50, -1, 0
	s_cmp_lt_i32 s19, 0
	s_cbranch_scc1 .LBB53_67
; %bb.1:
	v_dual_mov_b32 v1, 0 :: v_dual_mov_b32 v34, v0
	s_add_co_i32 s51, s19, 1
	s_lshl_b32 s52, s33, 1
	s_lshl_b32 s53, s33, 2
	s_delay_alu instid0(VALU_DEP_1)
	v_dual_mov_b32 v32, v1 :: v_dual_mov_b32 v65, v1
	v_dual_mov_b32 v2, v1 :: v_dual_mov_b32 v3, v1
	;; [unrolled: 1-line block ×17, first 2 shown]
	s_delay_alu instid0(VALU_DEP_2) | instskip(NEXT) | instid1(VALU_DEP_3)
	v_mov_b32_e32 v32, v31
	v_mov_b32_e32 v31, v30
	;; [unrolled: 1-line block ×31, first 2 shown]
	s_lshl_b32 s54, s33, 3
	s_branch .LBB53_3
.LBB53_2:                               ;   in Loop: Header=BB53_3 Depth=1
	s_wait_alu 0xfffe
	s_or_b32 exec_lo, exec_lo, s4
	v_add_nc_u32_e32 v34, s38, v34
	s_add_co_i32 s51, s51, -1
	s_delay_alu instid0(SALU_CYCLE_1)
	s_cmp_eq_u32 s51, 0
	s_cbranch_scc1 .LBB53_68
.LBB53_3:                               ; =>This Inner Loop Header: Depth=1
	s_delay_alu instid0(VALU_DEP_1)
	v_cmp_gt_i32_e64 s16, s39, v34
	s_and_saveexec_b32 s2, s16
	s_cbranch_execz .LBB53_5
; %bb.4:                                ;   in Loop: Header=BB53_3 Depth=1
	v_ashrrev_i32_e32 v35, 31, v34
	s_wait_loadcnt 0x0
	s_delay_alu instid0(VALU_DEP_1) | instskip(NEXT) | instid1(VALU_DEP_1)
	v_lshlrev_b64_e32 v[2:3], 3, v[34:35]
	v_add_co_u32 v2, vcc_lo, s36, v2
	s_wait_alu 0xfffd
	s_delay_alu instid0(VALU_DEP_2)
	v_add_co_ci_u32_e64 v3, null, s37, v3, vcc_lo
	global_load_b64 v[2:3], v[2:3], off
.LBB53_5:                               ;   in Loop: Header=BB53_3 Depth=1
	s_wait_alu 0xfffe
	s_or_b32 exec_lo, exec_lo, s2
	v_add_nc_u32_e32 v63, s33, v34
	s_delay_alu instid0(VALU_DEP_1)
	v_cmp_gt_i32_e64 s15, s39, v63
	s_and_saveexec_b32 s2, s15
	s_cbranch_execz .LBB53_7
; %bb.6:                                ;   in Loop: Header=BB53_3 Depth=1
	v_ashrrev_i32_e32 v64, 31, v63
	s_wait_loadcnt 0x0
	s_delay_alu instid0(VALU_DEP_1) | instskip(NEXT) | instid1(VALU_DEP_1)
	v_lshlrev_b64_e32 v[4:5], 3, v[63:64]
	v_add_co_u32 v4, vcc_lo, s36, v4
	s_wait_alu 0xfffd
	s_delay_alu instid0(VALU_DEP_2)
	v_add_co_ci_u32_e64 v5, null, s37, v5, vcc_lo
	global_load_b64 v[4:5], v[4:5], off
.LBB53_7:                               ;   in Loop: Header=BB53_3 Depth=1
	s_wait_alu 0xfffe
	s_or_b32 exec_lo, exec_lo, s2
	v_add_nc_u32_e32 v61, s52, v34
	;; [unrolled: 18-line block ×3, first 2 shown]
	s_delay_alu instid0(VALU_DEP_1)
	v_cmp_gt_i32_e64 s13, s39, v59
	s_and_saveexec_b32 s2, s13
	s_cbranch_execz .LBB53_11
; %bb.10:                               ;   in Loop: Header=BB53_3 Depth=1
	v_ashrrev_i32_e32 v60, 31, v59
	s_wait_loadcnt 0x0
	s_delay_alu instid0(VALU_DEP_1) | instskip(NEXT) | instid1(VALU_DEP_1)
	v_lshlrev_b64_e32 v[8:9], 3, v[59:60]
	v_add_co_u32 v8, vcc_lo, s36, v8
	s_wait_alu 0xfffd
	s_delay_alu instid0(VALU_DEP_2)
	v_add_co_ci_u32_e64 v9, null, s37, v9, vcc_lo
	global_load_b64 v[8:9], v[8:9], off
.LBB53_11:                              ;   in Loop: Header=BB53_3 Depth=1
	s_wait_alu 0xfffe
	s_or_b32 exec_lo, exec_lo, s2
	v_add_nc_u32_e32 v57, s53, v34
	s_delay_alu instid0(VALU_DEP_1)
	v_cmp_gt_i32_e64 s12, s39, v57
	s_and_saveexec_b32 s2, s12
	s_cbranch_execz .LBB53_13
; %bb.12:                               ;   in Loop: Header=BB53_3 Depth=1
	v_ashrrev_i32_e32 v58, 31, v57
	s_wait_loadcnt 0x0
	s_delay_alu instid0(VALU_DEP_1) | instskip(NEXT) | instid1(VALU_DEP_1)
	v_lshlrev_b64_e32 v[10:11], 3, v[57:58]
	v_add_co_u32 v10, vcc_lo, s36, v10
	s_wait_alu 0xfffd
	s_delay_alu instid0(VALU_DEP_2)
	v_add_co_ci_u32_e64 v11, null, s37, v11, vcc_lo
	global_load_b64 v[10:11], v[10:11], off
.LBB53_13:                              ;   in Loop: Header=BB53_3 Depth=1
	s_wait_alu 0xfffe
	s_or_b32 exec_lo, exec_lo, s2
	v_add_nc_u32_e32 v55, s40, v34
	;; [unrolled: 18-line block ×12, first 2 shown]
	s_delay_alu instid0(VALU_DEP_1)
	v_cmp_gt_i32_e32 vcc_lo, s39, v35
	s_and_saveexec_b32 s18, vcc_lo
	s_cbranch_execnz .LBB53_50
; %bb.34:                               ;   in Loop: Header=BB53_3 Depth=1
	s_wait_alu 0xfffe
	s_or_b32 exec_lo, exec_lo, s18
	s_and_saveexec_b32 s55, s16
	s_cbranch_execnz .LBB53_51
.LBB53_35:                              ;   in Loop: Header=BB53_3 Depth=1
	s_wait_alu 0xfffe
	s_or_b32 exec_lo, exec_lo, s55
	s_and_saveexec_b32 s18, s15
	s_cbranch_execnz .LBB53_52
.LBB53_36:                              ;   in Loop: Header=BB53_3 Depth=1
	s_wait_alu 0xfffe
	s_or_b32 exec_lo, exec_lo, s18
	s_and_saveexec_b32 s17, s14
	s_cbranch_execnz .LBB53_53
.LBB53_37:                              ;   in Loop: Header=BB53_3 Depth=1
	s_wait_alu 0xfffe
	s_or_b32 exec_lo, exec_lo, s17
	s_and_saveexec_b32 s16, s13
	s_cbranch_execnz .LBB53_54
.LBB53_38:                              ;   in Loop: Header=BB53_3 Depth=1
	s_wait_alu 0xfffe
	s_or_b32 exec_lo, exec_lo, s16
	s_and_saveexec_b32 s15, s12
	s_cbranch_execnz .LBB53_55
.LBB53_39:                              ;   in Loop: Header=BB53_3 Depth=1
	s_wait_alu 0xfffe
	s_or_b32 exec_lo, exec_lo, s15
	s_and_saveexec_b32 s14, s11
	s_cbranch_execnz .LBB53_56
.LBB53_40:                              ;   in Loop: Header=BB53_3 Depth=1
	s_wait_alu 0xfffe
	s_or_b32 exec_lo, exec_lo, s14
	s_and_saveexec_b32 s13, s10
	s_cbranch_execnz .LBB53_57
.LBB53_41:                              ;   in Loop: Header=BB53_3 Depth=1
	s_wait_alu 0xfffe
	s_or_b32 exec_lo, exec_lo, s13
	s_and_saveexec_b32 s12, s9
	s_cbranch_execnz .LBB53_58
.LBB53_42:                              ;   in Loop: Header=BB53_3 Depth=1
	s_wait_alu 0xfffe
	s_or_b32 exec_lo, exec_lo, s12
	s_and_saveexec_b32 s11, s8
	s_cbranch_execnz .LBB53_59
.LBB53_43:                              ;   in Loop: Header=BB53_3 Depth=1
	s_wait_alu 0xfffe
	s_or_b32 exec_lo, exec_lo, s11
	s_and_saveexec_b32 s10, s7
	s_cbranch_execnz .LBB53_60
.LBB53_44:                              ;   in Loop: Header=BB53_3 Depth=1
	s_wait_alu 0xfffe
	s_or_b32 exec_lo, exec_lo, s10
	s_and_saveexec_b32 s9, s6
	s_cbranch_execnz .LBB53_61
.LBB53_45:                              ;   in Loop: Header=BB53_3 Depth=1
	s_wait_alu 0xfffe
	s_or_b32 exec_lo, exec_lo, s9
	s_and_saveexec_b32 s8, s5
	s_cbranch_execnz .LBB53_62
.LBB53_46:                              ;   in Loop: Header=BB53_3 Depth=1
	s_wait_alu 0xfffe
	s_or_b32 exec_lo, exec_lo, s8
	s_and_saveexec_b32 s7, s4
	s_cbranch_execnz .LBB53_63
.LBB53_47:                              ;   in Loop: Header=BB53_3 Depth=1
	s_wait_alu 0xfffe
	s_or_b32 exec_lo, exec_lo, s7
	s_and_saveexec_b32 s6, s3
	s_cbranch_execnz .LBB53_64
.LBB53_48:                              ;   in Loop: Header=BB53_3 Depth=1
	s_wait_alu 0xfffe
	s_or_b32 exec_lo, exec_lo, s6
	s_and_saveexec_b32 s5, s2
	s_cbranch_execnz .LBB53_65
.LBB53_49:                              ;   in Loop: Header=BB53_3 Depth=1
	s_wait_alu 0xfffe
	s_or_b32 exec_lo, exec_lo, s5
	s_and_saveexec_b32 s4, vcc_lo
	s_cbranch_execz .LBB53_2
	s_branch .LBB53_66
.LBB53_50:                              ;   in Loop: Header=BB53_3 Depth=1
	v_ashrrev_i32_e32 v36, 31, v35
	s_wait_loadcnt 0x0
	s_delay_alu instid0(VALU_DEP_1) | instskip(NEXT) | instid1(VALU_DEP_1)
	v_lshlrev_b64_e32 v[32:33], 3, v[35:36]
	v_add_co_u32 v32, s17, s36, v32
	s_wait_alu 0xf1ff
	s_delay_alu instid0(VALU_DEP_2)
	v_add_co_ci_u32_e64 v33, null, s37, v33, s17
	global_load_b64 v[32:33], v[32:33], off
	s_wait_alu 0xfffe
	s_or_b32 exec_lo, exec_lo, s18
	s_and_saveexec_b32 s55, s16
	s_cbranch_execz .LBB53_35
.LBB53_51:                              ;   in Loop: Header=BB53_3 Depth=1
	s_wait_loadcnt 0x0
	v_cmp_u_f64_e64 s18, v[2:3], v[2:3]
	s_wait_kmcnt 0x0
	v_cmp_eq_f64_e64 s16, s[34:35], v[2:3]
	v_cmp_gt_i32_e64 s17, s26, v34
	s_wait_alu 0xf1ff
	s_delay_alu instid0(VALU_DEP_3)
	v_add_co_ci_u32_e64 v1, null, 0, v1, s18
	v_cmp_gt_f64_e64 s18, s[34:35], v[2:3]
	s_and_b32 s16, s16, s17
	s_wait_alu 0xfffe
	v_add_co_ci_u32_e64 v66, null, 0, v66, s16
	v_add_co_ci_u32_e64 v65, null, 0, v65, s18
	s_or_b32 exec_lo, exec_lo, s55
	s_and_saveexec_b32 s18, s15
	s_cbranch_execz .LBB53_36
.LBB53_52:                              ;   in Loop: Header=BB53_3 Depth=1
	s_wait_loadcnt 0x0
	v_cmp_u_f64_e64 s17, v[4:5], v[4:5]
	s_wait_kmcnt 0x0
	v_cmp_eq_f64_e64 s15, s[34:35], v[4:5]
	v_cmp_gt_i32_e64 s16, s26, v63
	s_wait_alu 0xf1ff
	s_delay_alu instid0(VALU_DEP_3)
	v_add_co_ci_u32_e64 v1, null, 0, v1, s17
	v_cmp_gt_f64_e64 s17, s[34:35], v[4:5]
	s_and_b32 s15, s15, s16
	s_wait_alu 0xfffe
	v_add_co_ci_u32_e64 v66, null, 0, v66, s15
	v_add_co_ci_u32_e64 v65, null, 0, v65, s17
	s_or_b32 exec_lo, exec_lo, s18
	s_and_saveexec_b32 s17, s14
	s_cbranch_execz .LBB53_37
.LBB53_53:                              ;   in Loop: Header=BB53_3 Depth=1
	s_wait_loadcnt 0x0
	v_cmp_u_f64_e64 s16, v[6:7], v[6:7]
	s_wait_kmcnt 0x0
	v_cmp_eq_f64_e64 s14, s[34:35], v[6:7]
	v_cmp_gt_i32_e64 s15, s26, v61
	s_wait_alu 0xf1ff
	s_delay_alu instid0(VALU_DEP_3)
	v_add_co_ci_u32_e64 v1, null, 0, v1, s16
	v_cmp_gt_f64_e64 s16, s[34:35], v[6:7]
	s_and_b32 s14, s14, s15
	s_wait_alu 0xfffe
	v_add_co_ci_u32_e64 v66, null, 0, v66, s14
	v_add_co_ci_u32_e64 v65, null, 0, v65, s16
	s_or_b32 exec_lo, exec_lo, s17
	s_and_saveexec_b32 s16, s13
	s_cbranch_execz .LBB53_38
.LBB53_54:                              ;   in Loop: Header=BB53_3 Depth=1
	s_wait_loadcnt 0x0
	v_cmp_u_f64_e64 s15, v[8:9], v[8:9]
	s_wait_kmcnt 0x0
	v_cmp_eq_f64_e64 s13, s[34:35], v[8:9]
	v_cmp_gt_i32_e64 s14, s26, v59
	s_wait_alu 0xf1ff
	s_delay_alu instid0(VALU_DEP_3)
	v_add_co_ci_u32_e64 v1, null, 0, v1, s15
	v_cmp_gt_f64_e64 s15, s[34:35], v[8:9]
	s_and_b32 s13, s13, s14
	s_wait_alu 0xfffe
	v_add_co_ci_u32_e64 v66, null, 0, v66, s13
	v_add_co_ci_u32_e64 v65, null, 0, v65, s15
	s_or_b32 exec_lo, exec_lo, s16
	s_and_saveexec_b32 s15, s12
	s_cbranch_execz .LBB53_39
.LBB53_55:                              ;   in Loop: Header=BB53_3 Depth=1
	s_wait_loadcnt 0x0
	v_cmp_u_f64_e64 s14, v[10:11], v[10:11]
	s_wait_kmcnt 0x0
	v_cmp_eq_f64_e64 s12, s[34:35], v[10:11]
	v_cmp_gt_i32_e64 s13, s26, v57
	s_wait_alu 0xf1ff
	s_delay_alu instid0(VALU_DEP_3)
	v_add_co_ci_u32_e64 v1, null, 0, v1, s14
	v_cmp_gt_f64_e64 s14, s[34:35], v[10:11]
	s_and_b32 s12, s12, s13
	s_wait_alu 0xfffe
	v_add_co_ci_u32_e64 v66, null, 0, v66, s12
	v_add_co_ci_u32_e64 v65, null, 0, v65, s14
	s_or_b32 exec_lo, exec_lo, s15
	s_and_saveexec_b32 s14, s11
	s_cbranch_execz .LBB53_40
.LBB53_56:                              ;   in Loop: Header=BB53_3 Depth=1
	s_wait_loadcnt 0x0
	v_cmp_u_f64_e64 s13, v[12:13], v[12:13]
	s_wait_kmcnt 0x0
	v_cmp_eq_f64_e64 s11, s[34:35], v[12:13]
	v_cmp_gt_i32_e64 s12, s26, v55
	s_wait_alu 0xf1ff
	s_delay_alu instid0(VALU_DEP_3)
	v_add_co_ci_u32_e64 v1, null, 0, v1, s13
	v_cmp_gt_f64_e64 s13, s[34:35], v[12:13]
	s_and_b32 s11, s11, s12
	s_wait_alu 0xfffe
	v_add_co_ci_u32_e64 v66, null, 0, v66, s11
	v_add_co_ci_u32_e64 v65, null, 0, v65, s13
	s_or_b32 exec_lo, exec_lo, s14
	s_and_saveexec_b32 s13, s10
	s_cbranch_execz .LBB53_41
.LBB53_57:                              ;   in Loop: Header=BB53_3 Depth=1
	s_wait_loadcnt 0x0
	v_cmp_u_f64_e64 s12, v[14:15], v[14:15]
	s_wait_kmcnt 0x0
	v_cmp_eq_f64_e64 s10, s[34:35], v[14:15]
	v_cmp_gt_i32_e64 s11, s26, v53
	s_wait_alu 0xf1ff
	s_delay_alu instid0(VALU_DEP_3)
	v_add_co_ci_u32_e64 v1, null, 0, v1, s12
	v_cmp_gt_f64_e64 s12, s[34:35], v[14:15]
	s_and_b32 s10, s10, s11
	s_wait_alu 0xfffe
	v_add_co_ci_u32_e64 v66, null, 0, v66, s10
	v_add_co_ci_u32_e64 v65, null, 0, v65, s12
	s_or_b32 exec_lo, exec_lo, s13
	s_and_saveexec_b32 s12, s9
	s_cbranch_execz .LBB53_42
.LBB53_58:                              ;   in Loop: Header=BB53_3 Depth=1
	s_wait_loadcnt 0x0
	v_cmp_u_f64_e64 s11, v[16:17], v[16:17]
	s_wait_kmcnt 0x0
	v_cmp_eq_f64_e64 s9, s[34:35], v[16:17]
	v_cmp_gt_i32_e64 s10, s26, v51
	s_wait_alu 0xf1ff
	s_delay_alu instid0(VALU_DEP_3)
	v_add_co_ci_u32_e64 v1, null, 0, v1, s11
	v_cmp_gt_f64_e64 s11, s[34:35], v[16:17]
	s_and_b32 s9, s9, s10
	s_wait_alu 0xfffe
	v_add_co_ci_u32_e64 v66, null, 0, v66, s9
	v_add_co_ci_u32_e64 v65, null, 0, v65, s11
	s_or_b32 exec_lo, exec_lo, s12
	s_and_saveexec_b32 s11, s8
	s_cbranch_execz .LBB53_43
.LBB53_59:                              ;   in Loop: Header=BB53_3 Depth=1
	s_wait_loadcnt 0x0
	v_cmp_u_f64_e64 s10, v[18:19], v[18:19]
	s_wait_kmcnt 0x0
	v_cmp_eq_f64_e64 s8, s[34:35], v[18:19]
	v_cmp_gt_i32_e64 s9, s26, v49
	s_wait_alu 0xf1ff
	s_delay_alu instid0(VALU_DEP_3)
	v_add_co_ci_u32_e64 v1, null, 0, v1, s10
	v_cmp_gt_f64_e64 s10, s[34:35], v[18:19]
	s_and_b32 s8, s8, s9
	s_wait_alu 0xfffe
	v_add_co_ci_u32_e64 v66, null, 0, v66, s8
	v_add_co_ci_u32_e64 v65, null, 0, v65, s10
	s_or_b32 exec_lo, exec_lo, s11
	s_and_saveexec_b32 s10, s7
	s_cbranch_execz .LBB53_44
.LBB53_60:                              ;   in Loop: Header=BB53_3 Depth=1
	s_wait_loadcnt 0x0
	v_cmp_u_f64_e64 s9, v[20:21], v[20:21]
	s_wait_kmcnt 0x0
	v_cmp_eq_f64_e64 s7, s[34:35], v[20:21]
	v_cmp_gt_i32_e64 s8, s26, v47
	s_wait_alu 0xf1ff
	s_delay_alu instid0(VALU_DEP_3)
	v_add_co_ci_u32_e64 v1, null, 0, v1, s9
	v_cmp_gt_f64_e64 s9, s[34:35], v[20:21]
	s_and_b32 s7, s7, s8
	s_wait_alu 0xfffe
	v_add_co_ci_u32_e64 v66, null, 0, v66, s7
	v_add_co_ci_u32_e64 v65, null, 0, v65, s9
	s_or_b32 exec_lo, exec_lo, s10
	s_and_saveexec_b32 s9, s6
	s_cbranch_execz .LBB53_45
.LBB53_61:                              ;   in Loop: Header=BB53_3 Depth=1
	s_wait_loadcnt 0x0
	v_cmp_u_f64_e64 s8, v[22:23], v[22:23]
	s_wait_kmcnt 0x0
	v_cmp_eq_f64_e64 s6, s[34:35], v[22:23]
	v_cmp_gt_i32_e64 s7, s26, v45
	s_wait_alu 0xf1ff
	s_delay_alu instid0(VALU_DEP_3)
	v_add_co_ci_u32_e64 v1, null, 0, v1, s8
	v_cmp_gt_f64_e64 s8, s[34:35], v[22:23]
	s_and_b32 s6, s6, s7
	s_wait_alu 0xfffe
	v_add_co_ci_u32_e64 v66, null, 0, v66, s6
	v_add_co_ci_u32_e64 v65, null, 0, v65, s8
	s_or_b32 exec_lo, exec_lo, s9
	s_and_saveexec_b32 s8, s5
	s_cbranch_execz .LBB53_46
.LBB53_62:                              ;   in Loop: Header=BB53_3 Depth=1
	s_wait_loadcnt 0x0
	v_cmp_u_f64_e64 s7, v[24:25], v[24:25]
	s_wait_kmcnt 0x0
	v_cmp_eq_f64_e64 s5, s[34:35], v[24:25]
	v_cmp_gt_i32_e64 s6, s26, v43
	s_wait_alu 0xf1ff
	s_delay_alu instid0(VALU_DEP_3)
	v_add_co_ci_u32_e64 v1, null, 0, v1, s7
	v_cmp_gt_f64_e64 s7, s[34:35], v[24:25]
	s_and_b32 s5, s5, s6
	s_wait_alu 0xfffe
	v_add_co_ci_u32_e64 v66, null, 0, v66, s5
	v_add_co_ci_u32_e64 v65, null, 0, v65, s7
	s_or_b32 exec_lo, exec_lo, s8
	s_and_saveexec_b32 s7, s4
	s_cbranch_execz .LBB53_47
.LBB53_63:                              ;   in Loop: Header=BB53_3 Depth=1
	s_wait_loadcnt 0x0
	v_cmp_u_f64_e64 s6, v[26:27], v[26:27]
	s_wait_kmcnt 0x0
	v_cmp_eq_f64_e64 s4, s[34:35], v[26:27]
	v_cmp_gt_i32_e64 s5, s26, v41
	s_wait_alu 0xf1ff
	s_delay_alu instid0(VALU_DEP_3)
	v_add_co_ci_u32_e64 v1, null, 0, v1, s6
	v_cmp_gt_f64_e64 s6, s[34:35], v[26:27]
	s_and_b32 s4, s4, s5
	s_wait_alu 0xfffe
	v_add_co_ci_u32_e64 v66, null, 0, v66, s4
	v_add_co_ci_u32_e64 v65, null, 0, v65, s6
	s_or_b32 exec_lo, exec_lo, s7
	s_and_saveexec_b32 s6, s3
	s_cbranch_execz .LBB53_48
.LBB53_64:                              ;   in Loop: Header=BB53_3 Depth=1
	s_wait_loadcnt 0x0
	v_cmp_u_f64_e64 s5, v[28:29], v[28:29]
	s_wait_kmcnt 0x0
	v_cmp_eq_f64_e64 s3, s[34:35], v[28:29]
	v_cmp_gt_i32_e64 s4, s26, v39
	s_wait_alu 0xf1ff
	s_delay_alu instid0(VALU_DEP_3)
	v_add_co_ci_u32_e64 v1, null, 0, v1, s5
	v_cmp_gt_f64_e64 s5, s[34:35], v[28:29]
	s_and_b32 s3, s3, s4
	s_wait_alu 0xfffe
	v_add_co_ci_u32_e64 v66, null, 0, v66, s3
	v_add_co_ci_u32_e64 v65, null, 0, v65, s5
	s_or_b32 exec_lo, exec_lo, s6
	s_and_saveexec_b32 s5, s2
	s_cbranch_execz .LBB53_49
.LBB53_65:                              ;   in Loop: Header=BB53_3 Depth=1
	s_wait_loadcnt 0x0
	v_cmp_u_f64_e64 s4, v[30:31], v[30:31]
	s_wait_kmcnt 0x0
	v_cmp_eq_f64_e64 s2, s[34:35], v[30:31]
	v_cmp_gt_i32_e64 s3, s26, v37
	s_wait_alu 0xf1ff
	s_delay_alu instid0(VALU_DEP_3)
	v_add_co_ci_u32_e64 v1, null, 0, v1, s4
	v_cmp_gt_f64_e64 s4, s[34:35], v[30:31]
	s_and_b32 s2, s2, s3
	s_wait_alu 0xfffe
	v_add_co_ci_u32_e64 v66, null, 0, v66, s2
	v_add_co_ci_u32_e64 v65, null, 0, v65, s4
	s_or_b32 exec_lo, exec_lo, s5
	s_and_saveexec_b32 s4, vcc_lo
	s_cbranch_execz .LBB53_2
.LBB53_66:                              ;   in Loop: Header=BB53_3 Depth=1
	s_wait_loadcnt 0x0
	v_cmp_u_f64_e64 s3, v[32:33], v[32:33]
	s_wait_kmcnt 0x0
	v_cmp_eq_f64_e32 vcc_lo, s[34:35], v[32:33]
	v_cmp_gt_i32_e64 s2, s26, v35
	s_wait_alu 0xf1ff
	s_delay_alu instid0(VALU_DEP_3)
	v_add_co_ci_u32_e64 v1, null, 0, v1, s3
	v_cmp_gt_f64_e64 s3, s[34:35], v[32:33]
	s_and_b32 vcc_lo, vcc_lo, s2
	s_wait_alu 0xfffe
	v_add_co_ci_u32_e64 v66, null, 0, v66, vcc_lo
	v_add_co_ci_u32_e64 v65, null, 0, v65, s3
	s_branch .LBB53_2
.LBB53_67:
	v_mov_b32_e32 v34, 0
	s_delay_alu instid0(VALU_DEP_1)
	v_dual_mov_b32 v35, v34 :: v_dual_mov_b32 v36, v34
	v_dual_mov_b32 v37, v34 :: v_dual_mov_b32 v38, v34
	v_dual_mov_b32 v39, v34 :: v_dual_mov_b32 v40, v34
	v_dual_mov_b32 v41, v34 :: v_dual_mov_b32 v42, v34
	v_dual_mov_b32 v43, v34 :: v_dual_mov_b32 v44, v34
	v_dual_mov_b32 v45, v34 :: v_dual_mov_b32 v46, v34
	v_dual_mov_b32 v47, v34 :: v_dual_mov_b32 v48, v34
	v_dual_mov_b32 v49, v34 :: v_dual_mov_b32 v50, v34
	v_dual_mov_b32 v51, v34 :: v_dual_mov_b32 v52, v34
	v_dual_mov_b32 v53, v34 :: v_dual_mov_b32 v54, v34
	v_dual_mov_b32 v55, v34 :: v_dual_mov_b32 v56, v34
	v_dual_mov_b32 v57, v34 :: v_dual_mov_b32 v58, v34
	v_dual_mov_b32 v59, v34 :: v_dual_mov_b32 v60, v34
	v_dual_mov_b32 v61, v34 :: v_dual_mov_b32 v62, v34
	v_dual_mov_b32 v63, v34 :: v_dual_mov_b32 v64, v34
	v_mov_b32_e32 v65, v34
	v_dual_mov_b32 v2, v34 :: v_dual_mov_b32 v3, v35
	v_dual_mov_b32 v4, v36 :: v_dual_mov_b32 v5, v37
	;; [unrolled: 1-line block ×16, first 2 shown]
	v_lshlrev_b32_e32 v1, 2, v0
	s_cmp_lt_u32 s33, 2
	ds_store_b32 v1, v34
	s_cbranch_scc0 .LBB53_69
	s_branch .LBB53_73
.LBB53_68:
	v_add_nc_u32_e32 v34, v65, v66
	v_cmp_eq_u32_e64 s2, 0, v1
	v_lshlrev_b32_e32 v1, 2, v0
	s_cmp_lt_u32 s33, 2
	ds_store_b32 v1, v34
	s_cbranch_scc1 .LBB53_73
.LBB53_69:
	s_mov_b32 s3, s33
	s_branch .LBB53_71
.LBB53_70:                              ;   in Loop: Header=BB53_71 Depth=1
	s_or_b32 exec_lo, exec_lo, s5
	s_cmp_lt_u32 s3, 4
	s_mov_b32 s3, s4
	s_cbranch_scc1 .LBB53_73
.LBB53_71:                              ; =>This Inner Loop Header: Depth=1
	s_wait_alu 0xfffe
	s_lshr_b32 s4, s3, 1
	s_mov_b32 s5, exec_lo
	s_wait_loadcnt_dscnt 0x0
	s_barrier_signal -1
	s_barrier_wait -1
	global_inv scope:SCOPE_SE
	s_wait_alu 0xfffe
	v_cmpx_gt_u32_e64 s4, v0
	s_cbranch_execz .LBB53_70
; %bb.72:                               ;   in Loop: Header=BB53_71 Depth=1
	v_lshl_add_u32 v35, s4, 2, v1
	ds_load_b32 v35, v35
	s_wait_dscnt 0x0
	v_add_nc_u32_e32 v34, v35, v34
	ds_store_b32 v1, v34
	s_branch .LBB53_70
.LBB53_73:
	v_mov_b32_e32 v1, 0
	s_wait_loadcnt_dscnt 0x0
	s_barrier_signal -1
	s_barrier_wait -1
	global_inv scope:SCOPE_SE
	ds_load_b32 v34, v1
	s_mul_u64 s[4:5], s[22:23], s[24:25]
	s_wait_alu 0xfffe
	s_lshl_b64 s[6:7], s[4:5], 3
	s_xor_b32 s4, s2, -1
	s_wait_alu 0xfffe
	s_add_nc_u64 s[2:3], s[20:21], s[6:7]
	s_mov_b32 s5, exec_lo
	s_wait_dscnt 0x0
	v_readfirstlane_b32 s8, v34
	v_cmpx_eq_u32_e32 0, v0
	s_cbranch_execnz .LBB53_76
; %bb.74:
	s_wait_alu 0xfffe
	s_or_b32 exec_lo, exec_lo, s5
	s_and_saveexec_b32 s5, s4
	s_cbranch_execnz .LBB53_77
.LBB53_75:
	s_wait_alu 0xfffe
	s_or_b32 exec_lo, exec_lo, s5
	s_delay_alu instid0(SALU_CYCLE_1)
	s_and_not1_b32 vcc_lo, exec_lo, s50
	s_wait_alu 0xfffe
	s_cbranch_vccz .LBB53_78
	s_branch .LBB53_144
.LBB53_76:
	s_ashr_i32 s9, s8, 31
	s_wait_kmcnt 0x0
	v_dual_mov_b32 v34, s34 :: v_dual_mov_b32 v35, s35
	s_wait_alu 0xfffe
	s_lshl_b64 s[6:7], s[8:9], 3
	s_wait_alu 0xfffe
	s_add_nc_u64 s[6:7], s[2:3], s[6:7]
	global_store_b64 v1, v[34:35], s[6:7]
	s_or_b32 exec_lo, exec_lo, s5
	s_and_saveexec_b32 s5, s4
	s_cbranch_execz .LBB53_75
.LBB53_77:
	v_dual_mov_b32 v34, 0 :: v_dual_mov_b32 v35, 0x7ff80000
	s_add_nc_u64 s[2:3], s[2:3], s[30:31]
	global_store_b64 v34, v[34:35], s[2:3]
	s_wait_alu 0xfffe
	s_or_b32 exec_lo, exec_lo, s5
	s_delay_alu instid0(SALU_CYCLE_1)
	s_and_not1_b32 vcc_lo, exec_lo, s50
	s_wait_alu 0xfffe
	s_cbranch_vccnz .LBB53_144
.LBB53_78:
	s_clause 0x1
	s_load_b64 s[10:11], s[0:1], 0x30
	s_load_b256 s[0:7], s[0:1], 0x38
	s_add_co_i32 s20, s19, 1
	s_lshl_b32 s21, s33, 1
	s_lshl_b32 s22, s33, 2
	;; [unrolled: 1-line block ×3, first 2 shown]
	s_wait_kmcnt 0x0
	s_ashr_i32 s13, s10, 31
	s_mul_u64 s[0:1], s[0:1], s[24:25]
	s_mul_u64 s[6:7], s[6:7], s[24:25]
	s_mov_b32 s12, s10
	s_ashr_i32 s15, s4, 31
	s_mov_b32 s14, s4
	s_mul_i32 s4, s11, s26
	s_mul_i32 s8, s8, s5
	s_lshl_b64 s[0:1], s[0:1], 3
	s_wait_alu 0xfffe
	s_lshl_b64 s[6:7], s[6:7], 3
	s_lshl_b64 s[10:11], s[12:13], 3
	;; [unrolled: 1-line block ×3, first 2 shown]
	s_ashr_i32 s5, s4, 31
	s_ashr_i32 s9, s8, 31
	s_add_nc_u64 s[0:1], s[28:29], s[0:1]
	s_wait_alu 0xfffe
	s_add_nc_u64 s[2:3], s[2:3], s[6:7]
	s_lshl_b64 s[4:5], s[4:5], 3
	s_lshl_b64 s[6:7], s[8:9], 3
	s_add_nc_u64 s[0:1], s[0:1], s[10:11]
	s_wait_alu 0xfffe
	s_add_nc_u64 s[2:3], s[2:3], s[12:13]
	s_add_nc_u64 s[16:17], s[0:1], s[4:5]
	s_wait_alu 0xfffe
	s_add_nc_u64 s[18:19], s[2:3], s[6:7]
	s_branch .LBB53_80
.LBB53_79:                              ;   in Loop: Header=BB53_80 Depth=1
	s_wait_alu 0xfffe
	s_or_b32 exec_lo, exec_lo, s0
	v_add_nc_u32_e32 v0, s38, v0
	s_add_co_i32 s20, s20, -1
	s_wait_alu 0xfffe
	s_cmp_eq_u32 s20, 0
	s_cbranch_scc1 .LBB53_144
.LBB53_80:                              ; =>This Inner Loop Header: Depth=1
	v_cmp_gt_i32_e32 vcc_lo, s39, v0
	v_ashrrev_i32_e32 v1, 31, v0
	s_and_saveexec_b32 s1, vcc_lo
	s_cbranch_execz .LBB53_82
; %bb.81:                               ;   in Loop: Header=BB53_80 Depth=1
	s_wait_loadcnt 0x0
	s_delay_alu instid0(VALU_DEP_1) | instskip(NEXT) | instid1(VALU_DEP_1)
	v_lshlrev_b64_e32 v[2:3], 3, v[0:1]
	v_add_co_u32 v2, s0, s16, v2
	s_wait_alu 0xf1ff
	s_delay_alu instid0(VALU_DEP_2)
	v_add_co_ci_u32_e64 v3, null, s17, v3, s0
	global_load_b64 v[2:3], v[2:3], off
.LBB53_82:                              ;   in Loop: Header=BB53_80 Depth=1
	s_wait_alu 0xfffe
	s_or_b32 exec_lo, exec_lo, s1
	v_add_nc_u32_e32 v34, s33, v0
	s_delay_alu instid0(VALU_DEP_1)
	v_cmp_gt_i32_e64 s0, s39, v34
	v_ashrrev_i32_e32 v35, 31, v34
	s_and_saveexec_b32 s2, s0
	s_cbranch_execz .LBB53_84
; %bb.83:                               ;   in Loop: Header=BB53_80 Depth=1
	s_wait_loadcnt 0x0
	s_delay_alu instid0(VALU_DEP_1) | instskip(NEXT) | instid1(VALU_DEP_1)
	v_lshlrev_b64_e32 v[4:5], 3, v[34:35]
	v_add_co_u32 v4, s1, s16, v4
	s_wait_alu 0xf1ff
	s_delay_alu instid0(VALU_DEP_2)
	v_add_co_ci_u32_e64 v5, null, s17, v5, s1
	global_load_b64 v[4:5], v[4:5], off
.LBB53_84:                              ;   in Loop: Header=BB53_80 Depth=1
	s_wait_alu 0xfffe
	s_or_b32 exec_lo, exec_lo, s2
	v_add_nc_u32_e32 v38, s33, v34
	v_add_nc_u32_e32 v36, s21, v0
	s_delay_alu instid0(VALU_DEP_2) | instskip(NEXT) | instid1(VALU_DEP_2)
	v_cmp_gt_i32_e64 s1, s39, v38
	v_ashrrev_i32_e32 v37, 31, v36
	s_and_saveexec_b32 s3, s1
	s_cbranch_execz .LBB53_86
; %bb.85:                               ;   in Loop: Header=BB53_80 Depth=1
	s_wait_loadcnt 0x0
	s_delay_alu instid0(VALU_DEP_1) | instskip(NEXT) | instid1(VALU_DEP_1)
	v_lshlrev_b64_e32 v[6:7], 3, v[36:37]
	v_add_co_u32 v6, s2, s16, v6
	s_wait_alu 0xf1ff
	s_delay_alu instid0(VALU_DEP_2)
	v_add_co_ci_u32_e64 v7, null, s17, v7, s2
	global_load_b64 v[6:7], v[6:7], off
.LBB53_86:                              ;   in Loop: Header=BB53_80 Depth=1
	s_wait_alu 0xfffe
	s_or_b32 exec_lo, exec_lo, s3
	v_add_nc_u32_e32 v40, s33, v38
	v_add_nc_u32_e32 v38, s27, v0
	s_delay_alu instid0(VALU_DEP_2) | instskip(NEXT) | instid1(VALU_DEP_2)
	;; [unrolled: 19-line block ×8, first 2 shown]
	v_cmp_gt_i32_e64 s8, s39, v52
	v_ashrrev_i32_e32 v51, 31, v50
	s_and_saveexec_b32 s10, s8
	s_cbranch_execz .LBB53_100
; %bb.99:                               ;   in Loop: Header=BB53_80 Depth=1
	s_wait_loadcnt 0x0
	s_delay_alu instid0(VALU_DEP_1) | instskip(NEXT) | instid1(VALU_DEP_1)
	v_lshlrev_b64_e32 v[20:21], 3, v[50:51]
	v_add_co_u32 v20, s9, s16, v20
	s_wait_alu 0xf1ff
	s_delay_alu instid0(VALU_DEP_2)
	v_add_co_ci_u32_e64 v21, null, s17, v21, s9
	global_load_b64 v[20:21], v[20:21], off
.LBB53_100:                             ;   in Loop: Header=BB53_80 Depth=1
	s_wait_alu 0xfffe
	s_or_b32 exec_lo, exec_lo, s10
	v_add_nc_u32_e32 v54, s33, v52
	v_add_nc_u32_e32 v52, s44, v0
	s_delay_alu instid0(VALU_DEP_2) | instskip(NEXT) | instid1(VALU_DEP_2)
	v_cmp_gt_i32_e64 s9, s39, v54
	v_ashrrev_i32_e32 v53, 31, v52
	s_and_saveexec_b32 s11, s9
	s_cbranch_execz .LBB53_102
; %bb.101:                              ;   in Loop: Header=BB53_80 Depth=1
	s_wait_loadcnt 0x0
	s_delay_alu instid0(VALU_DEP_1) | instskip(NEXT) | instid1(VALU_DEP_1)
	v_lshlrev_b64_e32 v[22:23], 3, v[52:53]
	v_add_co_u32 v22, s10, s16, v22
	s_wait_alu 0xf1ff
	s_delay_alu instid0(VALU_DEP_2)
	v_add_co_ci_u32_e64 v23, null, s17, v23, s10
	global_load_b64 v[22:23], v[22:23], off
.LBB53_102:                             ;   in Loop: Header=BB53_80 Depth=1
	s_wait_alu 0xfffe
	s_or_b32 exec_lo, exec_lo, s11
	v_add_nc_u32_e32 v56, s33, v54
	v_add_nc_u32_e32 v54, s45, v0
	s_delay_alu instid0(VALU_DEP_2) | instskip(NEXT) | instid1(VALU_DEP_2)
	v_cmp_gt_i32_e64 s10, s39, v56
	v_ashrrev_i32_e32 v55, 31, v54
	s_and_saveexec_b32 s12, s10
	s_cbranch_execz .LBB53_104
; %bb.103:                              ;   in Loop: Header=BB53_80 Depth=1
	s_wait_loadcnt 0x0
	s_delay_alu instid0(VALU_DEP_1) | instskip(NEXT) | instid1(VALU_DEP_1)
	v_lshlrev_b64_e32 v[24:25], 3, v[54:55]
	v_add_co_u32 v24, s11, s16, v24
	s_wait_alu 0xf1ff
	s_delay_alu instid0(VALU_DEP_2)
	v_add_co_ci_u32_e64 v25, null, s17, v25, s11
	global_load_b64 v[24:25], v[24:25], off
.LBB53_104:                             ;   in Loop: Header=BB53_80 Depth=1
	;; [unrolled: 19-line block ×5, first 2 shown]
	s_wait_alu 0xfffe
	s_or_b32 exec_lo, exec_lo, s15
	v_add_nc_u32_e32 v63, s33, v62
	v_add_nc_u32_e32 v62, s49, v0
	s_delay_alu instid0(VALU_DEP_2) | instskip(NEXT) | instid1(VALU_DEP_2)
	v_cmp_gt_i32_e64 s14, s39, v63
	v_ashrrev_i32_e32 v63, 31, v62
	s_and_saveexec_b32 s24, s14
	s_cbranch_execnz .LBB53_127
; %bb.111:                              ;   in Loop: Header=BB53_80 Depth=1
	s_or_b32 exec_lo, exec_lo, s24
	s_and_saveexec_b32 s15, vcc_lo
	s_cbranch_execnz .LBB53_128
.LBB53_112:                             ;   in Loop: Header=BB53_80 Depth=1
	s_wait_alu 0xfffe
	s_or_b32 exec_lo, exec_lo, s15
	s_and_saveexec_b32 s15, s0
	s_cbranch_execnz .LBB53_129
.LBB53_113:                             ;   in Loop: Header=BB53_80 Depth=1
	s_wait_alu 0xfffe
	s_or_b32 exec_lo, exec_lo, s15
	s_and_saveexec_b32 s0, s1
	s_cbranch_execnz .LBB53_130
.LBB53_114:                             ;   in Loop: Header=BB53_80 Depth=1
	s_wait_alu 0xfffe
	s_or_b32 exec_lo, exec_lo, s0
	s_and_saveexec_b32 s0, s2
	s_cbranch_execnz .LBB53_131
.LBB53_115:                             ;   in Loop: Header=BB53_80 Depth=1
	s_wait_alu 0xfffe
	s_or_b32 exec_lo, exec_lo, s0
	s_and_saveexec_b32 s0, s3
	s_cbranch_execnz .LBB53_132
.LBB53_116:                             ;   in Loop: Header=BB53_80 Depth=1
	s_wait_alu 0xfffe
	s_or_b32 exec_lo, exec_lo, s0
	s_and_saveexec_b32 s0, s4
	s_cbranch_execnz .LBB53_133
.LBB53_117:                             ;   in Loop: Header=BB53_80 Depth=1
	s_wait_alu 0xfffe
	s_or_b32 exec_lo, exec_lo, s0
	s_and_saveexec_b32 s0, s5
	s_cbranch_execnz .LBB53_134
.LBB53_118:                             ;   in Loop: Header=BB53_80 Depth=1
	s_wait_alu 0xfffe
	s_or_b32 exec_lo, exec_lo, s0
	s_and_saveexec_b32 s0, s6
	s_cbranch_execnz .LBB53_135
.LBB53_119:                             ;   in Loop: Header=BB53_80 Depth=1
	s_wait_alu 0xfffe
	s_or_b32 exec_lo, exec_lo, s0
	s_and_saveexec_b32 s0, s7
	s_cbranch_execnz .LBB53_136
.LBB53_120:                             ;   in Loop: Header=BB53_80 Depth=1
	s_wait_alu 0xfffe
	s_or_b32 exec_lo, exec_lo, s0
	s_and_saveexec_b32 s0, s8
	s_cbranch_execnz .LBB53_137
.LBB53_121:                             ;   in Loop: Header=BB53_80 Depth=1
	s_wait_alu 0xfffe
	s_or_b32 exec_lo, exec_lo, s0
	s_and_saveexec_b32 s0, s9
	s_cbranch_execnz .LBB53_138
.LBB53_122:                             ;   in Loop: Header=BB53_80 Depth=1
	s_wait_alu 0xfffe
	s_or_b32 exec_lo, exec_lo, s0
	s_and_saveexec_b32 s0, s10
	s_cbranch_execnz .LBB53_139
.LBB53_123:                             ;   in Loop: Header=BB53_80 Depth=1
	s_wait_alu 0xfffe
	s_or_b32 exec_lo, exec_lo, s0
	s_and_saveexec_b32 s0, s11
	s_cbranch_execnz .LBB53_140
.LBB53_124:                             ;   in Loop: Header=BB53_80 Depth=1
	s_wait_alu 0xfffe
	s_or_b32 exec_lo, exec_lo, s0
	s_and_saveexec_b32 s0, s12
	s_cbranch_execnz .LBB53_141
.LBB53_125:                             ;   in Loop: Header=BB53_80 Depth=1
	s_wait_alu 0xfffe
	s_or_b32 exec_lo, exec_lo, s0
	s_and_saveexec_b32 s0, s13
	s_cbranch_execnz .LBB53_142
.LBB53_126:                             ;   in Loop: Header=BB53_80 Depth=1
	s_wait_alu 0xfffe
	s_or_b32 exec_lo, exec_lo, s0
	s_and_saveexec_b32 s0, s14
	s_cbranch_execz .LBB53_79
	s_branch .LBB53_143
.LBB53_127:                             ;   in Loop: Header=BB53_80 Depth=1
	s_wait_loadcnt 0x0
	s_delay_alu instid0(VALU_DEP_1) | instskip(NEXT) | instid1(VALU_DEP_1)
	v_lshlrev_b64_e32 v[32:33], 3, v[62:63]
	v_add_co_u32 v32, s15, s16, v32
	s_wait_alu 0xf1ff
	s_delay_alu instid0(VALU_DEP_2)
	v_add_co_ci_u32_e64 v33, null, s17, v33, s15
	global_load_b64 v[32:33], v[32:33], off
	s_or_b32 exec_lo, exec_lo, s24
	s_and_saveexec_b32 s15, vcc_lo
	s_cbranch_execz .LBB53_112
.LBB53_128:                             ;   in Loop: Header=BB53_80 Depth=1
	v_lshlrev_b64_e32 v[64:65], 3, v[0:1]
	s_delay_alu instid0(VALU_DEP_1) | instskip(SKIP_1) | instid1(VALU_DEP_2)
	v_add_co_u32 v64, vcc_lo, s18, v64
	s_wait_alu 0xfffd
	v_add_co_ci_u32_e64 v65, null, s19, v65, vcc_lo
	s_wait_loadcnt 0x0
	global_store_b64 v[64:65], v[2:3], off
	s_wait_alu 0xfffe
	s_or_b32 exec_lo, exec_lo, s15
	s_and_saveexec_b32 s15, s0
	s_cbranch_execz .LBB53_113
.LBB53_129:                             ;   in Loop: Header=BB53_80 Depth=1
	v_lshlrev_b64_e32 v[34:35], 3, v[34:35]
	s_delay_alu instid0(VALU_DEP_1) | instskip(SKIP_1) | instid1(VALU_DEP_2)
	v_add_co_u32 v34, vcc_lo, s18, v34
	s_wait_alu 0xfffd
	v_add_co_ci_u32_e64 v35, null, s19, v35, vcc_lo
	s_wait_loadcnt 0x0
	global_store_b64 v[34:35], v[4:5], off
	s_wait_alu 0xfffe
	s_or_b32 exec_lo, exec_lo, s15
	s_and_saveexec_b32 s0, s1
	s_cbranch_execz .LBB53_114
.LBB53_130:                             ;   in Loop: Header=BB53_80 Depth=1
	v_lshlrev_b64_e32 v[34:35], 3, v[36:37]
	s_delay_alu instid0(VALU_DEP_1) | instskip(SKIP_1) | instid1(VALU_DEP_2)
	v_add_co_u32 v34, vcc_lo, s18, v34
	s_wait_alu 0xfffd
	v_add_co_ci_u32_e64 v35, null, s19, v35, vcc_lo
	s_wait_loadcnt 0x0
	global_store_b64 v[34:35], v[6:7], off
	s_wait_alu 0xfffe
	s_or_b32 exec_lo, exec_lo, s0
	s_and_saveexec_b32 s0, s2
	s_cbranch_execz .LBB53_115
.LBB53_131:                             ;   in Loop: Header=BB53_80 Depth=1
	v_lshlrev_b64_e32 v[34:35], 3, v[38:39]
	s_delay_alu instid0(VALU_DEP_1) | instskip(SKIP_1) | instid1(VALU_DEP_2)
	v_add_co_u32 v34, vcc_lo, s18, v34
	s_wait_alu 0xfffd
	v_add_co_ci_u32_e64 v35, null, s19, v35, vcc_lo
	s_wait_loadcnt 0x0
	global_store_b64 v[34:35], v[8:9], off
	s_wait_alu 0xfffe
	s_or_b32 exec_lo, exec_lo, s0
	s_and_saveexec_b32 s0, s3
	s_cbranch_execz .LBB53_116
.LBB53_132:                             ;   in Loop: Header=BB53_80 Depth=1
	v_lshlrev_b64_e32 v[34:35], 3, v[40:41]
	s_delay_alu instid0(VALU_DEP_1) | instskip(SKIP_1) | instid1(VALU_DEP_2)
	v_add_co_u32 v34, vcc_lo, s18, v34
	s_wait_alu 0xfffd
	v_add_co_ci_u32_e64 v35, null, s19, v35, vcc_lo
	s_wait_loadcnt 0x0
	global_store_b64 v[34:35], v[10:11], off
	s_wait_alu 0xfffe
	s_or_b32 exec_lo, exec_lo, s0
	s_and_saveexec_b32 s0, s4
	s_cbranch_execz .LBB53_117
.LBB53_133:                             ;   in Loop: Header=BB53_80 Depth=1
	v_lshlrev_b64_e32 v[34:35], 3, v[42:43]
	s_delay_alu instid0(VALU_DEP_1) | instskip(SKIP_1) | instid1(VALU_DEP_2)
	v_add_co_u32 v34, vcc_lo, s18, v34
	s_wait_alu 0xfffd
	v_add_co_ci_u32_e64 v35, null, s19, v35, vcc_lo
	s_wait_loadcnt 0x0
	global_store_b64 v[34:35], v[12:13], off
	s_wait_alu 0xfffe
	s_or_b32 exec_lo, exec_lo, s0
	s_and_saveexec_b32 s0, s5
	s_cbranch_execz .LBB53_118
.LBB53_134:                             ;   in Loop: Header=BB53_80 Depth=1
	v_lshlrev_b64_e32 v[34:35], 3, v[44:45]
	s_delay_alu instid0(VALU_DEP_1) | instskip(SKIP_1) | instid1(VALU_DEP_2)
	v_add_co_u32 v34, vcc_lo, s18, v34
	s_wait_alu 0xfffd
	v_add_co_ci_u32_e64 v35, null, s19, v35, vcc_lo
	s_wait_loadcnt 0x0
	global_store_b64 v[34:35], v[14:15], off
	s_wait_alu 0xfffe
	s_or_b32 exec_lo, exec_lo, s0
	s_and_saveexec_b32 s0, s6
	s_cbranch_execz .LBB53_119
.LBB53_135:                             ;   in Loop: Header=BB53_80 Depth=1
	v_lshlrev_b64_e32 v[34:35], 3, v[46:47]
	s_delay_alu instid0(VALU_DEP_1) | instskip(SKIP_1) | instid1(VALU_DEP_2)
	v_add_co_u32 v34, vcc_lo, s18, v34
	s_wait_alu 0xfffd
	v_add_co_ci_u32_e64 v35, null, s19, v35, vcc_lo
	s_wait_loadcnt 0x0
	global_store_b64 v[34:35], v[16:17], off
	s_wait_alu 0xfffe
	s_or_b32 exec_lo, exec_lo, s0
	s_and_saveexec_b32 s0, s7
	s_cbranch_execz .LBB53_120
.LBB53_136:                             ;   in Loop: Header=BB53_80 Depth=1
	v_lshlrev_b64_e32 v[34:35], 3, v[48:49]
	s_delay_alu instid0(VALU_DEP_1) | instskip(SKIP_1) | instid1(VALU_DEP_2)
	v_add_co_u32 v34, vcc_lo, s18, v34
	s_wait_alu 0xfffd
	v_add_co_ci_u32_e64 v35, null, s19, v35, vcc_lo
	s_wait_loadcnt 0x0
	global_store_b64 v[34:35], v[18:19], off
	s_wait_alu 0xfffe
	s_or_b32 exec_lo, exec_lo, s0
	s_and_saveexec_b32 s0, s8
	s_cbranch_execz .LBB53_121
.LBB53_137:                             ;   in Loop: Header=BB53_80 Depth=1
	v_lshlrev_b64_e32 v[34:35], 3, v[50:51]
	s_delay_alu instid0(VALU_DEP_1) | instskip(SKIP_1) | instid1(VALU_DEP_2)
	v_add_co_u32 v34, vcc_lo, s18, v34
	s_wait_alu 0xfffd
	v_add_co_ci_u32_e64 v35, null, s19, v35, vcc_lo
	s_wait_loadcnt 0x0
	global_store_b64 v[34:35], v[20:21], off
	s_wait_alu 0xfffe
	s_or_b32 exec_lo, exec_lo, s0
	s_and_saveexec_b32 s0, s9
	s_cbranch_execz .LBB53_122
.LBB53_138:                             ;   in Loop: Header=BB53_80 Depth=1
	v_lshlrev_b64_e32 v[34:35], 3, v[52:53]
	s_delay_alu instid0(VALU_DEP_1) | instskip(SKIP_1) | instid1(VALU_DEP_2)
	v_add_co_u32 v34, vcc_lo, s18, v34
	s_wait_alu 0xfffd
	v_add_co_ci_u32_e64 v35, null, s19, v35, vcc_lo
	s_wait_loadcnt 0x0
	global_store_b64 v[34:35], v[22:23], off
	s_wait_alu 0xfffe
	s_or_b32 exec_lo, exec_lo, s0
	s_and_saveexec_b32 s0, s10
	s_cbranch_execz .LBB53_123
.LBB53_139:                             ;   in Loop: Header=BB53_80 Depth=1
	v_lshlrev_b64_e32 v[34:35], 3, v[54:55]
	s_delay_alu instid0(VALU_DEP_1) | instskip(SKIP_1) | instid1(VALU_DEP_2)
	v_add_co_u32 v34, vcc_lo, s18, v34
	s_wait_alu 0xfffd
	v_add_co_ci_u32_e64 v35, null, s19, v35, vcc_lo
	s_wait_loadcnt 0x0
	global_store_b64 v[34:35], v[24:25], off
	s_wait_alu 0xfffe
	s_or_b32 exec_lo, exec_lo, s0
	s_and_saveexec_b32 s0, s11
	s_cbranch_execz .LBB53_124
.LBB53_140:                             ;   in Loop: Header=BB53_80 Depth=1
	v_lshlrev_b64_e32 v[34:35], 3, v[56:57]
	s_delay_alu instid0(VALU_DEP_1) | instskip(SKIP_1) | instid1(VALU_DEP_2)
	v_add_co_u32 v34, vcc_lo, s18, v34
	s_wait_alu 0xfffd
	v_add_co_ci_u32_e64 v35, null, s19, v35, vcc_lo
	s_wait_loadcnt 0x0
	global_store_b64 v[34:35], v[26:27], off
	s_wait_alu 0xfffe
	s_or_b32 exec_lo, exec_lo, s0
	s_and_saveexec_b32 s0, s12
	s_cbranch_execz .LBB53_125
.LBB53_141:                             ;   in Loop: Header=BB53_80 Depth=1
	v_lshlrev_b64_e32 v[34:35], 3, v[58:59]
	s_delay_alu instid0(VALU_DEP_1) | instskip(SKIP_1) | instid1(VALU_DEP_2)
	v_add_co_u32 v34, vcc_lo, s18, v34
	s_wait_alu 0xfffd
	v_add_co_ci_u32_e64 v35, null, s19, v35, vcc_lo
	s_wait_loadcnt 0x0
	global_store_b64 v[34:35], v[28:29], off
	s_wait_alu 0xfffe
	s_or_b32 exec_lo, exec_lo, s0
	s_and_saveexec_b32 s0, s13
	s_cbranch_execz .LBB53_126
.LBB53_142:                             ;   in Loop: Header=BB53_80 Depth=1
	v_lshlrev_b64_e32 v[34:35], 3, v[60:61]
	s_delay_alu instid0(VALU_DEP_1) | instskip(SKIP_1) | instid1(VALU_DEP_2)
	v_add_co_u32 v34, vcc_lo, s18, v34
	s_wait_alu 0xfffd
	v_add_co_ci_u32_e64 v35, null, s19, v35, vcc_lo
	s_wait_loadcnt 0x0
	global_store_b64 v[34:35], v[30:31], off
	s_wait_alu 0xfffe
	s_or_b32 exec_lo, exec_lo, s0
	s_and_saveexec_b32 s0, s14
	s_cbranch_execz .LBB53_79
.LBB53_143:                             ;   in Loop: Header=BB53_80 Depth=1
	v_lshlrev_b64_e32 v[34:35], 3, v[62:63]
	s_delay_alu instid0(VALU_DEP_1) | instskip(SKIP_1) | instid1(VALU_DEP_2)
	v_add_co_u32 v34, vcc_lo, s18, v34
	s_wait_alu 0xfffd
	v_add_co_ci_u32_e64 v35, null, s19, v35, vcc_lo
	s_wait_loadcnt 0x0
	global_store_b64 v[34:35], v[32:33], off
	s_branch .LBB53_79
.LBB53_144:
	s_endpgm
	.section	.rodata,"a",@progbits
	.p2align	6, 0x0
	.amdhsa_kernel _ZN9rocsolver6v33100L10stedc_sortIddPdS2_EEviPT0_lS4_lT1_iilT2_iil
		.amdhsa_group_segment_fixed_size 2048
		.amdhsa_private_segment_fixed_size 0
		.amdhsa_kernarg_size 344
		.amdhsa_user_sgpr_count 2
		.amdhsa_user_sgpr_dispatch_ptr 0
		.amdhsa_user_sgpr_queue_ptr 0
		.amdhsa_user_sgpr_kernarg_segment_ptr 1
		.amdhsa_user_sgpr_dispatch_id 0
		.amdhsa_user_sgpr_private_segment_size 0
		.amdhsa_wavefront_size32 1
		.amdhsa_uses_dynamic_stack 0
		.amdhsa_enable_private_segment 0
		.amdhsa_system_sgpr_workgroup_id_x 1
		.amdhsa_system_sgpr_workgroup_id_y 1
		.amdhsa_system_sgpr_workgroup_id_z 0
		.amdhsa_system_sgpr_workgroup_info 0
		.amdhsa_system_vgpr_workitem_id 0
		.amdhsa_next_free_vgpr 67
		.amdhsa_next_free_sgpr 56
		.amdhsa_reserve_vcc 1
		.amdhsa_float_round_mode_32 0
		.amdhsa_float_round_mode_16_64 0
		.amdhsa_float_denorm_mode_32 3
		.amdhsa_float_denorm_mode_16_64 3
		.amdhsa_fp16_overflow 0
		.amdhsa_workgroup_processor_mode 1
		.amdhsa_memory_ordered 1
		.amdhsa_forward_progress 1
		.amdhsa_inst_pref_size 56
		.amdhsa_round_robin_scheduling 0
		.amdhsa_exception_fp_ieee_invalid_op 0
		.amdhsa_exception_fp_denorm_src 0
		.amdhsa_exception_fp_ieee_div_zero 0
		.amdhsa_exception_fp_ieee_overflow 0
		.amdhsa_exception_fp_ieee_underflow 0
		.amdhsa_exception_fp_ieee_inexact 0
		.amdhsa_exception_int_div_zero 0
	.end_amdhsa_kernel
	.section	.text._ZN9rocsolver6v33100L10stedc_sortIddPdS2_EEviPT0_lS4_lT1_iilT2_iil,"axG",@progbits,_ZN9rocsolver6v33100L10stedc_sortIddPdS2_EEviPT0_lS4_lT1_iilT2_iil,comdat
.Lfunc_end53:
	.size	_ZN9rocsolver6v33100L10stedc_sortIddPdS2_EEviPT0_lS4_lT1_iilT2_iil, .Lfunc_end53-_ZN9rocsolver6v33100L10stedc_sortIddPdS2_EEviPT0_lS4_lT1_iilT2_iil
                                        ; -- End function
	.set _ZN9rocsolver6v33100L10stedc_sortIddPdS2_EEviPT0_lS4_lT1_iilT2_iil.num_vgpr, 67
	.set _ZN9rocsolver6v33100L10stedc_sortIddPdS2_EEviPT0_lS4_lT1_iilT2_iil.num_agpr, 0
	.set _ZN9rocsolver6v33100L10stedc_sortIddPdS2_EEviPT0_lS4_lT1_iilT2_iil.numbered_sgpr, 56
	.set _ZN9rocsolver6v33100L10stedc_sortIddPdS2_EEviPT0_lS4_lT1_iilT2_iil.num_named_barrier, 0
	.set _ZN9rocsolver6v33100L10stedc_sortIddPdS2_EEviPT0_lS4_lT1_iilT2_iil.private_seg_size, 0
	.set _ZN9rocsolver6v33100L10stedc_sortIddPdS2_EEviPT0_lS4_lT1_iilT2_iil.uses_vcc, 1
	.set _ZN9rocsolver6v33100L10stedc_sortIddPdS2_EEviPT0_lS4_lT1_iilT2_iil.uses_flat_scratch, 0
	.set _ZN9rocsolver6v33100L10stedc_sortIddPdS2_EEviPT0_lS4_lT1_iilT2_iil.has_dyn_sized_stack, 0
	.set _ZN9rocsolver6v33100L10stedc_sortIddPdS2_EEviPT0_lS4_lT1_iilT2_iil.has_recursion, 0
	.set _ZN9rocsolver6v33100L10stedc_sortIddPdS2_EEviPT0_lS4_lT1_iilT2_iil.has_indirect_call, 0
	.section	.AMDGPU.csdata,"",@progbits
; Kernel info:
; codeLenInByte = 7136
; TotalNumSgprs: 58
; NumVgprs: 67
; ScratchSize: 0
; MemoryBound: 0
; FloatMode: 240
; IeeeMode: 1
; LDSByteSize: 2048 bytes/workgroup (compile time only)
; SGPRBlocks: 0
; VGPRBlocks: 8
; NumSGPRsForWavesPerEU: 58
; NumVGPRsForWavesPerEU: 67
; Occupancy: 16
; WaveLimiterHint : 0
; COMPUTE_PGM_RSRC2:SCRATCH_EN: 0
; COMPUTE_PGM_RSRC2:USER_SGPR: 2
; COMPUTE_PGM_RSRC2:TRAP_HANDLER: 0
; COMPUTE_PGM_RSRC2:TGID_X_EN: 1
; COMPUTE_PGM_RSRC2:TGID_Y_EN: 1
; COMPUTE_PGM_RSRC2:TGID_Z_EN: 0
; COMPUTE_PGM_RSRC2:TIDIG_COMP_CNT: 0
	.section	.text._ZN9rocsolver6v33100L16reset_batch_infoI19rocblas_complex_numIfEiiPS3_EEvT2_lT0_T1_,"axG",@progbits,_ZN9rocsolver6v33100L16reset_batch_infoI19rocblas_complex_numIfEiiPS3_EEvT2_lT0_T1_,comdat
	.globl	_ZN9rocsolver6v33100L16reset_batch_infoI19rocblas_complex_numIfEiiPS3_EEvT2_lT0_T1_ ; -- Begin function _ZN9rocsolver6v33100L16reset_batch_infoI19rocblas_complex_numIfEiiPS3_EEvT2_lT0_T1_
	.p2align	8
	.type	_ZN9rocsolver6v33100L16reset_batch_infoI19rocblas_complex_numIfEiiPS3_EEvT2_lT0_T1_,@function
_ZN9rocsolver6v33100L16reset_batch_infoI19rocblas_complex_numIfEiiPS3_EEvT2_lT0_T1_: ; @_ZN9rocsolver6v33100L16reset_batch_infoI19rocblas_complex_numIfEiiPS3_EEvT2_lT0_T1_
; %bb.0:
	s_clause 0x1
	s_load_b32 s4, s[0:1], 0x24
	s_load_b64 s[2:3], s[0:1], 0x10
	s_wait_kmcnt 0x0
	s_and_b32 s4, s4, 0xffff
	s_delay_alu instid0(SALU_CYCLE_1) | instskip(NEXT) | instid1(VALU_DEP_1)
	v_mad_co_u64_u32 v[0:1], null, ttmp9, s4, v[0:1]
	v_cmp_gt_i32_e32 vcc_lo, s2, v0
	s_and_saveexec_b32 s2, vcc_lo
	s_cbranch_execz .LBB54_2
; %bb.1:
	s_load_b128 s[4:7], s[0:1], 0x0
	v_ashrrev_i32_e32 v1, 31, v0
	s_mov_b32 s8, ttmp7
	s_ashr_i32 s9, ttmp7, 31
	s_cvt_f32_i32 s2, s3
	v_mov_b32_e32 v3, 0
	v_lshlrev_b64_e32 v[0:1], 3, v[0:1]
	s_wait_alu 0xfffe
	v_mov_b32_e32 v2, s2
	s_wait_kmcnt 0x0
	s_mul_u64 s[0:1], s[6:7], s[8:9]
	s_wait_alu 0xfffe
	s_lshl_b64 s[0:1], s[0:1], 3
	s_wait_alu 0xfffe
	s_add_nc_u64 s[0:1], s[4:5], s[0:1]
	s_wait_alu 0xfffe
	v_add_co_u32 v0, vcc_lo, s0, v0
	s_delay_alu instid0(VALU_DEP_1)
	v_add_co_ci_u32_e64 v1, null, s1, v1, vcc_lo
	global_store_b64 v[0:1], v[2:3], off
.LBB54_2:
	s_endpgm
	.section	.rodata,"a",@progbits
	.p2align	6, 0x0
	.amdhsa_kernel _ZN9rocsolver6v33100L16reset_batch_infoI19rocblas_complex_numIfEiiPS3_EEvT2_lT0_T1_
		.amdhsa_group_segment_fixed_size 0
		.amdhsa_private_segment_fixed_size 0
		.amdhsa_kernarg_size 280
		.amdhsa_user_sgpr_count 2
		.amdhsa_user_sgpr_dispatch_ptr 0
		.amdhsa_user_sgpr_queue_ptr 0
		.amdhsa_user_sgpr_kernarg_segment_ptr 1
		.amdhsa_user_sgpr_dispatch_id 0
		.amdhsa_user_sgpr_private_segment_size 0
		.amdhsa_wavefront_size32 1
		.amdhsa_uses_dynamic_stack 0
		.amdhsa_enable_private_segment 0
		.amdhsa_system_sgpr_workgroup_id_x 1
		.amdhsa_system_sgpr_workgroup_id_y 1
		.amdhsa_system_sgpr_workgroup_id_z 0
		.amdhsa_system_sgpr_workgroup_info 0
		.amdhsa_system_vgpr_workitem_id 0
		.amdhsa_next_free_vgpr 4
		.amdhsa_next_free_sgpr 10
		.amdhsa_reserve_vcc 1
		.amdhsa_float_round_mode_32 0
		.amdhsa_float_round_mode_16_64 0
		.amdhsa_float_denorm_mode_32 3
		.amdhsa_float_denorm_mode_16_64 3
		.amdhsa_fp16_overflow 0
		.amdhsa_workgroup_processor_mode 1
		.amdhsa_memory_ordered 1
		.amdhsa_forward_progress 1
		.amdhsa_inst_pref_size 2
		.amdhsa_round_robin_scheduling 0
		.amdhsa_exception_fp_ieee_invalid_op 0
		.amdhsa_exception_fp_denorm_src 0
		.amdhsa_exception_fp_ieee_div_zero 0
		.amdhsa_exception_fp_ieee_overflow 0
		.amdhsa_exception_fp_ieee_underflow 0
		.amdhsa_exception_fp_ieee_inexact 0
		.amdhsa_exception_int_div_zero 0
	.end_amdhsa_kernel
	.section	.text._ZN9rocsolver6v33100L16reset_batch_infoI19rocblas_complex_numIfEiiPS3_EEvT2_lT0_T1_,"axG",@progbits,_ZN9rocsolver6v33100L16reset_batch_infoI19rocblas_complex_numIfEiiPS3_EEvT2_lT0_T1_,comdat
.Lfunc_end54:
	.size	_ZN9rocsolver6v33100L16reset_batch_infoI19rocblas_complex_numIfEiiPS3_EEvT2_lT0_T1_, .Lfunc_end54-_ZN9rocsolver6v33100L16reset_batch_infoI19rocblas_complex_numIfEiiPS3_EEvT2_lT0_T1_
                                        ; -- End function
	.set _ZN9rocsolver6v33100L16reset_batch_infoI19rocblas_complex_numIfEiiPS3_EEvT2_lT0_T1_.num_vgpr, 4
	.set _ZN9rocsolver6v33100L16reset_batch_infoI19rocblas_complex_numIfEiiPS3_EEvT2_lT0_T1_.num_agpr, 0
	.set _ZN9rocsolver6v33100L16reset_batch_infoI19rocblas_complex_numIfEiiPS3_EEvT2_lT0_T1_.numbered_sgpr, 10
	.set _ZN9rocsolver6v33100L16reset_batch_infoI19rocblas_complex_numIfEiiPS3_EEvT2_lT0_T1_.num_named_barrier, 0
	.set _ZN9rocsolver6v33100L16reset_batch_infoI19rocblas_complex_numIfEiiPS3_EEvT2_lT0_T1_.private_seg_size, 0
	.set _ZN9rocsolver6v33100L16reset_batch_infoI19rocblas_complex_numIfEiiPS3_EEvT2_lT0_T1_.uses_vcc, 1
	.set _ZN9rocsolver6v33100L16reset_batch_infoI19rocblas_complex_numIfEiiPS3_EEvT2_lT0_T1_.uses_flat_scratch, 0
	.set _ZN9rocsolver6v33100L16reset_batch_infoI19rocblas_complex_numIfEiiPS3_EEvT2_lT0_T1_.has_dyn_sized_stack, 0
	.set _ZN9rocsolver6v33100L16reset_batch_infoI19rocblas_complex_numIfEiiPS3_EEvT2_lT0_T1_.has_recursion, 0
	.set _ZN9rocsolver6v33100L16reset_batch_infoI19rocblas_complex_numIfEiiPS3_EEvT2_lT0_T1_.has_indirect_call, 0
	.section	.AMDGPU.csdata,"",@progbits
; Kernel info:
; codeLenInByte = 160
; TotalNumSgprs: 12
; NumVgprs: 4
; ScratchSize: 0
; MemoryBound: 0
; FloatMode: 240
; IeeeMode: 1
; LDSByteSize: 0 bytes/workgroup (compile time only)
; SGPRBlocks: 0
; VGPRBlocks: 0
; NumSGPRsForWavesPerEU: 12
; NumVGPRsForWavesPerEU: 4
; Occupancy: 16
; WaveLimiterHint : 0
; COMPUTE_PGM_RSRC2:SCRATCH_EN: 0
; COMPUTE_PGM_RSRC2:USER_SGPR: 2
; COMPUTE_PGM_RSRC2:TRAP_HANDLER: 0
; COMPUTE_PGM_RSRC2:TGID_X_EN: 1
; COMPUTE_PGM_RSRC2:TGID_Y_EN: 1
; COMPUTE_PGM_RSRC2:TGID_Z_EN: 0
; COMPUTE_PGM_RSRC2:TIDIG_COMP_CNT: 0
	.section	.text._ZN9rocsolver6v33100L10init_identI19rocblas_complex_numIfEPS3_EEviiT0_iil,"axG",@progbits,_ZN9rocsolver6v33100L10init_identI19rocblas_complex_numIfEPS3_EEviiT0_iil,comdat
	.globl	_ZN9rocsolver6v33100L10init_identI19rocblas_complex_numIfEPS3_EEviiT0_iil ; -- Begin function _ZN9rocsolver6v33100L10init_identI19rocblas_complex_numIfEPS3_EEviiT0_iil
	.p2align	8
	.type	_ZN9rocsolver6v33100L10init_identI19rocblas_complex_numIfEPS3_EEviiT0_iil,@function
_ZN9rocsolver6v33100L10init_identI19rocblas_complex_numIfEPS3_EEviiT0_iil: ; @_ZN9rocsolver6v33100L10init_identI19rocblas_complex_numIfEPS3_EEviiT0_iil
; %bb.0:
	s_clause 0x1
	s_load_b32 s4, s[0:1], 0x2c
	s_load_b64 s[2:3], s[0:1], 0x0
	v_and_b32_e32 v1, 0x3ff, v0
	v_bfe_u32 v0, v0, 10, 10
	s_and_b32 s5, ttmp7, 0xffff
	s_wait_kmcnt 0x0
	s_lshr_b32 s6, s4, 16
	s_and_b32 s4, s4, 0xffff
	s_delay_alu instid0(SALU_CYCLE_1) | instskip(SKIP_1) | instid1(VALU_DEP_2)
	v_mad_co_u64_u32 v[3:4], null, ttmp9, s4, v[1:2]
	v_mad_co_u64_u32 v[1:2], null, s5, s6, v[0:1]
	v_cmp_gt_u32_e32 vcc_lo, s2, v3
	s_delay_alu instid0(VALU_DEP_2)
	v_cmp_gt_u32_e64 s2, s3, v1
	s_and_b32 s2, vcc_lo, s2
	s_wait_alu 0xfffe
	s_and_saveexec_b32 s3, s2
	s_cbranch_execz .LBB55_6
; %bb.1:
	s_load_b64 s[2:3], s[0:1], 0x10
	s_mov_b32 s4, exec_lo
                                        ; implicit-def: $vgpr0
	v_cmpx_ne_u32_e64 v3, v1
	s_wait_alu 0xfffe
	s_xor_b32 s4, exec_lo, s4
	s_cbranch_execz .LBB55_3
; %bb.2:
	s_wait_kmcnt 0x0
	v_mad_co_u64_u32 v[0:1], null, v1, s3, v[3:4]
                                        ; implicit-def: $vgpr3_vgpr4
.LBB55_3:
	s_wait_alu 0xfffe
	s_or_saveexec_b32 s4, s4
	v_dual_mov_b32 v1, 0 :: v_dual_mov_b32 v2, 0
	s_wait_alu 0xfffe
	s_xor_b32 exec_lo, exec_lo, s4
	s_cbranch_execz .LBB55_5
; %bb.4:
	s_wait_kmcnt 0x0
	v_mad_co_u64_u32 v[3:4], null, v3, s3, v[3:4]
	v_mov_b32_e32 v2, 1.0
	s_delay_alu instid0(VALU_DEP_2)
	v_mov_b32_e32 v0, v3
.LBB55_5:
	s_or_b32 exec_lo, exec_lo, s4
	s_clause 0x1
	s_load_b64 s[4:5], s[0:1], 0x18
	s_load_b64 s[0:1], s[0:1], 0x8
	s_mov_b32 s7, 0
	s_lshr_b32 s6, ttmp7, 16
	s_wait_kmcnt 0x0
	s_ashr_i32 s3, s2, 31
	v_lshlrev_b64_e32 v[3:4], 3, v[0:1]
	s_wait_alu 0xfffe
	s_lshl_b64 s[2:3], s[2:3], 3
	s_mul_u64 s[4:5], s[4:5], s[6:7]
	s_wait_alu 0xfffe
	s_lshl_b64 s[4:5], s[4:5], 3
	s_wait_alu 0xfffe
	s_add_nc_u64 s[0:1], s[0:1], s[4:5]
	s_wait_alu 0xfffe
	s_add_nc_u64 s[0:1], s[0:1], s[2:3]
	s_wait_alu 0xfffe
	v_add_co_u32 v5, vcc_lo, s0, v3
	s_delay_alu instid0(VALU_DEP_1)
	v_add_co_ci_u32_e64 v6, null, s1, v4, vcc_lo
	v_mov_b32_e32 v3, v1
	global_store_b64 v[5:6], v[2:3], off
.LBB55_6:
	s_endpgm
	.section	.rodata,"a",@progbits
	.p2align	6, 0x0
	.amdhsa_kernel _ZN9rocsolver6v33100L10init_identI19rocblas_complex_numIfEPS3_EEviiT0_iil
		.amdhsa_group_segment_fixed_size 0
		.amdhsa_private_segment_fixed_size 0
		.amdhsa_kernarg_size 288
		.amdhsa_user_sgpr_count 2
		.amdhsa_user_sgpr_dispatch_ptr 0
		.amdhsa_user_sgpr_queue_ptr 0
		.amdhsa_user_sgpr_kernarg_segment_ptr 1
		.amdhsa_user_sgpr_dispatch_id 0
		.amdhsa_user_sgpr_private_segment_size 0
		.amdhsa_wavefront_size32 1
		.amdhsa_uses_dynamic_stack 0
		.amdhsa_enable_private_segment 0
		.amdhsa_system_sgpr_workgroup_id_x 1
		.amdhsa_system_sgpr_workgroup_id_y 1
		.amdhsa_system_sgpr_workgroup_id_z 1
		.amdhsa_system_sgpr_workgroup_info 0
		.amdhsa_system_vgpr_workitem_id 1
		.amdhsa_next_free_vgpr 7
		.amdhsa_next_free_sgpr 8
		.amdhsa_reserve_vcc 1
		.amdhsa_float_round_mode_32 0
		.amdhsa_float_round_mode_16_64 0
		.amdhsa_float_denorm_mode_32 3
		.amdhsa_float_denorm_mode_16_64 3
		.amdhsa_fp16_overflow 0
		.amdhsa_workgroup_processor_mode 1
		.amdhsa_memory_ordered 1
		.amdhsa_forward_progress 1
		.amdhsa_inst_pref_size 3
		.amdhsa_round_robin_scheduling 0
		.amdhsa_exception_fp_ieee_invalid_op 0
		.amdhsa_exception_fp_denorm_src 0
		.amdhsa_exception_fp_ieee_div_zero 0
		.amdhsa_exception_fp_ieee_overflow 0
		.amdhsa_exception_fp_ieee_underflow 0
		.amdhsa_exception_fp_ieee_inexact 0
		.amdhsa_exception_int_div_zero 0
	.end_amdhsa_kernel
	.section	.text._ZN9rocsolver6v33100L10init_identI19rocblas_complex_numIfEPS3_EEviiT0_iil,"axG",@progbits,_ZN9rocsolver6v33100L10init_identI19rocblas_complex_numIfEPS3_EEviiT0_iil,comdat
.Lfunc_end55:
	.size	_ZN9rocsolver6v33100L10init_identI19rocblas_complex_numIfEPS3_EEviiT0_iil, .Lfunc_end55-_ZN9rocsolver6v33100L10init_identI19rocblas_complex_numIfEPS3_EEviiT0_iil
                                        ; -- End function
	.set _ZN9rocsolver6v33100L10init_identI19rocblas_complex_numIfEPS3_EEviiT0_iil.num_vgpr, 7
	.set _ZN9rocsolver6v33100L10init_identI19rocblas_complex_numIfEPS3_EEviiT0_iil.num_agpr, 0
	.set _ZN9rocsolver6v33100L10init_identI19rocblas_complex_numIfEPS3_EEviiT0_iil.numbered_sgpr, 8
	.set _ZN9rocsolver6v33100L10init_identI19rocblas_complex_numIfEPS3_EEviiT0_iil.num_named_barrier, 0
	.set _ZN9rocsolver6v33100L10init_identI19rocblas_complex_numIfEPS3_EEviiT0_iil.private_seg_size, 0
	.set _ZN9rocsolver6v33100L10init_identI19rocblas_complex_numIfEPS3_EEviiT0_iil.uses_vcc, 1
	.set _ZN9rocsolver6v33100L10init_identI19rocblas_complex_numIfEPS3_EEviiT0_iil.uses_flat_scratch, 0
	.set _ZN9rocsolver6v33100L10init_identI19rocblas_complex_numIfEPS3_EEviiT0_iil.has_dyn_sized_stack, 0
	.set _ZN9rocsolver6v33100L10init_identI19rocblas_complex_numIfEPS3_EEviiT0_iil.has_recursion, 0
	.set _ZN9rocsolver6v33100L10init_identI19rocblas_complex_numIfEPS3_EEviiT0_iil.has_indirect_call, 0
	.section	.AMDGPU.csdata,"",@progbits
; Kernel info:
; codeLenInByte = 332
; TotalNumSgprs: 10
; NumVgprs: 7
; ScratchSize: 0
; MemoryBound: 0
; FloatMode: 240
; IeeeMode: 1
; LDSByteSize: 0 bytes/workgroup (compile time only)
; SGPRBlocks: 0
; VGPRBlocks: 0
; NumSGPRsForWavesPerEU: 10
; NumVGPRsForWavesPerEU: 7
; Occupancy: 16
; WaveLimiterHint : 0
; COMPUTE_PGM_RSRC2:SCRATCH_EN: 0
; COMPUTE_PGM_RSRC2:USER_SGPR: 2
; COMPUTE_PGM_RSRC2:TRAP_HANDLER: 0
; COMPUTE_PGM_RSRC2:TGID_X_EN: 1
; COMPUTE_PGM_RSRC2:TGID_Y_EN: 1
; COMPUTE_PGM_RSRC2:TGID_Z_EN: 1
; COMPUTE_PGM_RSRC2:TIDIG_COMP_CNT: 1
	.section	.text._ZN9rocsolver6v33100L11lasr_kernelI19rocblas_complex_numIfEfPS3_iEEv13rocblas_side_14rocblas_pivot_15rocblas_direct_T2_S8_PT0_lSA_lT1_lS8_lS8_,"axG",@progbits,_ZN9rocsolver6v33100L11lasr_kernelI19rocblas_complex_numIfEfPS3_iEEv13rocblas_side_14rocblas_pivot_15rocblas_direct_T2_S8_PT0_lSA_lT1_lS8_lS8_,comdat
	.globl	_ZN9rocsolver6v33100L11lasr_kernelI19rocblas_complex_numIfEfPS3_iEEv13rocblas_side_14rocblas_pivot_15rocblas_direct_T2_S8_PT0_lSA_lT1_lS8_lS8_ ; -- Begin function _ZN9rocsolver6v33100L11lasr_kernelI19rocblas_complex_numIfEfPS3_iEEv13rocblas_side_14rocblas_pivot_15rocblas_direct_T2_S8_PT0_lSA_lT1_lS8_lS8_
	.p2align	8
	.type	_ZN9rocsolver6v33100L11lasr_kernelI19rocblas_complex_numIfEfPS3_iEEv13rocblas_side_14rocblas_pivot_15rocblas_direct_T2_S8_PT0_lSA_lT1_lS8_lS8_,@function
_ZN9rocsolver6v33100L11lasr_kernelI19rocblas_complex_numIfEfPS3_iEEv13rocblas_side_14rocblas_pivot_15rocblas_direct_T2_S8_PT0_lSA_lT1_lS8_lS8_: ; @_ZN9rocsolver6v33100L11lasr_kernelI19rocblas_complex_numIfEfPS3_iEEv13rocblas_side_14rocblas_pivot_15rocblas_direct_T2_S8_PT0_lSA_lT1_lS8_lS8_
; %bb.0:
	s_load_b32 s33, s[0:1], 0x58
	s_lshr_b32 s20, ttmp7, 16
	s_wait_kmcnt 0x0
	s_cmp_ge_u32 s20, s33
	s_cbranch_scc1 .LBB56_108
; %bb.1:
	s_clause 0x6
	s_load_b32 s22, s[0:1], 0x48
	s_load_b64 s[24:25], s[0:1], 0x68
	s_load_b128 s[16:19], s[0:1], 0x38
	s_load_b128 s[12:15], s[0:1], 0x0
	s_load_b32 s21, s[0:1], 0x60
	s_load_b32 s76, s[0:1], 0x10
	s_load_b256 s[4:11], s[0:1], 0x18
	v_mov_b32_e32 v36, 0
	s_wait_kmcnt 0x0
	s_ashr_i32 s23, s22, 31
	s_and_b32 s25, s25, 0xffff
	s_lshl_b64 s[2:3], s[18:19], 3
	s_cmp_eq_u32 s12, 0x8d
	v_mad_co_u64_u32 v[0:1], null, ttmp9, s25, v[0:1]
	s_cselect_b32 s28, -1, 0
	s_cmp_eq_u32 s12, 0x8e
	s_load_b64 s[18:19], s[0:1], 0x50
	s_cselect_b32 s29, -1, 0
	s_cmp_eq_u32 s13, 0x119
	s_mul_i32 s12, s21, s25
	s_cselect_b32 s30, -1, 0
	s_cmp_eq_u32 s13, 0x11b
	v_ashrrev_i32_e32 v1, 31, v0
	s_cselect_b32 s0, -1, 0
	s_cmp_eq_u32 s13, 0x11a
	s_add_nc_u64 s[26:27], s[16:17], s[2:3]
	s_cselect_b32 s1, -1, 0
	s_cmp_eq_u32 s14, 0xab
	v_lshlrev_b64_e32 v[1:2], 3, v[0:1]
	s_cselect_b32 s13, -1, 0
	s_cmp_eq_u32 s14, 0xac
	s_cselect_b32 s21, -1, 0
	s_and_b32 s14, s28, s30
	s_wait_alu 0xfffe
	s_and_b32 s25, s28, s1
	s_and_b32 s28, s28, s0
	;; [unrolled: 1-line block ×5, first 2 shown]
	v_cmp_gt_i32_e64 s0, s15, v0
	s_and_b32 s31, s14, s13
	s_and_b32 s37, s28, s13
	;; [unrolled: 1-line block ×4, first 2 shown]
	s_xor_b32 s14, s31, -1
	s_and_b32 s31, s30, s13
	s_xor_b32 s80, s28, -1
	s_and_b32 s28, s30, s21
	s_wait_alu 0xfffe
	s_and_b32 s30, s1, s13
	s_and_b32 s1, s1, s21
	;; [unrolled: 1-line block ×4, first 2 shown]
	s_xor_b32 s82, s28, -1
	s_and_b32 s13, s29, s13
	s_wait_alu 0xfffe
	s_xor_b32 s84, s1, -1
	s_and_b32 s1, s21, s0
	s_add_co_i32 s28, s76, -1
	s_xor_b32 s25, s34, -1
	s_xor_b32 s77, s35, -1
	;; [unrolled: 1-line block ×7, first 2 shown]
	s_wait_alu 0xfffe
	s_and_b32 s86, s29, s1
	s_ashr_i32 s29, s28, 31
	s_add_co_i32 s36, s76, -2
	s_mov_b32 s21, 0
	s_cmp_gt_i32 s76, 1
	s_mov_b32 s37, s21
	s_cselect_b32 s87, -1, 0
	s_ashr_i32 s35, s15, 31
	s_add_co_i32 s50, s15, -2
	s_cmp_gt_i32 s15, 1
	s_mul_u64 s[40:41], s[22:23], s[36:37]
	s_cselect_b32 s88, -1, 0
	s_lshl_b64 s[40:41], s[40:41], 3
	s_mul_u64 s[30:31], s[22:23], s[28:29]
	s_add_nc_u64 s[40:41], s[40:41], s[2:3]
	s_mov_b32 s29, s21
	s_add_nc_u64 s[40:41], s[16:17], s[40:41]
	s_mul_u64 s[48:49], s[22:23], s[28:29]
	v_add_co_u32 v14, vcc_lo, s40, v1
	s_delay_alu instid0(VALU_DEP_1)
	v_add_co_ci_u32_e64 v15, null, s41, v2, vcc_lo
	s_lshl_b64 s[48:49], s[48:49], 3
	v_add_co_u32 v16, vcc_lo, v14, 4
	s_wait_alu 0xfffd
	v_add_co_ci_u32_e64 v17, null, 0, v15, vcc_lo
	v_add_co_u32 v3, vcc_lo, s26, v1
	s_wait_alu 0xfffd
	v_add_co_ci_u32_e64 v4, null, s27, v2, vcc_lo
	s_add_nc_u64 s[48:49], s[48:49], s[2:3]
	s_lshl_b64 s[44:45], s[22:23], 3
	v_add_co_u32 v18, vcc_lo, v3, 4
	s_add_nc_u64 s[48:49], s[16:17], s[48:49]
	s_wait_alu 0xfffd
	v_add_co_ci_u32_e64 v19, null, 0, v4, vcc_lo
	s_add_nc_u64 s[52:53], s[2:3], s[44:45]
	v_add_co_u32 v3, vcc_lo, s48, v1
	s_wait_alu 0xfffd
	v_add_co_ci_u32_e64 v4, null, s49, v2, vcc_lo
	s_add_nc_u64 s[48:49], s[16:17], s[52:53]
	s_mov_b32 s51, s21
	s_wait_alu 0xfffe
	v_add_co_u32 v5, vcc_lo, s48, v1
	s_wait_alu 0xfffd
	v_add_co_ci_u32_e64 v6, null, s49, v2, vcc_lo
	v_mad_co_i64_i32 v[1:2], null, s22, v0, 0
	v_add_co_u32 v20, vcc_lo, v3, 4
	s_wait_alu 0xfffd
	v_add_co_ci_u32_e64 v21, null, 0, v4, vcc_lo
	v_add_co_u32 v22, vcc_lo, v5, 4
	s_delay_alu instid0(VALU_DEP_4)
	v_lshlrev_b64_e32 v[1:2], 3, v[1:2]
	s_wait_alu 0xfffd
	v_add_co_ci_u32_e64 v23, null, 0, v6, vcc_lo
	s_lshl_b64 s[52:53], s[50:51], 2
	s_lshl_b64 s[50:51], s[50:51], 3
	s_add_co_i32 s48, s15, -1
	v_add_co_u32 v1, vcc_lo, v1, s2
	s_wait_alu 0xfffd
	v_add_co_ci_u32_e64 v2, null, s3, v2, vcc_lo
	s_add_nc_u64 s[2:3], s[16:17], s[50:51]
	s_mov_b32 s49, s21
	s_wait_alu 0xfffe
	v_add_co_u32 v24, vcc_lo, s2, v1
	s_wait_alu 0xfffd
	v_add_co_ci_u32_e64 v25, null, s3, v2, vcc_lo
	s_lshl_b64 s[54:55], s[48:49], 3
	v_add_co_u32 v26, vcc_lo, v24, 4
	s_wait_alu 0xfffd
	v_add_co_ci_u32_e64 v27, null, 0, v25, vcc_lo
	v_add_co_u32 v3, vcc_lo, s16, v1
	s_wait_alu 0xfffd
	v_add_co_ci_u32_e64 v4, null, s17, v2, vcc_lo
	s_add_nc_u64 s[16:17], s[16:17], s[54:55]
	s_ashr_i32 s13, s12, 31
	s_wait_alu 0xfffe
	v_add_co_u32 v1, vcc_lo, s16, v1
	s_wait_alu 0xfffd
	v_add_co_ci_u32_e64 v2, null, s17, v2, vcc_lo
	v_add_co_u32 v28, vcc_lo, v3, 4
	s_wait_alu 0xfffd
	v_add_co_ci_u32_e64 v29, null, 0, v4, vcc_lo
	;; [unrolled: 3-line block ×4, first 2 shown]
	v_add_co_u32 v34, vcc_lo, v3, 12
	v_cmp_gt_i32_e64 s1, s76, v0
	s_wait_alu 0xfffd
	v_add_co_ci_u32_e64 v35, null, 0, v4, vcc_lo
	s_lshl_b64 s[38:39], s[36:37], 2
	s_mul_u64 s[2:3], s[22:23], s[12:13]
	s_mov_b32 s34, s15
	s_add_nc_u64 s[36:37], s[4:5], s[38:39]
	s_lshl_b64 s[6:7], s[6:7], 2
	s_add_nc_u64 s[38:39], s[8:9], s[38:39]
	s_lshl_b64 s[10:11], s[10:11], 2
	s_wait_kmcnt 0x0
	s_lshl_b64 s[40:41], s[18:19], 3
	s_lshl_b64 s[42:43], s[12:13], 3
	s_sub_nc_u64 s[46:47], 0, s[44:45]
	s_add_co_i32 s29, s76, 1
	s_add_nc_u64 s[50:51], s[4:5], s[52:53]
	s_add_nc_u64 s[16:17], s[8:9], s[52:53]
	s_wait_alu 0xfffe
	s_lshl_b64 s[52:53], s[2:3], 3
	s_add_co_i32 s13, s15, 1
	s_branch .LBB56_4
.LBB56_2:                               ;   in Loop: Header=BB56_4 Depth=1
	s_wait_alu 0xfffe
	s_or_b32 exec_lo, exec_lo, s23
.LBB56_3:                               ;   in Loop: Header=BB56_4 Depth=1
	s_add_co_i32 s20, s20, s24
	s_delay_alu instid0(SALU_CYCLE_1)
	s_cmp_ge_u32 s20, s33
	s_cbranch_scc1 .LBB56_108
.LBB56_4:                               ; =>This Loop Header: Depth=1
                                        ;     Child Loop BB56_19 Depth 2
                                        ;       Child Loop BB56_20 Depth 3
                                        ;     Child Loop BB56_26 Depth 2
                                        ;       Child Loop BB56_27 Depth 3
	;; [unrolled: 2-line block ×12, first 2 shown]
	s_mul_u64 s[58:59], s[18:19], s[20:21]
	s_mul_u64 s[2:3], s[10:11], s[20:21]
	;; [unrolled: 1-line block ×3, first 2 shown]
	s_wait_alu 0xfffe
	s_lshl_b64 s[58:59], s[58:59], 3
	s_add_nc_u64 s[54:55], s[8:9], s[2:3]
	s_add_nc_u64 s[56:57], s[4:5], s[66:67]
	s_mul_u64 s[60:61], s[40:41], s[20:21]
	s_wait_alu 0xfffe
	s_add_nc_u64 s[58:59], s[26:27], s[58:59]
	s_and_b32 vcc_lo, exec_lo, s14
	s_mov_b32 s23, -1
	s_wait_alu 0xfffe
	s_cbranch_vccnz .LBB56_6
; %bb.5:                                ;   in Loop: Header=BB56_4 Depth=1
	s_and_not1_b32 vcc_lo, exec_lo, s23
	s_wait_alu 0xfffe
	s_cbranch_vccnz .LBB56_3
	s_branch .LBB56_103
.LBB56_6:                               ;   in Loop: Header=BB56_4 Depth=1
	s_add_nc_u64 s[62:63], s[50:51], s[66:67]
	s_add_nc_u64 s[64:65], s[16:17], s[2:3]
	s_and_b32 vcc_lo, exec_lo, s25
	s_wait_alu 0xfffe
	s_cbranch_vccz .LBB56_95
; %bb.7:                                ;   in Loop: Header=BB56_4 Depth=1
	s_and_b32 vcc_lo, exec_lo, s77
	s_wait_alu 0xfffe
	s_cbranch_vccz .LBB56_87
; %bb.8:                                ;   in Loop: Header=BB56_4 Depth=1
	;; [unrolled: 4-line block ×3, first 2 shown]
	s_and_b32 vcc_lo, exec_lo, s79
	s_wait_alu 0xfffe
	s_cbranch_vccz .LBB56_71
; %bb.10:                               ;   in Loop: Header=BB56_4 Depth=1
	s_and_b32 vcc_lo, exec_lo, s80
	s_wait_alu 0xfffe
	s_cbranch_vccz .LBB56_63
; %bb.11:                               ;   in Loop: Header=BB56_4 Depth=1
	v_add_co_u32 v1, vcc_lo, v18, s60
	s_wait_alu 0xfffd
	v_add_co_ci_u32_e64 v2, null, s61, v19, vcc_lo
	s_and_b32 vcc_lo, exec_lo, s81
	s_wait_alu 0xfffe
	s_cbranch_vccz .LBB56_55
; %bb.12:                               ;   in Loop: Header=BB56_4 Depth=1
	v_add_co_u32 v3, vcc_lo, v20, s60
	s_wait_alu 0xfffd
	v_add_co_ci_u32_e64 v4, null, s61, v21, vcc_lo
	s_add_nc_u64 s[66:67], s[36:37], s[66:67]
	s_add_nc_u64 s[68:69], s[38:39], s[2:3]
	s_and_b32 vcc_lo, exec_lo, s82
	s_mov_b32 s2, -1
	s_wait_alu 0xfffe
	s_cbranch_vccz .LBB56_46
; %bb.13:                               ;   in Loop: Header=BB56_4 Depth=1
	s_and_b32 vcc_lo, exec_lo, s83
	s_wait_alu 0xfffe
	s_cbranch_vccz .LBB56_38
; %bb.14:                               ;   in Loop: Header=BB56_4 Depth=1
	s_and_b32 vcc_lo, exec_lo, s84
	;; [unrolled: 4-line block ×3, first 2 shown]
	s_wait_alu 0xfffe
	s_cbranch_vccz .LBB56_22
; %bb.16:                               ;   in Loop: Header=BB56_4 Depth=1
	s_and_saveexec_b32 s23, s86
	s_cbranch_execz .LBB56_21
; %bb.17:                               ;   in Loop: Header=BB56_4 Depth=1
	v_add_co_u32 v5, vcc_lo, v16, s60
	s_wait_alu 0xfffd
	v_add_co_ci_u32_e64 v6, null, s61, v17, vcc_lo
	v_mov_b32_e32 v7, v0
	s_lshl_b64 s[2:3], s[30:31], 3
	s_mov_b32 s49, 0
	s_wait_alu 0xfffe
	s_add_nc_u64 s[70:71], s[58:59], s[2:3]
	s_branch .LBB56_19
.LBB56_18:                              ;   in Loop: Header=BB56_19 Depth=2
	v_add_nc_u32_e32 v7, s12, v7
	v_add_co_u32 v5, s2, v5, s42
	s_wait_alu 0xf1fe
	v_add_co_ci_u32_e64 v6, null, s43, v6, s2
	s_delay_alu instid0(VALU_DEP_3)
	v_cmp_le_i32_e32 vcc_lo, s15, v7
	s_wait_loadcnt 0x0
	global_store_b64 v[8:9], v[10:11], off
	s_or_b32 s49, vcc_lo, s49
	s_wait_alu 0xfffe
	s_and_not1_b32 exec_lo, exec_lo, s49
	s_cbranch_execz .LBB56_21
.LBB56_19:                              ;   Parent Loop BB56_4 Depth=1
                                        ; =>  This Loop Header: Depth=2
                                        ;       Child Loop BB56_20 Depth 3
	v_ashrrev_i32_e32 v8, 31, v7
	v_dual_mov_b32 v13, v6 :: v_dual_mov_b32 v12, v5
	s_mov_b64 s[2:3], s[68:69]
	s_mov_b64 s[72:73], s[66:67]
	s_delay_alu instid0(VALU_DEP_2) | instskip(SKIP_2) | instid1(VALU_DEP_1)
	v_lshlrev_b64_e32 v[8:9], 3, v[7:8]
	s_mov_b32 s74, s28
	s_wait_alu 0xfffe
	v_add_co_u32 v8, vcc_lo, s70, v8
	s_wait_alu 0xfffd
	s_delay_alu instid0(VALU_DEP_2)
	v_add_co_ci_u32_e64 v9, null, s71, v9, vcc_lo
	s_and_not1_b32 vcc_lo, exec_lo, s87
	global_load_b64 v[10:11], v[8:9], off
	s_wait_alu 0xfffe
	s_cbranch_vccnz .LBB56_18
.LBB56_20:                              ;   Parent Loop BB56_4 Depth=1
                                        ;     Parent Loop BB56_19 Depth=2
                                        ; =>    This Inner Loop Header: Depth=3
	global_load_b64 v[37:38], v[12:13], off offset:-4
	s_clause 0x1
	global_load_b32 v41, v36, s[72:73]
	global_load_b32 v42, v36, s[2:3]
	s_add_co_i32 s74, s74, -1
	s_add_nc_u64 s[72:73], s[72:73], -4
	s_cmp_eq_u32 s74, 0
	s_wait_alu 0xfffe
	s_add_nc_u64 s[2:3], s[2:3], -4
	s_wait_loadcnt 0x1
	v_mul_f32_e32 v39, v41, v37
	s_wait_loadcnt 0x0
	v_dual_mul_f32 v40, v41, v38 :: v_dual_mul_f32 v37, v42, v37
	v_mul_f32_e32 v38, v42, v38
	s_delay_alu instid0(VALU_DEP_3) | instskip(NEXT) | instid1(VALU_DEP_3)
	v_fmac_f32_e32 v39, v10, v42
	v_fmac_f32_e32 v40, v11, v42
	s_delay_alu instid0(VALU_DEP_4) | instskip(NEXT) | instid1(VALU_DEP_4)
	v_fma_f32 v10, v10, v41, -v37
	v_fma_f32 v11, v11, v41, -v38
	global_store_b64 v[12:13], v[39:40], off offset:-4
	v_add_co_u32 v12, vcc_lo, v12, s46
	s_wait_alu 0xfffd
	v_add_co_ci_u32_e64 v13, null, s47, v13, vcc_lo
	s_cbranch_scc0 .LBB56_20
	s_branch .LBB56_18
.LBB56_21:                              ;   in Loop: Header=BB56_4 Depth=1
	s_wait_alu 0xfffe
	s_or_b32 exec_lo, exec_lo, s23
	s_mov_b32 s2, 0
.LBB56_22:                              ;   in Loop: Header=BB56_4 Depth=1
	s_wait_alu 0xfffe
	s_and_not1_b32 vcc_lo, exec_lo, s2
	s_wait_alu 0xfffe
	s_cbranch_vccnz .LBB56_29
; %bb.23:                               ;   in Loop: Header=BB56_4 Depth=1
	s_and_saveexec_b32 s23, s0
	s_cbranch_execz .LBB56_28
; %bb.24:                               ;   in Loop: Header=BB56_4 Depth=1
	v_dual_mov_b32 v6, v2 :: v_dual_mov_b32 v5, v1
	v_mov_b32_e32 v7, v0
	s_lshl_b64 s[2:3], s[30:31], 3
	s_mov_b32 s49, 0
	s_wait_alu 0xfffe
	s_add_nc_u64 s[70:71], s[58:59], s[2:3]
	s_branch .LBB56_26
.LBB56_25:                              ;   in Loop: Header=BB56_26 Depth=2
	v_add_nc_u32_e32 v7, s12, v7
	v_add_co_u32 v5, s2, v5, s42
	s_wait_alu 0xf1fe
	v_add_co_ci_u32_e64 v6, null, s43, v6, s2
	s_delay_alu instid0(VALU_DEP_3)
	v_cmp_le_i32_e32 vcc_lo, s15, v7
	s_wait_loadcnt 0x0
	global_store_b64 v[8:9], v[10:11], off
	s_or_b32 s49, vcc_lo, s49
	s_wait_alu 0xfffe
	s_and_not1_b32 exec_lo, exec_lo, s49
	s_cbranch_execz .LBB56_28
.LBB56_26:                              ;   Parent Loop BB56_4 Depth=1
                                        ; =>  This Loop Header: Depth=2
                                        ;       Child Loop BB56_27 Depth 3
	v_ashrrev_i32_e32 v8, 31, v7
	v_dual_mov_b32 v13, v6 :: v_dual_mov_b32 v12, v5
	s_mov_b64 s[2:3], s[54:55]
	s_mov_b64 s[72:73], s[56:57]
	s_delay_alu instid0(VALU_DEP_2) | instskip(SKIP_2) | instid1(VALU_DEP_1)
	v_lshlrev_b64_e32 v[8:9], 3, v[7:8]
	s_mov_b32 s74, s28
	s_wait_alu 0xfffe
	v_add_co_u32 v8, vcc_lo, s70, v8
	s_wait_alu 0xfffd
	s_delay_alu instid0(VALU_DEP_2)
	v_add_co_ci_u32_e64 v9, null, s71, v9, vcc_lo
	s_and_not1_b32 vcc_lo, exec_lo, s87
	global_load_b64 v[10:11], v[8:9], off
	s_wait_alu 0xfffe
	s_cbranch_vccnz .LBB56_25
.LBB56_27:                              ;   Parent Loop BB56_4 Depth=1
                                        ;     Parent Loop BB56_26 Depth=2
                                        ; =>    This Inner Loop Header: Depth=3
	global_load_b64 v[37:38], v[12:13], off offset:-4
	s_clause 0x1
	global_load_b32 v41, v36, s[72:73]
	global_load_b32 v42, v36, s[2:3]
	s_add_co_i32 s74, s74, -1
	s_add_nc_u64 s[72:73], s[72:73], 4
	s_cmp_eq_u32 s74, 0
	s_wait_alu 0xfffe
	s_add_nc_u64 s[2:3], s[2:3], 4
	s_wait_loadcnt 0x1
	v_mul_f32_e32 v39, v41, v37
	s_wait_loadcnt 0x0
	v_dual_mul_f32 v40, v41, v38 :: v_dual_mul_f32 v37, v42, v37
	v_mul_f32_e32 v38, v42, v38
	s_delay_alu instid0(VALU_DEP_3) | instskip(NEXT) | instid1(VALU_DEP_3)
	v_fmac_f32_e32 v39, v10, v42
	v_fmac_f32_e32 v40, v11, v42
	s_delay_alu instid0(VALU_DEP_4) | instskip(NEXT) | instid1(VALU_DEP_4)
	v_fma_f32 v10, v10, v41, -v37
	v_fma_f32 v11, v11, v41, -v38
	global_store_b64 v[12:13], v[39:40], off offset:-4
	v_add_co_u32 v12, vcc_lo, v12, s44
	s_wait_alu 0xfffd
	v_add_co_ci_u32_e64 v13, null, s45, v13, vcc_lo
	s_cbranch_scc0 .LBB56_27
	s_branch .LBB56_25
.LBB56_28:                              ;   in Loop: Header=BB56_4 Depth=1
	s_wait_alu 0xfffe
	s_or_b32 exec_lo, exec_lo, s23
.LBB56_29:                              ;   in Loop: Header=BB56_4 Depth=1
	s_mov_b32 s2, 0
.LBB56_30:                              ;   in Loop: Header=BB56_4 Depth=1
	s_wait_alu 0xfffe
	s_and_not1_b32 vcc_lo, exec_lo, s2
	s_wait_alu 0xfffe
	s_cbranch_vccnz .LBB56_37
; %bb.31:                               ;   in Loop: Header=BB56_4 Depth=1
	s_and_saveexec_b32 s23, s0
	s_cbranch_execz .LBB56_36
; %bb.32:                               ;   in Loop: Header=BB56_4 Depth=1
	v_dual_mov_b32 v6, v4 :: v_dual_mov_b32 v5, v3
	v_mov_b32_e32 v7, v0
	s_mov_b32 s49, 0
	s_branch .LBB56_34
.LBB56_33:                              ;   in Loop: Header=BB56_34 Depth=2
	v_add_nc_u32_e32 v7, s12, v7
	v_add_co_u32 v5, s2, v5, s42
	s_wait_alu 0xf1fe
	v_add_co_ci_u32_e64 v6, null, s43, v6, s2
	s_delay_alu instid0(VALU_DEP_3)
	v_cmp_le_i32_e32 vcc_lo, s15, v7
	s_wait_loadcnt 0x0
	global_store_b64 v[8:9], v[10:11], off
	s_or_b32 s49, vcc_lo, s49
	s_wait_alu 0xfffe
	s_and_not1_b32 exec_lo, exec_lo, s49
	s_cbranch_execz .LBB56_36
.LBB56_34:                              ;   Parent Loop BB56_4 Depth=1
                                        ; =>  This Loop Header: Depth=2
                                        ;       Child Loop BB56_35 Depth 3
	s_delay_alu instid0(VALU_DEP_1) | instskip(SKIP_3) | instid1(VALU_DEP_2)
	v_ashrrev_i32_e32 v8, 31, v7
	v_dual_mov_b32 v13, v6 :: v_dual_mov_b32 v12, v5
	s_mov_b64 s[2:3], s[68:69]
	s_mov_b64 s[70:71], s[66:67]
	v_lshlrev_b64_e32 v[8:9], 3, v[7:8]
	s_mov_b32 s72, s29
	s_delay_alu instid0(VALU_DEP_1) | instskip(SKIP_1) | instid1(VALU_DEP_2)
	v_add_co_u32 v8, vcc_lo, s58, v8
	s_wait_alu 0xfffd
	v_add_co_ci_u32_e64 v9, null, s59, v9, vcc_lo
	s_and_not1_b32 vcc_lo, exec_lo, s87
	global_load_b64 v[10:11], v[8:9], off
	s_wait_alu 0xfffe
	s_cbranch_vccnz .LBB56_33
.LBB56_35:                              ;   Parent Loop BB56_4 Depth=1
                                        ;     Parent Loop BB56_34 Depth=2
                                        ; =>    This Inner Loop Header: Depth=3
	s_clause 0x1
	global_load_b32 v39, v36, s[2:3]
	global_load_b32 v40, v36, s[70:71]
	global_load_b64 v[37:38], v[12:13], off offset:-4
	s_wait_loadcnt 0x3
	v_dual_mov_b32 v41, v10 :: v_dual_mov_b32 v42, v11
	s_add_co_i32 s72, s72, -1
	s_wait_alu 0xfffe
	s_add_nc_u64 s[70:71], s[70:71], -4
	s_cmp_lt_u32 s72, 3
	s_add_nc_u64 s[2:3], s[2:3], -4
	s_wait_loadcnt 0x2
	v_mul_f32_e32 v43, v41, v39
	s_wait_loadcnt 0x0
	v_dual_mul_f32 v44, v42, v39 :: v_dual_mul_f32 v11, v39, v38
	v_mul_f32_e32 v10, v39, v37
	s_delay_alu instid0(VALU_DEP_3) | instskip(NEXT) | instid1(VALU_DEP_3)
	v_fma_f32 v37, v40, v37, -v43
	v_fma_f32 v38, v40, v38, -v44
	s_delay_alu instid0(VALU_DEP_4) | instskip(NEXT) | instid1(VALU_DEP_4)
	v_fmac_f32_e32 v11, v42, v40
	v_fmac_f32_e32 v10, v41, v40
	global_store_b64 v[12:13], v[37:38], off offset:-4
	v_add_co_u32 v12, vcc_lo, v12, s46
	s_wait_alu 0xfffd
	v_add_co_ci_u32_e64 v13, null, s47, v13, vcc_lo
	s_cbranch_scc0 .LBB56_35
	s_branch .LBB56_33
.LBB56_36:                              ;   in Loop: Header=BB56_4 Depth=1
	s_wait_alu 0xfffe
	s_or_b32 exec_lo, exec_lo, s23
.LBB56_37:                              ;   in Loop: Header=BB56_4 Depth=1
	s_mov_b32 s2, 0
.LBB56_38:                              ;   in Loop: Header=BB56_4 Depth=1
	s_wait_alu 0xfffe
	s_and_not1_b32 vcc_lo, exec_lo, s2
	s_wait_alu 0xfffe
	s_cbranch_vccnz .LBB56_45
; %bb.39:                               ;   in Loop: Header=BB56_4 Depth=1
	s_and_saveexec_b32 s23, s0
	s_cbranch_execz .LBB56_44
; %bb.40:                               ;   in Loop: Header=BB56_4 Depth=1
	v_add_co_u32 v5, vcc_lo, v22, s60
	s_wait_alu 0xfffd
	v_add_co_ci_u32_e64 v6, null, s61, v23, vcc_lo
	v_mov_b32_e32 v7, v0
	s_mov_b32 s49, 0
	s_branch .LBB56_42
.LBB56_41:                              ;   in Loop: Header=BB56_42 Depth=2
	v_add_nc_u32_e32 v7, s12, v7
	v_add_co_u32 v5, s2, v5, s42
	s_wait_alu 0xf1fe
	v_add_co_ci_u32_e64 v6, null, s43, v6, s2
	s_delay_alu instid0(VALU_DEP_3)
	v_cmp_le_i32_e32 vcc_lo, s15, v7
	s_wait_loadcnt 0x0
	global_store_b64 v[8:9], v[10:11], off
	s_or_b32 s49, vcc_lo, s49
	s_wait_alu 0xfffe
	s_and_not1_b32 exec_lo, exec_lo, s49
	s_cbranch_execz .LBB56_44
.LBB56_42:                              ;   Parent Loop BB56_4 Depth=1
                                        ; =>  This Loop Header: Depth=2
                                        ;       Child Loop BB56_43 Depth 3
	s_delay_alu instid0(VALU_DEP_1) | instskip(SKIP_3) | instid1(VALU_DEP_2)
	v_ashrrev_i32_e32 v8, 31, v7
	v_dual_mov_b32 v13, v6 :: v_dual_mov_b32 v12, v5
	s_mov_b32 s72, s28
	s_mov_b64 s[2:3], s[56:57]
	v_lshlrev_b64_e32 v[8:9], 3, v[7:8]
	s_mov_b64 s[70:71], s[54:55]
	s_delay_alu instid0(VALU_DEP_1) | instskip(SKIP_1) | instid1(VALU_DEP_2)
	v_add_co_u32 v8, vcc_lo, s58, v8
	s_wait_alu 0xfffd
	v_add_co_ci_u32_e64 v9, null, s59, v9, vcc_lo
	s_and_not1_b32 vcc_lo, exec_lo, s87
	global_load_b64 v[10:11], v[8:9], off
	s_wait_alu 0xfffe
	s_cbranch_vccnz .LBB56_41
.LBB56_43:                              ;   Parent Loop BB56_4 Depth=1
                                        ;     Parent Loop BB56_42 Depth=2
                                        ; =>    This Inner Loop Header: Depth=3
	s_clause 0x1
	global_load_b32 v39, v36, s[70:71]
	global_load_b32 v40, v36, s[2:3]
	global_load_b64 v[37:38], v[12:13], off offset:-4
	s_wait_loadcnt 0x3
	v_dual_mov_b32 v41, v10 :: v_dual_mov_b32 v42, v11
	s_add_co_i32 s72, s72, -1
	s_wait_alu 0xfffe
	s_add_nc_u64 s[70:71], s[70:71], 4
	s_cmp_eq_u32 s72, 0
	s_add_nc_u64 s[2:3], s[2:3], 4
	s_wait_loadcnt 0x2
	v_mul_f32_e32 v43, v41, v39
	s_wait_loadcnt 0x0
	v_dual_mul_f32 v44, v42, v39 :: v_dual_mul_f32 v11, v39, v38
	v_mul_f32_e32 v10, v39, v37
	s_delay_alu instid0(VALU_DEP_3) | instskip(NEXT) | instid1(VALU_DEP_3)
	v_fma_f32 v37, v40, v37, -v43
	v_fma_f32 v38, v40, v38, -v44
	s_delay_alu instid0(VALU_DEP_4) | instskip(NEXT) | instid1(VALU_DEP_4)
	v_fmac_f32_e32 v11, v42, v40
	v_fmac_f32_e32 v10, v41, v40
	global_store_b64 v[12:13], v[37:38], off offset:-4
	v_add_co_u32 v12, vcc_lo, v12, s44
	s_wait_alu 0xfffd
	v_add_co_ci_u32_e64 v13, null, s45, v13, vcc_lo
	s_cbranch_scc0 .LBB56_43
	s_branch .LBB56_41
.LBB56_44:                              ;   in Loop: Header=BB56_4 Depth=1
	s_wait_alu 0xfffe
	s_or_b32 exec_lo, exec_lo, s23
.LBB56_45:                              ;   in Loop: Header=BB56_4 Depth=1
	s_mov_b32 s2, 0
.LBB56_46:                              ;   in Loop: Header=BB56_4 Depth=1
	s_wait_alu 0xfffe
	s_and_not1_b32 vcc_lo, exec_lo, s2
	s_wait_alu 0xfffe
	s_cbranch_vccnz .LBB56_54
; %bb.47:                               ;   in Loop: Header=BB56_4 Depth=1
	s_and_saveexec_b32 s23, s0
	s_cbranch_execz .LBB56_53
; %bb.48:                               ;   in Loop: Header=BB56_4 Depth=1
	v_add_co_u32 v10, vcc_lo, v14, s60
	s_wait_alu 0xfffd
	v_add_co_ci_u32_e64 v11, null, s61, v15, vcc_lo
	v_mov_b32_e32 v5, v0
	s_lshl_b64 s[2:3], s[30:31], 3
	s_mov_b32 s49, 0
	s_wait_alu 0xfffe
	s_add_nc_u64 s[70:71], s[58:59], s[2:3]
	s_branch .LBB56_50
.LBB56_49:                              ;   in Loop: Header=BB56_50 Depth=2
	v_add_nc_u32_e32 v5, s12, v5
	v_add_co_u32 v6, vcc_lo, s58, v6
	s_wait_alu 0xfffd
	v_add_co_ci_u32_e64 v7, null, s59, v7, vcc_lo
	v_add_co_u32 v10, vcc_lo, v10, s42
	s_wait_alu 0xfffd
	v_add_co_ci_u32_e64 v11, null, s43, v11, vcc_lo
	v_cmp_le_i32_e32 vcc_lo, s15, v5
	v_add_co_u32 v3, s2, v3, s42
	s_wait_alu 0xf1fe
	v_add_co_ci_u32_e64 v4, null, s43, v4, s2
	s_or_b32 s49, vcc_lo, s49
	s_wait_loadcnt 0x0
	global_store_b64 v[6:7], v[8:9], off
	s_wait_alu 0xfffe
	s_and_not1_b32 exec_lo, exec_lo, s49
	s_cbranch_execz .LBB56_53
.LBB56_50:                              ;   Parent Loop BB56_4 Depth=1
                                        ; =>  This Loop Header: Depth=2
                                        ;       Child Loop BB56_52 Depth 3
	v_ashrrev_i32_e32 v6, 31, v5
	s_delay_alu instid0(VALU_DEP_1) | instskip(SKIP_1) | instid1(VALU_DEP_1)
	v_lshlrev_b64_e32 v[6:7], 3, v[5:6]
	s_wait_alu 0xfffe
	v_add_co_u32 v8, vcc_lo, s70, v6
	s_wait_alu 0xfffd
	s_delay_alu instid0(VALU_DEP_2)
	v_add_co_ci_u32_e64 v9, null, s71, v7, vcc_lo
	s_and_not1_b32 vcc_lo, exec_lo, s87
	global_load_b64 v[8:9], v[8:9], off
	s_wait_alu 0xfffe
	s_cbranch_vccnz .LBB56_49
; %bb.51:                               ;   in Loop: Header=BB56_50 Depth=2
	s_mov_b64 s[2:3], 0
	s_mov_b64 s[72:73], s[68:69]
	;; [unrolled: 1-line block ×3, first 2 shown]
	s_mov_b32 s89, s28
.LBB56_52:                              ;   Parent Loop BB56_4 Depth=1
                                        ;     Parent Loop BB56_50 Depth=2
                                        ; =>    This Inner Loop Header: Depth=3
	s_wait_alu 0xfffe
	v_add_co_u32 v12, vcc_lo, v10, s2
	s_wait_alu 0xfffd
	v_add_co_ci_u32_e64 v13, null, s3, v11, vcc_lo
	s_wait_loadcnt 0x0
	v_dual_mov_b32 v41, v9 :: v_dual_mov_b32 v42, v8
	s_clause 0x1
	global_load_b32 v39, v36, s[74:75]
	global_load_b32 v40, v36, s[72:73]
	global_load_b64 v[12:13], v[12:13], off
	v_add_co_u32 v37, vcc_lo, v3, s2
	s_wait_alu 0xfffd
	v_add_co_ci_u32_e64 v38, null, s3, v4, vcc_lo
	s_add_co_i32 s89, s89, -1
	s_sub_nc_u64 s[2:3], s[2:3], s[44:45]
	s_add_nc_u64 s[74:75], s[74:75], -4
	s_cmp_eq_u32 s89, 0
	s_add_nc_u64 s[72:73], s[72:73], -4
	s_wait_loadcnt 0x0
	v_mul_f32_e32 v8, v39, v12
	v_mul_f32_e32 v43, v40, v12
	s_delay_alu instid0(VALU_DEP_2) | instskip(NEXT) | instid1(VALU_DEP_1)
	v_dual_mul_f32 v9, v39, v13 :: v_dual_fmac_f32 v8, v42, v40
	v_dual_mul_f32 v44, v40, v13 :: v_dual_fmac_f32 v9, v41, v40
	s_delay_alu instid0(VALU_DEP_3) | instskip(NEXT) | instid1(VALU_DEP_2)
	v_fma_f32 v12, v42, v39, -v43
	v_fma_f32 v13, v41, v39, -v44
	global_store_b64 v[37:38], v[12:13], off offset:-4
	s_cbranch_scc0 .LBB56_52
	s_branch .LBB56_49
.LBB56_53:                              ;   in Loop: Header=BB56_4 Depth=1
	s_wait_alu 0xfffe
	s_or_b32 exec_lo, exec_lo, s23
.LBB56_54:                              ;   in Loop: Header=BB56_4 Depth=1
	s_mov_b32 s23, 0
.LBB56_55:                              ;   in Loop: Header=BB56_4 Depth=1
	s_wait_alu 0xfffe
	s_and_not1_b32 vcc_lo, exec_lo, s23
	s_wait_alu 0xfffe
	s_cbranch_vccnz .LBB56_62
; %bb.56:                               ;   in Loop: Header=BB56_4 Depth=1
	s_and_saveexec_b32 s23, s0
	s_cbranch_execz .LBB56_61
; %bb.57:                               ;   in Loop: Header=BB56_4 Depth=1
	v_mov_b32_e32 v3, v0
	s_lshl_b64 s[2:3], s[30:31], 3
	s_mov_b32 s49, 0
	s_wait_alu 0xfffe
	s_add_nc_u64 s[66:67], s[58:59], s[2:3]
	s_branch .LBB56_59
.LBB56_58:                              ;   in Loop: Header=BB56_59 Depth=2
	v_add_nc_u32_e32 v3, s12, v3
	v_add_co_u32 v4, vcc_lo, s66, v4
	s_wait_alu 0xfffd
	v_add_co_ci_u32_e64 v5, null, s67, v5, vcc_lo
	s_delay_alu instid0(VALU_DEP_3)
	v_cmp_le_i32_e32 vcc_lo, s15, v3
	v_add_co_u32 v1, s2, v1, s42
	s_wait_alu 0xf1fe
	v_add_co_ci_u32_e64 v2, null, s43, v2, s2
	s_or_b32 s49, vcc_lo, s49
	s_wait_loadcnt 0x0
	global_store_b64 v[4:5], v[6:7], off
	s_wait_alu 0xfffe
	s_and_not1_b32 exec_lo, exec_lo, s49
	s_cbranch_execz .LBB56_61
.LBB56_59:                              ;   Parent Loop BB56_4 Depth=1
                                        ; =>  This Loop Header: Depth=2
                                        ;       Child Loop BB56_60 Depth 3
	v_ashrrev_i32_e32 v4, 31, v3
	v_dual_mov_b32 v9, v2 :: v_dual_mov_b32 v8, v1
	s_mov_b64 s[2:3], s[54:55]
	s_mov_b64 s[68:69], s[56:57]
	s_delay_alu instid0(VALU_DEP_2) | instskip(SKIP_1) | instid1(VALU_DEP_1)
	v_lshlrev_b64_e32 v[4:5], 3, v[3:4]
	s_mov_b32 s70, s28
	v_add_co_u32 v6, vcc_lo, s58, v4
	s_wait_alu 0xfffd
	s_delay_alu instid0(VALU_DEP_2)
	v_add_co_ci_u32_e64 v7, null, s59, v5, vcc_lo
	s_and_not1_b32 vcc_lo, exec_lo, s87
	global_load_b64 v[6:7], v[6:7], off
	s_wait_alu 0xfffe
	s_cbranch_vccnz .LBB56_58
.LBB56_60:                              ;   Parent Loop BB56_4 Depth=1
                                        ;     Parent Loop BB56_59 Depth=2
                                        ; =>    This Inner Loop Header: Depth=3
	s_delay_alu instid0(VALU_DEP_1)
	v_add_co_u32 v10, vcc_lo, v8, s44
	s_wait_alu 0xfffd
	v_add_co_ci_u32_e64 v11, null, s45, v9, vcc_lo
	s_add_co_i32 s70, s70, -1
	global_load_b64 v[12:13], v[10:11], off offset:-4
	s_clause 0x1
	global_load_b32 v39, v36, s[2:3]
	global_load_b32 v40, v36, s[68:69]
	s_add_nc_u64 s[68:69], s[68:69], 4
	s_wait_alu 0xfffe
	s_cmp_eq_u32 s70, 0
	s_add_nc_u64 s[2:3], s[2:3], 4
	s_wait_loadcnt 0x1
	v_mul_f32_e32 v37, v39, v12
	v_dual_mul_f32 v38, v39, v13 :: v_dual_mul_f32 v41, v6, v39
	v_mul_f32_e32 v39, v7, v39
	s_wait_loadcnt 0x0
	s_delay_alu instid0(VALU_DEP_3) | instskip(NEXT) | instid1(VALU_DEP_3)
	v_fmac_f32_e32 v37, v6, v40
	v_fmac_f32_e32 v38, v7, v40
	v_fma_f32 v6, v40, v12, -v41
	v_fma_f32 v7, v40, v13, -v39
	global_store_b64 v[8:9], v[37:38], off offset:-4
	v_dual_mov_b32 v8, v10 :: v_dual_mov_b32 v9, v11
	s_cbranch_scc0 .LBB56_60
	s_branch .LBB56_58
.LBB56_61:                              ;   in Loop: Header=BB56_4 Depth=1
	s_wait_alu 0xfffe
	s_or_b32 exec_lo, exec_lo, s23
.LBB56_62:                              ;   in Loop: Header=BB56_4 Depth=1
	s_mov_b32 s23, 0
.LBB56_63:                              ;   in Loop: Header=BB56_4 Depth=1
	s_wait_alu 0xfffe
	s_and_not1_b32 vcc_lo, exec_lo, s23
	s_wait_alu 0xfffe
	s_cbranch_vccnz .LBB56_70
; %bb.64:                               ;   in Loop: Header=BB56_4 Depth=1
	s_and_saveexec_b32 s23, s1
	s_cbranch_execz .LBB56_69
; %bb.65:                               ;   in Loop: Header=BB56_4 Depth=1
	v_add_co_u32 v1, vcc_lo, v26, s60
	s_wait_alu 0xfffd
	v_add_co_ci_u32_e64 v2, null, s61, v27, vcc_lo
	v_mov_b32_e32 v9, v0
	s_lshl_b64 s[2:3], s[34:35], 3
	s_mov_b32 s49, 0
	s_wait_alu 0xfffe
	s_add_nc_u64 s[66:67], s[58:59], s[2:3]
	s_branch .LBB56_67
.LBB56_66:                              ;   in Loop: Header=BB56_67 Depth=2
	v_add_nc_u32_e32 v9, s12, v9
	v_add_co_u32 v1, s2, v1, s52
	s_wait_alu 0xf1fe
	v_add_co_ci_u32_e64 v2, null, s53, v2, s2
	s_delay_alu instid0(VALU_DEP_3)
	v_cmp_le_i32_e32 vcc_lo, s76, v9
	s_wait_loadcnt 0x0
	global_store_b64 v[3:4], v[5:6], off offset:-8
	s_or_b32 s49, vcc_lo, s49
	s_wait_alu 0xfffe
	s_and_not1_b32 exec_lo, exec_lo, s49
	s_cbranch_execz .LBB56_69
.LBB56_67:                              ;   Parent Loop BB56_4 Depth=1
                                        ; =>  This Loop Header: Depth=2
                                        ;       Child Loop BB56_68 Depth 3
	v_mad_co_i64_i32 v[3:4], null, v9, s22, 0
	v_dual_mov_b32 v8, v2 :: v_dual_mov_b32 v7, v1
	s_mov_b64 s[2:3], s[64:65]
	s_mov_b64 s[68:69], s[62:63]
	s_mov_b32 s70, s48
	s_delay_alu instid0(VALU_DEP_2) | instskip(SKIP_1) | instid1(VALU_DEP_1)
	v_lshlrev_b64_e32 v[3:4], 3, v[3:4]
	s_wait_alu 0xfffe
	v_add_co_u32 v3, vcc_lo, s66, v3
	s_wait_alu 0xfffd
	s_delay_alu instid0(VALU_DEP_2)
	v_add_co_ci_u32_e64 v4, null, s67, v4, vcc_lo
	s_and_not1_b32 vcc_lo, exec_lo, s88
	global_load_b64 v[5:6], v[3:4], off offset:-8
	s_wait_alu 0xfffe
	s_cbranch_vccnz .LBB56_66
.LBB56_68:                              ;   Parent Loop BB56_4 Depth=1
                                        ;     Parent Loop BB56_67 Depth=2
                                        ; =>    This Inner Loop Header: Depth=3
	global_load_b64 v[10:11], v[7:8], off offset:-4
	s_clause 0x1
	global_load_b32 v37, v36, s[68:69]
	global_load_b32 v38, v36, s[2:3]
	s_add_co_i32 s70, s70, -1
	s_add_nc_u64 s[68:69], s[68:69], -4
	s_wait_alu 0xfffe
	s_cmp_eq_u32 s70, 0
	s_add_nc_u64 s[2:3], s[2:3], -4
	s_wait_loadcnt 0x1
	v_mul_f32_e32 v12, v37, v10
	s_wait_loadcnt 0x0
	v_dual_mul_f32 v13, v37, v11 :: v_dual_mul_f32 v10, v38, v10
	s_delay_alu instid0(VALU_DEP_2) | instskip(NEXT) | instid1(VALU_DEP_2)
	v_dual_mul_f32 v11, v38, v11 :: v_dual_fmac_f32 v12, v5, v38
	v_fmac_f32_e32 v13, v6, v38
	s_delay_alu instid0(VALU_DEP_3) | instskip(NEXT) | instid1(VALU_DEP_3)
	v_fma_f32 v5, v5, v37, -v10
	v_fma_f32 v6, v6, v37, -v11
	global_store_b64 v[7:8], v[12:13], off offset:-4
	v_add_co_u32 v7, vcc_lo, v7, -8
	s_wait_alu 0xfffd
	v_add_co_ci_u32_e64 v8, null, -1, v8, vcc_lo
	s_cbranch_scc0 .LBB56_68
	s_branch .LBB56_66
.LBB56_69:                              ;   in Loop: Header=BB56_4 Depth=1
	s_wait_alu 0xfffe
	s_or_b32 exec_lo, exec_lo, s23
.LBB56_70:                              ;   in Loop: Header=BB56_4 Depth=1
	s_mov_b32 s23, 0
.LBB56_71:                              ;   in Loop: Header=BB56_4 Depth=1
	s_wait_alu 0xfffe
	s_and_not1_b32 vcc_lo, exec_lo, s23
	s_wait_alu 0xfffe
	s_cbranch_vccnz .LBB56_78
; %bb.72:                               ;   in Loop: Header=BB56_4 Depth=1
	s_and_saveexec_b32 s23, s1
	s_cbranch_execz .LBB56_77
; %bb.73:                               ;   in Loop: Header=BB56_4 Depth=1
	v_add_co_u32 v1, vcc_lo, v28, s60
	s_wait_alu 0xfffd
	v_add_co_ci_u32_e64 v2, null, s61, v29, vcc_lo
	v_mov_b32_e32 v9, v0
	s_lshl_b64 s[2:3], s[34:35], 3
	s_mov_b32 s49, 0
	s_wait_alu 0xfffe
	s_add_nc_u64 s[66:67], s[58:59], s[2:3]
	s_branch .LBB56_75
.LBB56_74:                              ;   in Loop: Header=BB56_75 Depth=2
	v_add_nc_u32_e32 v9, s12, v9
	v_add_co_u32 v1, s2, v1, s52
	s_wait_alu 0xf1fe
	v_add_co_ci_u32_e64 v2, null, s53, v2, s2
	s_delay_alu instid0(VALU_DEP_3)
	v_cmp_le_i32_e32 vcc_lo, s76, v9
	s_wait_loadcnt 0x0
	global_store_b64 v[3:4], v[5:6], off offset:-8
	s_or_b32 s49, vcc_lo, s49
	s_wait_alu 0xfffe
	s_and_not1_b32 exec_lo, exec_lo, s49
	s_cbranch_execz .LBB56_77
.LBB56_75:                              ;   Parent Loop BB56_4 Depth=1
                                        ; =>  This Loop Header: Depth=2
                                        ;       Child Loop BB56_76 Depth 3
	v_mad_co_i64_i32 v[3:4], null, v9, s22, 0
	v_dual_mov_b32 v8, v2 :: v_dual_mov_b32 v7, v1
	s_mov_b64 s[2:3], s[54:55]
	s_mov_b64 s[68:69], s[56:57]
	s_mov_b32 s70, s48
	s_delay_alu instid0(VALU_DEP_2) | instskip(SKIP_1) | instid1(VALU_DEP_1)
	v_lshlrev_b64_e32 v[3:4], 3, v[3:4]
	s_wait_alu 0xfffe
	v_add_co_u32 v3, vcc_lo, s66, v3
	s_wait_alu 0xfffd
	s_delay_alu instid0(VALU_DEP_2)
	v_add_co_ci_u32_e64 v4, null, s67, v4, vcc_lo
	s_and_not1_b32 vcc_lo, exec_lo, s88
	global_load_b64 v[5:6], v[3:4], off offset:-8
	s_wait_alu 0xfffe
	s_cbranch_vccnz .LBB56_74
.LBB56_76:                              ;   Parent Loop BB56_4 Depth=1
                                        ;     Parent Loop BB56_75 Depth=2
                                        ; =>    This Inner Loop Header: Depth=3
	global_load_b64 v[10:11], v[7:8], off offset:-4
	s_clause 0x1
	global_load_b32 v37, v36, s[68:69]
	global_load_b32 v38, v36, s[2:3]
	s_add_co_i32 s70, s70, -1
	s_add_nc_u64 s[68:69], s[68:69], 4
	s_wait_alu 0xfffe
	s_cmp_eq_u32 s70, 0
	s_add_nc_u64 s[2:3], s[2:3], 4
	s_wait_loadcnt 0x1
	v_mul_f32_e32 v12, v37, v10
	s_wait_loadcnt 0x0
	v_dual_mul_f32 v13, v37, v11 :: v_dual_mul_f32 v10, v38, v10
	s_delay_alu instid0(VALU_DEP_2) | instskip(NEXT) | instid1(VALU_DEP_2)
	v_dual_mul_f32 v11, v38, v11 :: v_dual_fmac_f32 v12, v5, v38
	v_fmac_f32_e32 v13, v6, v38
	s_delay_alu instid0(VALU_DEP_3) | instskip(NEXT) | instid1(VALU_DEP_3)
	v_fma_f32 v5, v5, v37, -v10
	v_fma_f32 v6, v6, v37, -v11
	global_store_b64 v[7:8], v[12:13], off offset:-4
	v_add_co_u32 v7, vcc_lo, v7, 8
	s_wait_alu 0xfffd
	v_add_co_ci_u32_e64 v8, null, 0, v8, vcc_lo
	s_cbranch_scc0 .LBB56_76
	s_branch .LBB56_74
.LBB56_77:                              ;   in Loop: Header=BB56_4 Depth=1
	s_wait_alu 0xfffe
	s_or_b32 exec_lo, exec_lo, s23
.LBB56_78:                              ;   in Loop: Header=BB56_4 Depth=1
	s_mov_b32 s23, 0
.LBB56_79:                              ;   in Loop: Header=BB56_4 Depth=1
	s_wait_alu 0xfffe
	s_and_not1_b32 vcc_lo, exec_lo, s23
	s_wait_alu 0xfffe
	s_cbranch_vccnz .LBB56_86
; %bb.80:                               ;   in Loop: Header=BB56_4 Depth=1
	s_and_saveexec_b32 s23, s1
	s_cbranch_execz .LBB56_85
; %bb.81:                               ;   in Loop: Header=BB56_4 Depth=1
	v_add_co_u32 v1, vcc_lo, v30, s60
	s_wait_alu 0xfffd
	v_add_co_ci_u32_e64 v2, null, s61, v31, vcc_lo
	v_mov_b32_e32 v9, v0
	s_mov_b32 s49, 0
	s_branch .LBB56_83
.LBB56_82:                              ;   in Loop: Header=BB56_83 Depth=2
	v_add_nc_u32_e32 v9, s12, v9
	v_add_co_u32 v1, s2, v1, s52
	s_wait_alu 0xf1fe
	v_add_co_ci_u32_e64 v2, null, s53, v2, s2
	s_delay_alu instid0(VALU_DEP_3)
	v_cmp_le_i32_e32 vcc_lo, s76, v9
	s_wait_loadcnt 0x0
	global_store_b64 v[3:4], v[5:6], off
	s_or_b32 s49, vcc_lo, s49
	s_wait_alu 0xfffe
	s_and_not1_b32 exec_lo, exec_lo, s49
	s_cbranch_execz .LBB56_85
.LBB56_83:                              ;   Parent Loop BB56_4 Depth=1
                                        ; =>  This Loop Header: Depth=2
                                        ;       Child Loop BB56_84 Depth 3
	s_delay_alu instid0(VALU_DEP_1) | instskip(SKIP_4) | instid1(VALU_DEP_2)
	v_mad_co_i64_i32 v[3:4], null, v9, s22, 0
	v_dual_mov_b32 v8, v2 :: v_dual_mov_b32 v7, v1
	s_mov_b64 s[2:3], s[64:65]
	s_mov_b64 s[66:67], s[62:63]
	s_mov_b32 s68, s13
	v_lshlrev_b64_e32 v[3:4], 3, v[3:4]
	s_delay_alu instid0(VALU_DEP_1) | instskip(SKIP_1) | instid1(VALU_DEP_2)
	v_add_co_u32 v3, vcc_lo, s58, v3
	s_wait_alu 0xfffd
	v_add_co_ci_u32_e64 v4, null, s59, v4, vcc_lo
	s_and_not1_b32 vcc_lo, exec_lo, s88
	global_load_b64 v[5:6], v[3:4], off
	s_wait_alu 0xfffe
	s_cbranch_vccnz .LBB56_82
.LBB56_84:                              ;   Parent Loop BB56_4 Depth=1
                                        ;     Parent Loop BB56_83 Depth=2
                                        ; =>    This Inner Loop Header: Depth=3
	s_clause 0x1
	global_load_b32 v12, v36, s[2:3]
	global_load_b32 v13, v36, s[66:67]
	global_load_b64 v[10:11], v[7:8], off offset:-4
	s_wait_loadcnt 0x3
	v_dual_mov_b32 v37, v5 :: v_dual_mov_b32 v38, v6
	s_add_co_i32 s68, s68, -1
	s_wait_alu 0xfffe
	s_add_nc_u64 s[66:67], s[66:67], -4
	s_cmp_lt_u32 s68, 3
	s_add_nc_u64 s[2:3], s[2:3], -4
	s_wait_loadcnt 0x2
	v_mul_f32_e32 v39, v37, v12
	s_wait_loadcnt 0x0
	v_dual_mul_f32 v40, v38, v12 :: v_dual_mul_f32 v5, v12, v10
	v_mul_f32_e32 v6, v12, v11
	s_delay_alu instid0(VALU_DEP_3) | instskip(NEXT) | instid1(VALU_DEP_3)
	v_fma_f32 v10, v13, v10, -v39
	v_fma_f32 v11, v13, v11, -v40
	s_delay_alu instid0(VALU_DEP_4) | instskip(NEXT) | instid1(VALU_DEP_4)
	v_fmac_f32_e32 v5, v37, v13
	v_fmac_f32_e32 v6, v38, v13
	global_store_b64 v[7:8], v[10:11], off offset:-4
	v_add_co_u32 v7, vcc_lo, v7, -8
	s_wait_alu 0xfffd
	v_add_co_ci_u32_e64 v8, null, -1, v8, vcc_lo
	s_cbranch_scc0 .LBB56_84
	s_branch .LBB56_82
.LBB56_85:                              ;   in Loop: Header=BB56_4 Depth=1
	s_wait_alu 0xfffe
	s_or_b32 exec_lo, exec_lo, s23
.LBB56_86:                              ;   in Loop: Header=BB56_4 Depth=1
	s_mov_b32 s23, 0
.LBB56_87:                              ;   in Loop: Header=BB56_4 Depth=1
	s_wait_alu 0xfffe
	s_and_not1_b32 vcc_lo, exec_lo, s23
	s_wait_alu 0xfffe
	s_cbranch_vccnz .LBB56_94
; %bb.88:                               ;   in Loop: Header=BB56_4 Depth=1
	s_and_saveexec_b32 s23, s1
	s_cbranch_execz .LBB56_93
; %bb.89:                               ;   in Loop: Header=BB56_4 Depth=1
	v_add_co_u32 v1, vcc_lo, v32, s60
	s_wait_alu 0xfffd
	v_add_co_ci_u32_e64 v2, null, s61, v33, vcc_lo
	v_mov_b32_e32 v9, v0
	s_mov_b32 s49, 0
	s_branch .LBB56_91
.LBB56_90:                              ;   in Loop: Header=BB56_91 Depth=2
	v_add_nc_u32_e32 v9, s12, v9
	v_add_co_u32 v1, s2, v1, s52
	s_wait_alu 0xf1fe
	v_add_co_ci_u32_e64 v2, null, s53, v2, s2
	s_delay_alu instid0(VALU_DEP_3)
	v_cmp_le_i32_e32 vcc_lo, s76, v9
	s_wait_loadcnt 0x0
	global_store_b64 v[3:4], v[5:6], off
	s_or_b32 s49, vcc_lo, s49
	s_wait_alu 0xfffe
	s_and_not1_b32 exec_lo, exec_lo, s49
	s_cbranch_execz .LBB56_93
.LBB56_91:                              ;   Parent Loop BB56_4 Depth=1
                                        ; =>  This Loop Header: Depth=2
                                        ;       Child Loop BB56_92 Depth 3
	s_delay_alu instid0(VALU_DEP_1) | instskip(SKIP_4) | instid1(VALU_DEP_2)
	v_mad_co_i64_i32 v[3:4], null, v9, s22, 0
	v_dual_mov_b32 v8, v2 :: v_dual_mov_b32 v7, v1
	s_mov_b32 s68, s48
	s_mov_b64 s[2:3], s[56:57]
	s_mov_b64 s[66:67], s[54:55]
	v_lshlrev_b64_e32 v[3:4], 3, v[3:4]
	s_delay_alu instid0(VALU_DEP_1) | instskip(SKIP_1) | instid1(VALU_DEP_2)
	v_add_co_u32 v3, vcc_lo, s58, v3
	s_wait_alu 0xfffd
	v_add_co_ci_u32_e64 v4, null, s59, v4, vcc_lo
	s_and_not1_b32 vcc_lo, exec_lo, s88
	global_load_b64 v[5:6], v[3:4], off
	s_wait_alu 0xfffe
	s_cbranch_vccnz .LBB56_90
.LBB56_92:                              ;   Parent Loop BB56_4 Depth=1
                                        ;     Parent Loop BB56_91 Depth=2
                                        ; =>    This Inner Loop Header: Depth=3
	s_clause 0x1
	global_load_b32 v12, v36, s[66:67]
	global_load_b32 v13, v36, s[2:3]
	global_load_b64 v[10:11], v[7:8], off
	s_wait_loadcnt 0x3
	v_dual_mov_b32 v37, v5 :: v_dual_mov_b32 v38, v6
	s_add_co_i32 s68, s68, -1
	s_wait_alu 0xfffe
	s_add_nc_u64 s[66:67], s[66:67], 4
	s_cmp_eq_u32 s68, 0
	s_add_nc_u64 s[2:3], s[2:3], 4
	s_wait_loadcnt 0x2
	v_mul_f32_e32 v39, v37, v12
	s_wait_loadcnt 0x0
	v_dual_mul_f32 v40, v38, v12 :: v_dual_mul_f32 v5, v12, v10
	v_mul_f32_e32 v6, v12, v11
	s_delay_alu instid0(VALU_DEP_3) | instskip(NEXT) | instid1(VALU_DEP_3)
	v_fma_f32 v10, v13, v10, -v39
	v_fma_f32 v11, v13, v11, -v40
	s_delay_alu instid0(VALU_DEP_4) | instskip(NEXT) | instid1(VALU_DEP_4)
	v_fmac_f32_e32 v5, v37, v13
	v_fmac_f32_e32 v6, v38, v13
	global_store_b64 v[7:8], v[10:11], off
	v_add_co_u32 v7, vcc_lo, v7, 8
	s_wait_alu 0xfffd
	v_add_co_ci_u32_e64 v8, null, 0, v8, vcc_lo
	s_cbranch_scc0 .LBB56_92
	s_branch .LBB56_90
.LBB56_93:                              ;   in Loop: Header=BB56_4 Depth=1
	s_wait_alu 0xfffe
	s_or_b32 exec_lo, exec_lo, s23
.LBB56_94:                              ;   in Loop: Header=BB56_4 Depth=1
	s_mov_b32 s23, 0
.LBB56_95:                              ;   in Loop: Header=BB56_4 Depth=1
	s_wait_alu 0xfffe
	s_and_not1_b32 vcc_lo, exec_lo, s23
	s_wait_alu 0xfffe
	s_cbranch_vccnz .LBB56_102
; %bb.96:                               ;   in Loop: Header=BB56_4 Depth=1
	s_and_saveexec_b32 s23, s1
	s_cbranch_execz .LBB56_101
; %bb.97:                               ;   in Loop: Header=BB56_4 Depth=1
	v_add_co_u32 v1, vcc_lo, v24, s60
	s_wait_alu 0xfffd
	v_add_co_ci_u32_e64 v2, null, s61, v25, vcc_lo
	v_mov_b32_e32 v9, v0
	s_lshl_b64 s[2:3], s[34:35], 3
	s_mov_b32 s49, 0
	s_wait_alu 0xfffe
	s_add_nc_u64 s[66:67], s[58:59], s[2:3]
	s_branch .LBB56_99
.LBB56_98:                              ;   in Loop: Header=BB56_99 Depth=2
	v_add_nc_u32_e32 v9, s12, v9
	v_add_co_u32 v3, vcc_lo, s58, v3
	s_wait_alu 0xfffd
	v_add_co_ci_u32_e64 v4, null, s59, v4, vcc_lo
	s_delay_alu instid0(VALU_DEP_3)
	v_cmp_le_i32_e32 vcc_lo, s76, v9
	v_add_co_u32 v1, s2, v1, s52
	s_wait_alu 0xf1fe
	v_add_co_ci_u32_e64 v2, null, s53, v2, s2
	s_or_b32 s49, vcc_lo, s49
	s_wait_loadcnt 0x0
	global_store_b64 v[3:4], v[5:6], off
	s_wait_alu 0xfffe
	s_and_not1_b32 exec_lo, exec_lo, s49
	s_cbranch_execz .LBB56_101
.LBB56_99:                              ;   Parent Loop BB56_4 Depth=1
                                        ; =>  This Loop Header: Depth=2
                                        ;       Child Loop BB56_100 Depth 3
	v_mad_co_i64_i32 v[3:4], null, v9, s22, 0
	v_dual_mov_b32 v8, v2 :: v_dual_mov_b32 v7, v1
	s_mov_b64 s[2:3], s[64:65]
	s_mov_b64 s[68:69], s[62:63]
	s_mov_b32 s70, s48
	s_delay_alu instid0(VALU_DEP_2) | instskip(SKIP_1) | instid1(VALU_DEP_1)
	v_lshlrev_b64_e32 v[3:4], 3, v[3:4]
	s_wait_alu 0xfffe
	v_add_co_u32 v5, vcc_lo, s66, v3
	s_wait_alu 0xfffd
	s_delay_alu instid0(VALU_DEP_2)
	v_add_co_ci_u32_e64 v6, null, s67, v4, vcc_lo
	s_and_not1_b32 vcc_lo, exec_lo, s88
	global_load_b64 v[5:6], v[5:6], off offset:-8
	s_wait_alu 0xfffe
	s_cbranch_vccnz .LBB56_98
.LBB56_100:                             ;   Parent Loop BB56_4 Depth=1
                                        ;     Parent Loop BB56_99 Depth=2
                                        ; =>    This Inner Loop Header: Depth=3
	global_load_b64 v[10:11], v[7:8], off
	s_clause 0x1
	global_load_b32 v12, v36, s[2:3]
	global_load_b32 v13, v36, s[68:69]
	s_wait_loadcnt 0x3
	v_dual_mov_b32 v37, v6 :: v_dual_mov_b32 v38, v5
	s_add_co_i32 s70, s70, -1
	s_add_nc_u64 s[68:69], s[68:69], -4
	s_wait_alu 0xfffe
	s_cmp_eq_u32 s70, 0
	s_add_nc_u64 s[2:3], s[2:3], -4
	s_wait_loadcnt 0x0
	v_dual_mul_f32 v39, v12, v10 :: v_dual_mul_f32 v6, v13, v11
	v_dual_mul_f32 v40, v12, v11 :: v_dual_mul_f32 v5, v13, v10
	s_delay_alu instid0(VALU_DEP_2) | instskip(NEXT) | instid1(VALU_DEP_3)
	v_fma_f32 v10, v38, v13, -v39
	v_fmac_f32_e32 v6, v37, v12
	s_delay_alu instid0(VALU_DEP_3) | instskip(NEXT) | instid1(VALU_DEP_4)
	v_fma_f32 v11, v37, v13, -v40
	v_fmac_f32_e32 v5, v38, v12
	global_store_b64 v[7:8], v[10:11], off offset:8
	v_add_co_u32 v7, vcc_lo, v7, -8
	s_wait_alu 0xfffd
	v_add_co_ci_u32_e64 v8, null, -1, v8, vcc_lo
	s_cbranch_scc0 .LBB56_100
	s_branch .LBB56_98
.LBB56_101:                             ;   in Loop: Header=BB56_4 Depth=1
	s_wait_alu 0xfffe
	s_or_b32 exec_lo, exec_lo, s23
.LBB56_102:                             ;   in Loop: Header=BB56_4 Depth=1
	s_cbranch_execnz .LBB56_3
.LBB56_103:                             ;   in Loop: Header=BB56_4 Depth=1
	s_and_saveexec_b32 s23, s1
	s_cbranch_execz .LBB56_2
; %bb.104:                              ;   in Loop: Header=BB56_4 Depth=1
	v_add_co_u32 v1, vcc_lo, v34, s60
	s_wait_alu 0xfffd
	v_add_co_ci_u32_e64 v2, null, s61, v35, vcc_lo
	v_mov_b32_e32 v9, v0
	s_lshl_b64 s[2:3], s[34:35], 3
	s_mov_b32 s49, 0
	s_wait_alu 0xfffe
	s_add_nc_u64 s[60:61], s[58:59], s[2:3]
	s_branch .LBB56_106
.LBB56_105:                             ;   in Loop: Header=BB56_106 Depth=2
	v_add_nc_u32_e32 v9, s12, v9
	v_add_co_u32 v3, vcc_lo, s60, v3
	s_wait_alu 0xfffd
	v_add_co_ci_u32_e64 v4, null, s61, v4, vcc_lo
	s_delay_alu instid0(VALU_DEP_3)
	v_cmp_le_i32_e32 vcc_lo, s76, v9
	v_add_co_u32 v1, s2, v1, s52
	s_wait_alu 0xf1fe
	v_add_co_ci_u32_e64 v2, null, s53, v2, s2
	s_or_b32 s49, vcc_lo, s49
	s_wait_loadcnt 0x0
	global_store_b64 v[3:4], v[5:6], off offset:-8
	s_wait_alu 0xfffe
	s_and_not1_b32 exec_lo, exec_lo, s49
	s_cbranch_execz .LBB56_2
.LBB56_106:                             ;   Parent Loop BB56_4 Depth=1
                                        ; =>  This Loop Header: Depth=2
                                        ;       Child Loop BB56_107 Depth 3
	v_mad_co_i64_i32 v[3:4], null, v9, s22, 0
	v_dual_mov_b32 v8, v2 :: v_dual_mov_b32 v7, v1
	s_mov_b64 s[2:3], s[56:57]
	s_mov_b64 s[62:63], s[54:55]
	s_mov_b32 s64, s48
	s_delay_alu instid0(VALU_DEP_2) | instskip(NEXT) | instid1(VALU_DEP_1)
	v_lshlrev_b64_e32 v[3:4], 3, v[3:4]
	v_add_co_u32 v5, vcc_lo, s58, v3
	s_wait_alu 0xfffd
	s_delay_alu instid0(VALU_DEP_2)
	v_add_co_ci_u32_e64 v6, null, s59, v4, vcc_lo
	s_and_not1_b32 vcc_lo, exec_lo, s88
	global_load_b64 v[5:6], v[5:6], off
	s_wait_alu 0xfffe
	s_cbranch_vccnz .LBB56_105
.LBB56_107:                             ;   Parent Loop BB56_4 Depth=1
                                        ;     Parent Loop BB56_106 Depth=2
                                        ; =>    This Inner Loop Header: Depth=3
	global_load_b64 v[10:11], v[7:8], off offset:-4
	s_clause 0x1
	global_load_b32 v37, v36, s[62:63]
	global_load_b32 v38, v36, s[2:3]
	s_add_co_i32 s64, s64, -1
	s_add_nc_u64 s[62:63], s[62:63], 4
	s_cmp_eq_u32 s64, 0
	s_wait_alu 0xfffe
	s_add_nc_u64 s[2:3], s[2:3], 4
	s_wait_loadcnt 0x1
	v_mul_f32_e32 v12, v37, v10
	v_mul_f32_e32 v13, v37, v11
	;; [unrolled: 1-line block ×3, first 2 shown]
	s_wait_loadcnt 0x0
	s_delay_alu instid0(VALU_DEP_3) | instskip(NEXT) | instid1(VALU_DEP_3)
	v_dual_mul_f32 v37, v6, v37 :: v_dual_fmac_f32 v12, v5, v38
	v_fmac_f32_e32 v13, v6, v38
	s_delay_alu instid0(VALU_DEP_3) | instskip(NEXT) | instid1(VALU_DEP_3)
	v_fma_f32 v5, v38, v10, -v39
	v_fma_f32 v6, v38, v11, -v37
	global_store_b64 v[7:8], v[12:13], off offset:-12
	v_add_co_u32 v7, vcc_lo, v7, 8
	s_wait_alu 0xfffd
	v_add_co_ci_u32_e64 v8, null, 0, v8, vcc_lo
	s_cbranch_scc0 .LBB56_107
	s_branch .LBB56_105
.LBB56_108:
	s_endpgm
	.section	.rodata,"a",@progbits
	.p2align	6, 0x0
	.amdhsa_kernel _ZN9rocsolver6v33100L11lasr_kernelI19rocblas_complex_numIfEfPS3_iEEv13rocblas_side_14rocblas_pivot_15rocblas_direct_T2_S8_PT0_lSA_lT1_lS8_lS8_
		.amdhsa_group_segment_fixed_size 0
		.amdhsa_private_segment_fixed_size 0
		.amdhsa_kernarg_size 352
		.amdhsa_user_sgpr_count 2
		.amdhsa_user_sgpr_dispatch_ptr 0
		.amdhsa_user_sgpr_queue_ptr 0
		.amdhsa_user_sgpr_kernarg_segment_ptr 1
		.amdhsa_user_sgpr_dispatch_id 0
		.amdhsa_user_sgpr_private_segment_size 0
		.amdhsa_wavefront_size32 1
		.amdhsa_uses_dynamic_stack 0
		.amdhsa_enable_private_segment 0
		.amdhsa_system_sgpr_workgroup_id_x 1
		.amdhsa_system_sgpr_workgroup_id_y 0
		.amdhsa_system_sgpr_workgroup_id_z 1
		.amdhsa_system_sgpr_workgroup_info 0
		.amdhsa_system_vgpr_workitem_id 0
		.amdhsa_next_free_vgpr 45
		.amdhsa_next_free_sgpr 90
		.amdhsa_reserve_vcc 1
		.amdhsa_float_round_mode_32 0
		.amdhsa_float_round_mode_16_64 0
		.amdhsa_float_denorm_mode_32 3
		.amdhsa_float_denorm_mode_16_64 3
		.amdhsa_fp16_overflow 0
		.amdhsa_workgroup_processor_mode 1
		.amdhsa_memory_ordered 1
		.amdhsa_forward_progress 1
		.amdhsa_inst_pref_size 46
		.amdhsa_round_robin_scheduling 0
		.amdhsa_exception_fp_ieee_invalid_op 0
		.amdhsa_exception_fp_denorm_src 0
		.amdhsa_exception_fp_ieee_div_zero 0
		.amdhsa_exception_fp_ieee_overflow 0
		.amdhsa_exception_fp_ieee_underflow 0
		.amdhsa_exception_fp_ieee_inexact 0
		.amdhsa_exception_int_div_zero 0
	.end_amdhsa_kernel
	.section	.text._ZN9rocsolver6v33100L11lasr_kernelI19rocblas_complex_numIfEfPS3_iEEv13rocblas_side_14rocblas_pivot_15rocblas_direct_T2_S8_PT0_lSA_lT1_lS8_lS8_,"axG",@progbits,_ZN9rocsolver6v33100L11lasr_kernelI19rocblas_complex_numIfEfPS3_iEEv13rocblas_side_14rocblas_pivot_15rocblas_direct_T2_S8_PT0_lSA_lT1_lS8_lS8_,comdat
.Lfunc_end56:
	.size	_ZN9rocsolver6v33100L11lasr_kernelI19rocblas_complex_numIfEfPS3_iEEv13rocblas_side_14rocblas_pivot_15rocblas_direct_T2_S8_PT0_lSA_lT1_lS8_lS8_, .Lfunc_end56-_ZN9rocsolver6v33100L11lasr_kernelI19rocblas_complex_numIfEfPS3_iEEv13rocblas_side_14rocblas_pivot_15rocblas_direct_T2_S8_PT0_lSA_lT1_lS8_lS8_
                                        ; -- End function
	.set _ZN9rocsolver6v33100L11lasr_kernelI19rocblas_complex_numIfEfPS3_iEEv13rocblas_side_14rocblas_pivot_15rocblas_direct_T2_S8_PT0_lSA_lT1_lS8_lS8_.num_vgpr, 45
	.set _ZN9rocsolver6v33100L11lasr_kernelI19rocblas_complex_numIfEfPS3_iEEv13rocblas_side_14rocblas_pivot_15rocblas_direct_T2_S8_PT0_lSA_lT1_lS8_lS8_.num_agpr, 0
	.set _ZN9rocsolver6v33100L11lasr_kernelI19rocblas_complex_numIfEfPS3_iEEv13rocblas_side_14rocblas_pivot_15rocblas_direct_T2_S8_PT0_lSA_lT1_lS8_lS8_.numbered_sgpr, 90
	.set _ZN9rocsolver6v33100L11lasr_kernelI19rocblas_complex_numIfEfPS3_iEEv13rocblas_side_14rocblas_pivot_15rocblas_direct_T2_S8_PT0_lSA_lT1_lS8_lS8_.num_named_barrier, 0
	.set _ZN9rocsolver6v33100L11lasr_kernelI19rocblas_complex_numIfEfPS3_iEEv13rocblas_side_14rocblas_pivot_15rocblas_direct_T2_S8_PT0_lSA_lT1_lS8_lS8_.private_seg_size, 0
	.set _ZN9rocsolver6v33100L11lasr_kernelI19rocblas_complex_numIfEfPS3_iEEv13rocblas_side_14rocblas_pivot_15rocblas_direct_T2_S8_PT0_lSA_lT1_lS8_lS8_.uses_vcc, 1
	.set _ZN9rocsolver6v33100L11lasr_kernelI19rocblas_complex_numIfEfPS3_iEEv13rocblas_side_14rocblas_pivot_15rocblas_direct_T2_S8_PT0_lSA_lT1_lS8_lS8_.uses_flat_scratch, 0
	.set _ZN9rocsolver6v33100L11lasr_kernelI19rocblas_complex_numIfEfPS3_iEEv13rocblas_side_14rocblas_pivot_15rocblas_direct_T2_S8_PT0_lSA_lT1_lS8_lS8_.has_dyn_sized_stack, 0
	.set _ZN9rocsolver6v33100L11lasr_kernelI19rocblas_complex_numIfEfPS3_iEEv13rocblas_side_14rocblas_pivot_15rocblas_direct_T2_S8_PT0_lSA_lT1_lS8_lS8_.has_recursion, 0
	.set _ZN9rocsolver6v33100L11lasr_kernelI19rocblas_complex_numIfEfPS3_iEEv13rocblas_side_14rocblas_pivot_15rocblas_direct_T2_S8_PT0_lSA_lT1_lS8_lS8_.has_indirect_call, 0
	.section	.AMDGPU.csdata,"",@progbits
; Kernel info:
; codeLenInByte = 5888
; TotalNumSgprs: 92
; NumVgprs: 45
; ScratchSize: 0
; MemoryBound: 0
; FloatMode: 240
; IeeeMode: 1
; LDSByteSize: 0 bytes/workgroup (compile time only)
; SGPRBlocks: 0
; VGPRBlocks: 5
; NumSGPRsForWavesPerEU: 92
; NumVGPRsForWavesPerEU: 45
; Occupancy: 16
; WaveLimiterHint : 0
; COMPUTE_PGM_RSRC2:SCRATCH_EN: 0
; COMPUTE_PGM_RSRC2:USER_SGPR: 2
; COMPUTE_PGM_RSRC2:TRAP_HANDLER: 0
; COMPUTE_PGM_RSRC2:TGID_X_EN: 1
; COMPUTE_PGM_RSRC2:TGID_Y_EN: 0
; COMPUTE_PGM_RSRC2:TGID_Z_EN: 1
; COMPUTE_PGM_RSRC2:TIDIG_COMP_CNT: 0
	.section	.text._ZN9rocsolver6v33100L11swap_kernelI19rocblas_complex_numIfEiEEvT0_PT_S4_S6_S4_,"axG",@progbits,_ZN9rocsolver6v33100L11swap_kernelI19rocblas_complex_numIfEiEEvT0_PT_S4_S6_S4_,comdat
	.globl	_ZN9rocsolver6v33100L11swap_kernelI19rocblas_complex_numIfEiEEvT0_PT_S4_S6_S4_ ; -- Begin function _ZN9rocsolver6v33100L11swap_kernelI19rocblas_complex_numIfEiEEvT0_PT_S4_S6_S4_
	.p2align	8
	.type	_ZN9rocsolver6v33100L11swap_kernelI19rocblas_complex_numIfEiEEvT0_PT_S4_S6_S4_,@function
_ZN9rocsolver6v33100L11swap_kernelI19rocblas_complex_numIfEiEEvT0_PT_S4_S6_S4_: ; @_ZN9rocsolver6v33100L11swap_kernelI19rocblas_complex_numIfEiEEvT0_PT_S4_S6_S4_
; %bb.0:
	s_load_b32 s12, s[0:1], 0x0
	s_wait_kmcnt 0x0
	s_cmp_lt_i32 s12, 1
	s_cbranch_scc1 .LBB57_10
; %bb.1:
	s_clause 0x3
	s_load_b32 s2, s[0:1], 0x34
	s_load_b96 s[4:6], s[0:1], 0x8
	s_load_b96 s[8:10], s[0:1], 0x18
	s_load_b32 s0, s[0:1], 0x28
	s_wait_kmcnt 0x0
	s_and_b32 s1, s2, 0xffff
	s_cmp_eq_u32 s6, 1
	v_mad_co_u64_u32 v[0:1], null, ttmp9, s1, v[0:1]
	s_cselect_b32 s3, -1, 0
	s_cmp_eq_u32 s10, 1
	s_mul_i32 s2, s0, s1
	s_cselect_b32 s7, -1, 0
	s_delay_alu instid0(SALU_CYCLE_1)
	s_and_b32 s1, s3, s7
	v_cmp_gt_i32_e64 s0, s12, v0
	s_wait_alu 0xfffe
	s_and_b32 vcc_lo, exec_lo, s1
	s_mov_b32 s1, -1
	s_cbranch_vccnz .LBB57_6
; %bb.2:
	s_and_saveexec_b32 s13, s0
	s_cbranch_execz .LBB57_5
; %bb.3:
	v_mad_co_i64_i32 v[1:2], null, s10, v0, 0
	v_mad_co_i64_i32 v[3:4], null, s6, v0, 0
	s_ashr_i32 s7, s6, 31
	s_ashr_i32 s11, s10, 31
	;; [unrolled: 1-line block ×3, first 2 shown]
	v_mov_b32_e32 v5, v0
	v_lshlrev_b64_e32 v[1:2], 3, v[1:2]
	s_wait_alu 0xfffe
	s_mul_u64 s[10:11], s[10:11], s[2:3]
	v_lshlrev_b64_e32 v[3:4], 3, v[3:4]
	s_mul_u64 s[14:15], s[6:7], s[2:3]
	s_wait_alu 0xfffe
	s_lshl_b64 s[6:7], s[10:11], 3
	s_lshl_b64 s[10:11], s[14:15], 3
	v_add_co_u32 v1, vcc_lo, s8, v1
	s_delay_alu instid0(VALU_DEP_1)
	v_add_co_ci_u32_e64 v2, null, s9, v2, vcc_lo
	v_add_co_u32 v3, vcc_lo, s4, v3
	s_wait_alu 0xfffd
	v_add_co_ci_u32_e64 v4, null, s5, v4, vcc_lo
	s_mov_b32 s3, 0
.LBB57_4:                               ; =>This Inner Loop Header: Depth=1
	global_load_b64 v[6:7], v[3:4], off
	global_load_b64 v[8:9], v[1:2], off
	v_add_nc_u32_e32 v5, s2, v5
	s_wait_loadcnt 0x1
	global_store_b64 v[1:2], v[6:7], off
	s_wait_loadcnt 0x0
	global_store_b64 v[3:4], v[8:9], off
	s_wait_alu 0xfffe
	v_add_co_u32 v1, s1, v1, s6
	v_cmp_le_i32_e32 vcc_lo, s12, v5
	s_wait_alu 0xf1ff
	v_add_co_ci_u32_e64 v2, null, s7, v2, s1
	v_add_co_u32 v3, s1, v3, s10
	s_wait_alu 0xf1ff
	v_add_co_ci_u32_e64 v4, null, s11, v4, s1
	s_or_b32 s3, vcc_lo, s3
	s_wait_alu 0xfffe
	s_and_not1_b32 exec_lo, exec_lo, s3
	s_cbranch_execnz .LBB57_4
.LBB57_5:
	s_wait_alu 0xfffe
	s_or_b32 exec_lo, exec_lo, s13
	s_mov_b32 s1, 0
.LBB57_6:
	s_wait_alu 0xfffe
	s_and_not1_b32 vcc_lo, exec_lo, s1
	s_wait_alu 0xfffe
	s_cbranch_vccnz .LBB57_10
; %bb.7:
	s_and_saveexec_b32 s1, s0
	s_cbranch_execz .LBB57_10
; %bb.8:
	v_ashrrev_i32_e32 v1, 31, v0
	s_ashr_i32 s3, s2, 31
	s_mov_b32 s1, 0
	s_wait_alu 0xfffe
	s_lshl_b64 s[6:7], s[2:3], 3
	v_lshlrev_b64_e32 v[1:2], 3, v[0:1]
.LBB57_9:                               ; =>This Inner Loop Header: Depth=1
	s_delay_alu instid0(VALU_DEP_1) | instskip(SKIP_1) | instid1(VALU_DEP_2)
	v_add_co_u32 v3, vcc_lo, s4, v1
	s_wait_alu 0xfffd
	v_add_co_ci_u32_e64 v4, null, s5, v2, vcc_lo
	v_add_co_u32 v5, vcc_lo, s8, v1
	s_wait_alu 0xfffd
	v_add_co_ci_u32_e64 v6, null, s9, v2, vcc_lo
	global_load_b64 v[7:8], v[3:4], off
	global_load_b64 v[9:10], v[5:6], off
	v_add_nc_u32_e32 v0, s2, v0
	s_wait_alu 0xfffe
	v_add_co_u32 v1, s0, v1, s6
	s_wait_alu 0xf1ff
	v_add_co_ci_u32_e64 v2, null, s7, v2, s0
	v_cmp_le_i32_e32 vcc_lo, s12, v0
	s_wait_loadcnt 0x1
	global_store_b64 v[5:6], v[7:8], off
	s_wait_loadcnt 0x0
	global_store_b64 v[3:4], v[9:10], off
	s_or_b32 s1, vcc_lo, s1
	s_wait_alu 0xfffe
	s_and_not1_b32 exec_lo, exec_lo, s1
	s_cbranch_execnz .LBB57_9
.LBB57_10:
	s_endpgm
	.section	.rodata,"a",@progbits
	.p2align	6, 0x0
	.amdhsa_kernel _ZN9rocsolver6v33100L11swap_kernelI19rocblas_complex_numIfEiEEvT0_PT_S4_S6_S4_
		.amdhsa_group_segment_fixed_size 0
		.amdhsa_private_segment_fixed_size 0
		.amdhsa_kernarg_size 296
		.amdhsa_user_sgpr_count 2
		.amdhsa_user_sgpr_dispatch_ptr 0
		.amdhsa_user_sgpr_queue_ptr 0
		.amdhsa_user_sgpr_kernarg_segment_ptr 1
		.amdhsa_user_sgpr_dispatch_id 0
		.amdhsa_user_sgpr_private_segment_size 0
		.amdhsa_wavefront_size32 1
		.amdhsa_uses_dynamic_stack 0
		.amdhsa_enable_private_segment 0
		.amdhsa_system_sgpr_workgroup_id_x 1
		.amdhsa_system_sgpr_workgroup_id_y 0
		.amdhsa_system_sgpr_workgroup_id_z 0
		.amdhsa_system_sgpr_workgroup_info 0
		.amdhsa_system_vgpr_workitem_id 0
		.amdhsa_next_free_vgpr 11
		.amdhsa_next_free_sgpr 16
		.amdhsa_reserve_vcc 1
		.amdhsa_float_round_mode_32 0
		.amdhsa_float_round_mode_16_64 0
		.amdhsa_float_denorm_mode_32 3
		.amdhsa_float_denorm_mode_16_64 3
		.amdhsa_fp16_overflow 0
		.amdhsa_workgroup_processor_mode 1
		.amdhsa_memory_ordered 1
		.amdhsa_forward_progress 1
		.amdhsa_inst_pref_size 5
		.amdhsa_round_robin_scheduling 0
		.amdhsa_exception_fp_ieee_invalid_op 0
		.amdhsa_exception_fp_denorm_src 0
		.amdhsa_exception_fp_ieee_div_zero 0
		.amdhsa_exception_fp_ieee_overflow 0
		.amdhsa_exception_fp_ieee_underflow 0
		.amdhsa_exception_fp_ieee_inexact 0
		.amdhsa_exception_int_div_zero 0
	.end_amdhsa_kernel
	.section	.text._ZN9rocsolver6v33100L11swap_kernelI19rocblas_complex_numIfEiEEvT0_PT_S4_S6_S4_,"axG",@progbits,_ZN9rocsolver6v33100L11swap_kernelI19rocblas_complex_numIfEiEEvT0_PT_S4_S6_S4_,comdat
.Lfunc_end57:
	.size	_ZN9rocsolver6v33100L11swap_kernelI19rocblas_complex_numIfEiEEvT0_PT_S4_S6_S4_, .Lfunc_end57-_ZN9rocsolver6v33100L11swap_kernelI19rocblas_complex_numIfEiEEvT0_PT_S4_S6_S4_
                                        ; -- End function
	.set _ZN9rocsolver6v33100L11swap_kernelI19rocblas_complex_numIfEiEEvT0_PT_S4_S6_S4_.num_vgpr, 11
	.set _ZN9rocsolver6v33100L11swap_kernelI19rocblas_complex_numIfEiEEvT0_PT_S4_S6_S4_.num_agpr, 0
	.set _ZN9rocsolver6v33100L11swap_kernelI19rocblas_complex_numIfEiEEvT0_PT_S4_S6_S4_.numbered_sgpr, 16
	.set _ZN9rocsolver6v33100L11swap_kernelI19rocblas_complex_numIfEiEEvT0_PT_S4_S6_S4_.num_named_barrier, 0
	.set _ZN9rocsolver6v33100L11swap_kernelI19rocblas_complex_numIfEiEEvT0_PT_S4_S6_S4_.private_seg_size, 0
	.set _ZN9rocsolver6v33100L11swap_kernelI19rocblas_complex_numIfEiEEvT0_PT_S4_S6_S4_.uses_vcc, 1
	.set _ZN9rocsolver6v33100L11swap_kernelI19rocblas_complex_numIfEiEEvT0_PT_S4_S6_S4_.uses_flat_scratch, 0
	.set _ZN9rocsolver6v33100L11swap_kernelI19rocblas_complex_numIfEiEEvT0_PT_S4_S6_S4_.has_dyn_sized_stack, 0
	.set _ZN9rocsolver6v33100L11swap_kernelI19rocblas_complex_numIfEiEEvT0_PT_S4_S6_S4_.has_recursion, 0
	.set _ZN9rocsolver6v33100L11swap_kernelI19rocblas_complex_numIfEiEEvT0_PT_S4_S6_S4_.has_indirect_call, 0
	.section	.AMDGPU.csdata,"",@progbits
; Kernel info:
; codeLenInByte = 580
; TotalNumSgprs: 18
; NumVgprs: 11
; ScratchSize: 0
; MemoryBound: 0
; FloatMode: 240
; IeeeMode: 1
; LDSByteSize: 0 bytes/workgroup (compile time only)
; SGPRBlocks: 0
; VGPRBlocks: 1
; NumSGPRsForWavesPerEU: 18
; NumVGPRsForWavesPerEU: 11
; Occupancy: 16
; WaveLimiterHint : 0
; COMPUTE_PGM_RSRC2:SCRATCH_EN: 0
; COMPUTE_PGM_RSRC2:USER_SGPR: 2
; COMPUTE_PGM_RSRC2:TRAP_HANDLER: 0
; COMPUTE_PGM_RSRC2:TGID_X_EN: 1
; COMPUTE_PGM_RSRC2:TGID_Y_EN: 0
; COMPUTE_PGM_RSRC2:TGID_Z_EN: 0
; COMPUTE_PGM_RSRC2:TIDIG_COMP_CNT: 0
	.section	.text._ZN9rocsolver6v33100L12steqr_kernelI19rocblas_complex_numIfEfPS3_EEviPT0_lS6_lT1_iilPiS6_iS5_S5_S5_,"axG",@progbits,_ZN9rocsolver6v33100L12steqr_kernelI19rocblas_complex_numIfEfPS3_EEviPT0_lS6_lT1_iilPiS6_iS5_S5_S5_,comdat
	.globl	_ZN9rocsolver6v33100L12steqr_kernelI19rocblas_complex_numIfEfPS3_EEviPT0_lS6_lT1_iilPiS6_iS5_S5_S5_ ; -- Begin function _ZN9rocsolver6v33100L12steqr_kernelI19rocblas_complex_numIfEfPS3_EEviPT0_lS6_lT1_iilPiS6_iS5_S5_S5_
	.p2align	8
	.type	_ZN9rocsolver6v33100L12steqr_kernelI19rocblas_complex_numIfEfPS3_EEviPT0_lS6_lT1_iilPiS6_iS5_S5_S5_,@function
_ZN9rocsolver6v33100L12steqr_kernelI19rocblas_complex_numIfEfPS3_EEviPT0_lS6_lT1_iilPiS6_iS5_S5_S5_: ; @_ZN9rocsolver6v33100L12steqr_kernelI19rocblas_complex_numIfEfPS3_EEviPT0_lS6_lT1_iilPiS6_iS5_S5_S5_
; %bb.0:
	s_clause 0x1
	s_load_b32 s2, s[0:1], 0x6c
	s_load_b32 s3, s[0:1], 0x60
	s_mov_b32 s28, ttmp7
	s_wait_kmcnt 0x0
	s_and_b32 s7, s2, 0xffff
	s_delay_alu instid0(SALU_CYCLE_1) | instskip(NEXT) | instid1(VALU_DEP_1)
	v_mad_co_u64_u32 v[0:1], null, ttmp9, s7, v[0:1]
	v_cmp_eq_u32_e64 s2, 0, v0
	s_and_saveexec_b32 s4, s2
; %bb.1:
	v_mov_b32_e32 v1, 0
	ds_store_2addr_b32 v1, v1, v1 offset0:3 offset1:7
; %bb.2:
	s_or_b32 exec_lo, exec_lo, s4
	v_mov_b32_e32 v36, 0
	s_load_b32 s6, s[0:1], 0x0
	s_wait_dscnt 0x0
	s_barrier_signal -1
	s_barrier_wait -1
	global_inv scope:SCOPE_SE
	ds_load_2addr_b32 v[1:2], v36 offset0:3 offset1:7
	s_clause 0x3
	s_load_b128 s[24:27], s[0:1], 0x50
	s_load_b256 s[16:23], s[0:1], 0x8
	s_load_b256 s[8:15], s[0:1], 0x28
	s_load_b64 s[4:5], s[0:1], 0x48
	s_ashr_i32 s29, s28, 31
	s_mul_i32 s34, s3, s7
	s_wait_kmcnt 0x0
	s_add_co_i32 s36, s6, -1
	s_mul_u64 s[18:19], s[18:19], s[28:29]
	s_wait_dscnt 0x0
	v_cmp_gt_i32_e32 vcc_lo, s6, v1
	v_cmp_gt_i32_e64 s0, s24, v2
	v_readfirstlane_b32 s74, v1
	s_lshl_b64 s[30:31], s[18:19], 2
	s_mul_u64 s[38:39], s[22:23], s[28:29]
	s_add_nc_u64 s[18:19], s[16:17], s[30:31]
	s_and_b32 s0, vcc_lo, s0
	s_ashr_i32 s23, s10, 31
	s_mov_b32 s22, s10
	s_mul_u64 s[12:13], s[12:13], s[28:29]
	s_wait_alu 0xfffe
	s_and_not1_b32 vcc_lo, exec_lo, s0
	s_cbranch_vccnz .LBB58_223
; %bb.3:
	s_lshl_b32 s0, s6, 1
	s_ashr_i32 s7, s6, 31
	s_wait_alu 0xfffe
	s_ashr_i32 s1, s0, 31
	v_ashrrev_i32_e32 v1, 31, v0
	s_wait_alu 0xfffe
	s_mul_u64 s[0:1], s[0:1], s[28:29]
	s_lshl_b64 s[50:51], s[6:7], 2
	s_wait_alu 0xfffe
	s_lshl_b64 s[54:55], s[0:1], 2
	s_lshl_b64 s[60:61], s[12:13], 3
	s_add_nc_u64 s[44:45], s[4:5], s[54:55]
	s_add_nc_u64 s[54:55], s[54:55], s[50:51]
	s_lshl_b64 s[62:63], s[22:23], 3
	s_add_nc_u64 s[4:5], s[4:5], s[54:55]
	v_lshlrev_b64_e32 v[1:2], 3, v[0:1]
	s_add_nc_u64 s[56:57], s[4:5], -8
	s_add_nc_u64 s[4:5], s[60:61], s[62:63]
	s_lshl_b64 s[40:41], s[38:39], 2
	s_add_nc_u64 s[4:5], s[8:9], s[4:5]
	s_ashr_i32 s47, s11, 31
	v_add_co_u32 v1, vcc_lo, s4, v1
	s_delay_alu instid0(VALU_DEP_1)
	v_add_co_ci_u32_e64 v2, null, s5, v2, vcc_lo
	s_mov_b32 s46, s11
	v_add_co_u32 v37, vcc_lo, v1, 4
	v_cmp_gt_i32_e64 s0, s6, v0
	s_wait_alu 0xfffd
	v_add_co_ci_u32_e64 v38, null, 0, v2, vcc_lo
	s_mul_f32 s10, s25, s25
	s_add_nc_u64 s[40:41], s[20:21], s[40:41]
	s_add_nc_u64 s[42:43], s[8:9], s[60:61]
	;; [unrolled: 1-line block ×3, first 2 shown]
	s_ashr_i32 s35, s34, 31
	s_lshl_b64 s[64:65], s[46:47], 3
	s_mov_b32 s72, 0x667f3bcd
	s_add_nc_u64 s[42:43], s[42:43], s[62:63]
	s_add_nc_u64 s[52:53], s[48:49], 4
	s_lshl_b64 s[54:55], s[34:35], 2
	s_add_nc_u64 s[58:59], s[44:45], -4
	s_add_nc_u64 s[60:61], s[40:41], -4
	;; [unrolled: 1-line block ×3, first 2 shown]
	s_lshl_b64 s[66:67], s[34:35], 3
	s_sub_nc_u64 s[68:69], 0, s[64:65]
	s_add_nc_u64 s[70:71], s[48:49], -4
	s_mov_b32 s5, 0
	s_mov_b32 s73, 0x3ff6a09e
                                        ; implicit-def: $vgpr41
                                        ; implicit-def: $vgpr9_vgpr10
                                        ; implicit-def: $vgpr11_vgpr12
                                        ; implicit-def: $vgpr13_vgpr14
                                        ; implicit-def: $vgpr1_vgpr2
                                        ; implicit-def: $vgpr40
                                        ; implicit-def: $vgpr7_vgpr8
                                        ; implicit-def: $vgpr39
                                        ; implicit-def: $vgpr3_vgpr4
                                        ; implicit-def: $vgpr5_vgpr6
	s_branch .LBB58_7
.LBB58_4:                               ;   in Loop: Header=BB58_7 Depth=1
	s_wait_alu 0xfffe
	s_or_b32 exec_lo, exec_lo, s3
.LBB58_5:                               ;   in Loop: Header=BB58_7 Depth=1
	s_wait_loadcnt 0x0
	s_wait_storecnt 0x0
	s_barrier_signal -1
	s_barrier_wait -1
	global_inv scope:SCOPE_SE
.LBB58_6:                               ;   in Loop: Header=BB58_7 Depth=1
	ds_load_2addr_b32 v[15:16], v36 offset0:3 offset1:7
	s_wait_dscnt 0x0
	v_cmp_gt_i32_e32 vcc_lo, s6, v15
	v_cmp_gt_i32_e64 s1, s24, v16
	v_readfirstlane_b32 s74, v15
	s_and_b32 s1, vcc_lo, s1
	s_wait_alu 0xfffe
	s_and_not1_b32 vcc_lo, exec_lo, s1
	s_wait_alu 0xfffe
	s_cbranch_vccnz .LBB58_223
.LBB58_7:                               ; =>This Loop Header: Depth=1
                                        ;     Child Loop BB58_15 Depth 2
                                        ;     Child Loop BB58_28 Depth 2
	;; [unrolled: 1-line block ×5, first 2 shown]
                                        ;       Child Loop BB58_153 Depth 3
                                        ;       Child Loop BB58_173 Depth 3
	;; [unrolled: 1-line block ×3, first 2 shown]
                                        ;         Child Loop BB58_221 Depth 4
                                        ;     Child Loop BB58_68 Depth 2
                                        ;       Child Loop BB58_75 Depth 3
                                        ;       Child Loop BB58_95 Depth 3
	;; [unrolled: 1-line block ×3, first 2 shown]
                                        ;         Child Loop BB58_143 Depth 4
                                        ;     Child Loop BB58_58 Depth 2
                                        ;     Child Loop BB58_65 Depth 2
	s_and_saveexec_b32 s3, s2
	s_cbranch_execz .LBB58_31
; %bb.8:                                ;   in Loop: Header=BB58_7 Depth=1
	s_cmp_lt_i32 s74, 1
	s_cbranch_scc1 .LBB58_10
; %bb.9:                                ;   in Loop: Header=BB58_7 Depth=1
	s_wait_alu 0xfffe
	s_mov_b32 s75, s5
	s_wait_alu 0xfffe
	s_lshl_b64 s[76:77], s[74:75], 2
	s_wait_alu 0xfffe
	s_add_nc_u64 s[76:77], s[40:41], s[76:77]
	global_store_b32 v36, v36, s[76:77] offset:-4
.LBB58_10:                              ;   in Loop: Header=BB58_7 Depth=1
	s_mov_b32 s7, -1
	s_mov_b32 s4, 0
	s_cmp_lt_i32 s74, s36
	s_mov_b32 s1, 0
	s_cbranch_scc1 .LBB58_12
; %bb.11:                               ;   in Loop: Header=BB58_7 Depth=1
	s_ashr_i32 s75, s74, 31
	s_mov_b32 s7, 0
	s_mov_b32 s1, -1
.LBB58_12:                              ;   in Loop: Header=BB58_7 Depth=1
	s_wait_alu 0xfffe
	s_and_not1_b32 vcc_lo, exec_lo, s7
	s_wait_alu 0xfffe
	s_cbranch_vccnz .LBB58_17
; %bb.13:                               ;   in Loop: Header=BB58_7 Depth=1
	s_ashr_i32 s75, s74, 31
	s_wait_alu 0xfffe
	s_lshl_b64 s[76:77], s[74:75], 2
	s_mov_b64 s[80:81], s[74:75]
	s_wait_alu 0xfffe
	s_add_nc_u64 s[84:85], s[40:41], s[76:77]
	s_add_nc_u64 s[78:79], s[52:53], s[76:77]
	s_branch .LBB58_15
.LBB58_14:                              ;   in Loop: Header=BB58_15 Depth=2
	s_wait_alu 0xfffe
	s_and_not1_b32 vcc_lo, exec_lo, s7
	s_wait_alu 0xfffe
	s_cbranch_vccz .LBB58_18
.LBB58_15:                              ;   Parent Loop BB58_7 Depth=1
                                        ; =>  This Inner Loop Header: Depth=2
	s_clause 0x1
	global_load_b64 v[9:10], v36, s[78:79] offset:-4
	global_load_b32 v11, v36, s[84:85]
	s_mov_b64 s[76:77], s[84:85]
	s_wait_loadcnt 0x1
	v_readfirstlane_b32 s4, v10
	s_bitset0_b32 s4, 31
	s_wait_alu 0xfffe
	s_mul_f32 s7, s4, 0x4f800000
	s_cmp_lt_f32 s4, 0xf800000
	s_wait_alu 0xfffe
	s_delay_alu instid0(SALU_CYCLE_1) | instskip(SKIP_3) | instid1(TRANS32_DEP_1)
	s_cselect_b32 s7, s7, s4
	s_wait_alu 0xfffe
	v_s_sqrt_f32 s33, s7
	s_mov_b32 s37, s7
	s_add_co_i32 s35, s33, -1
	s_wait_alu 0xfffe
	s_xor_b32 s82, s35, 0x80000000
	s_wait_alu 0xfffe
	s_fmac_f32 s37, s82, s33
	s_mov_b32 s82, s7
	s_delay_alu instid0(SALU_CYCLE_2) | instskip(SKIP_2) | instid1(SALU_CYCLE_1)
	s_cmp_le_f32 s37, 0
	s_cselect_b32 s35, s35, s33
	s_add_co_i32 s37, s33, 1
	s_xor_b32 s83, s37, 0x80000000
	s_wait_alu 0xfffe
	s_fmac_f32 s82, s83, s33
	v_readfirstlane_b32 s33, v9
	s_wait_loadcnt 0x0
	v_and_b32_e32 v9, 0x7fffffff, v11
	s_wait_alu 0xfffe
	s_cmp_gt_f32 s82, 0
	s_cselect_b32 s35, s37, s35
	s_cmp_lt_f32 s4, 0xf800000
	s_wait_alu 0xfffe
	s_mul_f32 s4, s35, 0x37800000
	s_wait_alu 0xfffe
	s_delay_alu instid0(SALU_CYCLE_2) | instskip(SKIP_1) | instid1(SALU_CYCLE_1)
	s_cselect_b32 s4, s4, s35
	s_bitset0_b32 s33, 31
	s_mul_f32 s35, s33, 0x4f800000
	s_cmp_lt_f32 s33, 0xf800000
	s_wait_alu 0xfffe
	s_delay_alu instid0(SALU_CYCLE_1) | instskip(SKIP_3) | instid1(TRANS32_DEP_1)
	s_cselect_b32 s35, s35, s33
	s_wait_alu 0xfffe
	v_s_sqrt_f32 s37, s35
	s_mov_b32 s83, s35
	s_add_co_i32 s82, s37, -1
	s_wait_alu 0xfffe
	s_xor_b32 s84, s82, 0x80000000
	s_delay_alu instid0(SALU_CYCLE_1) | instskip(SKIP_2) | instid1(SALU_CYCLE_1)
	s_fmac_f32 s83, s84, s37
	s_mov_b32 s84, s35
	s_wait_alu 0xfffe
	s_cmp_le_f32 s83, 0
	s_cselect_b32 s82, s82, s37
	s_add_co_i32 s83, s37, 1
	s_wait_alu 0xfffe
	s_xor_b32 s85, s83, 0x80000000
	s_delay_alu instid0(SALU_CYCLE_1) | instskip(SKIP_1) | instid1(SALU_CYCLE_2)
	s_fmac_f32 s84, s85, s37
	v_cmp_class_f32_e64 s37, s35, 0x260
	s_cmp_gt_f32 s84, 0
                                        ; implicit-def: $sgpr84_sgpr85
	s_cselect_b32 s82, s83, s82
	s_cmp_lt_f32 s33, 0xf800000
	s_wait_alu 0xfffe
	s_mul_f32 s33, s82, 0x37800000
	v_cmp_class_f32_e64 s83, s7, 0x260
	s_delay_alu instid0(SALU_CYCLE_2)
	s_cselect_b32 s33, s33, s82
	s_and_b32 s37, s37, exec_lo
	s_cselect_b32 s33, s35, s33
	s_and_b32 s35, s83, exec_lo
	s_cselect_b32 s4, s7, s4
	s_mov_b64 s[82:83], s[80:81]
	s_wait_alu 0xfffe
	s_mul_f32 s4, s33, s4
	s_mov_b32 s7, -1
                                        ; implicit-def: $sgpr80_sgpr81
	s_wait_alu 0xfffe
	s_delay_alu instid0(SALU_CYCLE_1) | instskip(SKIP_1) | instid1(SALU_CYCLE_2)
	s_mul_f32 s4, s25, s4
	s_wait_alu 0xfffe
	v_cmp_nge_f32_e32 vcc_lo, s4, v9
	s_mov_b32 s4, -1
	s_cbranch_vccz .LBB58_14
; %bb.16:                               ;   in Loop: Header=BB58_15 Depth=2
	s_add_nc_u64 s[80:81], s[82:83], 1
	s_add_nc_u64 s[84:85], s[76:77], 4
	s_wait_alu 0xfffe
	s_cmp_ge_i32 s80, s36
	s_add_nc_u64 s[78:79], s[78:79], 4
	s_mov_b32 s4, 0
	s_cselect_b32 s7, -1, 0
	s_branch .LBB58_14
.LBB58_17:                              ;   in Loop: Header=BB58_7 Depth=1
	s_mov_b32 s7, s74
	s_mov_b64 s[78:79], s[74:75]
	s_and_b32 vcc_lo, exec_lo, s1
	s_wait_alu 0xfffe
	s_cbranch_vccnz .LBB58_21
	s_branch .LBB58_22
.LBB58_18:                              ;   in Loop: Header=BB58_7 Depth=1
	s_xor_b32 s4, s4, -1
                                        ; implicit-def: $sgpr78_sgpr79
	s_wait_alu 0xfffe
	s_and_b32 vcc_lo, exec_lo, s4
	s_mov_b32 s4, -1
	s_wait_alu 0xfffe
	s_cbranch_vccz .LBB58_20
; %bb.19:                               ;   in Loop: Header=BB58_7 Depth=1
	s_ashr_i32 s37, s36, 31
	s_mov_b32 s1, -1
	s_mov_b32 s4, 0
	s_mov_b64 s[78:79], s[36:37]
.LBB58_20:                              ;   in Loop: Header=BB58_7 Depth=1
	v_mov_b32_e32 v9, s82
	v_mov_b32_e32 v11, s76
	;; [unrolled: 1-line block ×3, first 2 shown]
	v_dual_mov_b32 v41, s82 :: v_dual_mov_b32 v10, s83
	v_mov_b32_e32 v12, s77
	v_mov_b32_e32 v14, s75
	s_mov_b32 s7, s36
	s_wait_alu 0xfffe
	s_and_b32 vcc_lo, exec_lo, s1
	s_wait_alu 0xfffe
	s_cbranch_vccz .LBB58_22
.LBB58_21:                              ;   in Loop: Header=BB58_7 Depth=1
	v_mov_b32_e32 v15, s7
	ds_store_b32 v36, v15 offset:4
.LBB58_22:                              ;   in Loop: Header=BB58_7 Depth=1
	v_dual_mov_b32 v15, s74 :: v_dual_mov_b32 v16, s75
	v_dual_mov_b32 v17, s78 :: v_dual_mov_b32 v18, s79
	v_mov_b32_e32 v19, s7
	s_and_not1_b32 vcc_lo, exec_lo, s4
	s_wait_alu 0xfffe
	s_cbranch_vccnz .LBB58_24
; %bb.23:                               ;   in Loop: Header=BB58_7 Depth=1
	v_dual_mov_b32 v16, v14 :: v_dual_mov_b32 v15, v13
	v_dual_mov_b32 v18, v10 :: v_dual_mov_b32 v17, v9
	v_mov_b32_e32 v19, v41
	ds_store_b32 v36, v41 offset:4
	global_store_b32 v[11:12], v36, off
.LBB58_24:                              ;   in Loop: Header=BB58_7 Depth=1
	v_lshlrev_b64_e32 v[20:21], 2, v[17:18]
	v_lshlrev_b64_e32 v[17:18], 2, v[15:16]
	v_mov_b32_e32 v22, s74
	s_mov_b32 s1, exec_lo
	s_delay_alu instid0(VALU_DEP_3)
	v_add_co_u32 v15, vcc_lo, s18, v20
	s_wait_alu 0xfffd
	v_add_co_ci_u32_e64 v16, null, s19, v21, vcc_lo
	v_add_co_u32 v20, vcc_lo, s18, v17
	s_wait_alu 0xfffd
	v_add_co_ci_u32_e64 v21, null, s19, v18, vcc_lo
	s_clause 0x1
	global_load_b32 v15, v[15:16], off
	global_load_b32 v16, v[20:21], off
	v_dual_mov_b32 v20, s74 :: v_dual_add_nc_u32 v21, 1, v19
	ds_store_2addr_b32 v36, v20, v19 offset1:5
	ds_store_b32 v36, v19 offset:32
	ds_store_2addr_b32 v36, v21, v22 offset0:3 offset1:4
	s_wait_loadcnt 0x0
	v_cmpx_lt_f32_e64 |v15|, |v16|
; %bb.25:                               ;   in Loop: Header=BB58_7 Depth=1
	v_mov_b32_e32 v16, s74
	ds_store_2addr_b32 v36, v19, v16 offset1:5
; %bb.26:                               ;   in Loop: Header=BB58_7 Depth=1
	s_wait_alu 0xfffe
	s_or_b32 exec_lo, exec_lo, s1
	v_and_b32_e32 v20, 0x7fffffff, v15
	s_mov_b32 s4, exec_lo
	v_cmpx_lt_i32_e64 s74, v19
	s_cbranch_execz .LBB58_30
; %bb.27:                               ;   in Loop: Header=BB58_7 Depth=1
	v_add_co_u32 v15, vcc_lo, s48, v17
	s_wait_alu 0xfffd
	v_add_co_ci_u32_e64 v16, null, s49, v18, vcc_lo
	v_add_co_u32 v17, vcc_lo, s40, v17
	s_wait_alu 0xfffd
	v_add_co_ci_u32_e64 v18, null, s41, v18, vcc_lo
	s_mov_b32 s7, 0
.LBB58_28:                              ;   Parent Loop BB58_7 Depth=1
                                        ; =>  This Inner Loop Header: Depth=2
	global_load_b32 v21, v[15:16], off
	global_load_b32 v22, v[17:18], off
	s_add_co_i32 s74, s74, 1
	v_add_co_u32 v15, vcc_lo, v15, 4
	s_wait_alu 0xfffd
	v_add_co_ci_u32_e64 v16, null, 0, v16, vcc_lo
	v_add_co_u32 v17, vcc_lo, v17, 4
	s_wait_alu 0xfffe
	v_cmp_ge_i32_e64 s1, s74, v19
	s_wait_alu 0xfffd
	v_add_co_ci_u32_e64 v18, null, 0, v18, vcc_lo
	s_or_b32 s7, s1, s7
	s_wait_loadcnt 0x0
	v_max3_num_f32 v20, v20, |v21|, |v22|
	s_wait_alu 0xfffe
	s_and_not1_b32 exec_lo, exec_lo, s7
	s_cbranch_execnz .LBB58_28
; %bb.29:                               ;   in Loop: Header=BB58_7 Depth=1
	s_or_b32 exec_lo, exec_lo, s7
.LBB58_30:                              ;   in Loop: Header=BB58_7 Depth=1
	s_wait_alu 0xfffe
	s_or_b32 exec_lo, exec_lo, s4
	ds_store_b32 v36, v20 offset:24
.LBB58_31:                              ;   in Loop: Header=BB58_7 Depth=1
	s_wait_alu 0xfffe
	s_or_b32 exec_lo, exec_lo, s3
	s_wait_storecnt 0x0
	s_wait_loadcnt_dscnt 0x0
	s_barrier_signal -1
	s_barrier_wait -1
	global_inv scope:SCOPE_SE
	ds_load_2addr_b32 v[15:16], v36 offset0:5 offset1:6
	ds_load_b32 v17, v36
	s_wait_dscnt 0x1
	v_readfirstlane_b32 s3, v16
	v_readfirstlane_b32 s1, v15
	s_cmp_eq_f32 s3, 0
	s_wait_dscnt 0x0
	v_cmp_eq_u32_e32 vcc_lo, s1, v17
	s_cselect_b32 s1, -1, 0
	s_wait_alu 0xfffe
	s_or_b32 s1, vcc_lo, s1
	s_wait_alu 0xfffe
	s_and_b32 vcc_lo, exec_lo, s1
	s_wait_alu 0xfffe
	s_cbranch_vccnz .LBB58_6
; %bb.32:                               ;   in Loop: Header=BB58_7 Depth=1
	s_cmp_ngt_f32 s3, s27
	s_mov_b32 s1, -1
	s_cbranch_scc0 .LBB58_41
; %bb.33:                               ;   in Loop: Header=BB58_7 Depth=1
	s_cmp_nlt_f32 s3, s26
	s_cbranch_scc1 .LBB58_40
; %bb.34:                               ;   in Loop: Header=BB58_7 Depth=1
	v_div_scale_f32 v15, null, s26, s26, s3
	v_div_scale_f32 v19, vcc_lo, s3, s26, s3
	s_delay_alu instid0(VALU_DEP_2)
	v_rcp_f32_e32 v17, v15
	v_xor_b32_e32 v18, 0x80000000, v15
	s_delay_alu instid0(TRANS32_DEP_1) | instid1(VALU_DEP_1)
	v_fma_f32 v15, v18, v17, 1.0
	s_delay_alu instid0(VALU_DEP_1) | instskip(SKIP_2) | instid1(VALU_DEP_1)
	v_fmac_f32_e32 v17, v15, v17
	ds_load_2addr_b32 v[15:16], v36 offset0:4 offset1:8
	v_mul_f32_e32 v20, v19, v17
	v_fma_f32 v21, v18, v20, v19
	s_delay_alu instid0(VALU_DEP_1) | instskip(NEXT) | instid1(VALU_DEP_1)
	v_fmac_f32_e32 v20, v21, v17
	v_fmac_f32_e32 v19, v18, v20
	s_wait_alu 0xfffd
	s_delay_alu instid0(VALU_DEP_1) | instskip(NEXT) | instid1(VALU_DEP_1)
	v_div_fmas_f32 v17, v19, v17, v20
	v_div_fixup_f32 v20, v17, s26, s3
	s_and_saveexec_b32 s1, s2
	s_cbranch_execz .LBB58_36
; %bb.35:                               ;   in Loop: Header=BB58_7 Depth=1
	s_wait_dscnt 0x0
	v_ashrrev_i32_e32 v18, 31, v16
	v_mov_b32_e32 v17, v16
	s_delay_alu instid0(VALU_DEP_1) | instskip(NEXT) | instid1(VALU_DEP_1)
	v_lshlrev_b64_e32 v[17:18], 2, v[17:18]
	v_add_co_u32 v17, vcc_lo, s18, v17
	s_wait_alu 0xfffd
	s_delay_alu instid0(VALU_DEP_2)
	v_add_co_ci_u32_e64 v18, null, s19, v18, vcc_lo
	global_load_b32 v19, v[17:18], off
	s_wait_loadcnt 0x0
	v_mul_f32_e32 v19, v20, v19
	global_store_b32 v[17:18], v19, off
.LBB58_36:                              ;   in Loop: Header=BB58_7 Depth=1
	s_wait_alu 0xfffe
	s_or_b32 exec_lo, exec_lo, s1
	s_wait_dscnt 0x0
	v_add_nc_u32_e32 v17, v15, v0
	s_mov_b32 s4, exec_lo
	s_delay_alu instid0(VALU_DEP_1)
	v_cmpx_lt_i32_e64 v17, v16
	s_cbranch_execz .LBB58_39
; %bb.37:                               ;   in Loop: Header=BB58_7 Depth=1
	v_ashrrev_i32_e32 v18, 31, v17
	s_mov_b32 s7, 0
	s_delay_alu instid0(VALU_DEP_1)
	v_lshlrev_b64_e32 v[18:19], 2, v[17:18]
.LBB58_38:                              ;   Parent Loop BB58_7 Depth=1
                                        ; =>  This Inner Loop Header: Depth=2
	s_delay_alu instid0(VALU_DEP_1) | instskip(SKIP_1) | instid1(VALU_DEP_2)
	v_add_co_u32 v21, vcc_lo, s18, v18
	s_wait_alu 0xfffd
	v_add_co_ci_u32_e64 v22, null, s19, v19, vcc_lo
	v_add_co_u32 v23, vcc_lo, s40, v18
	s_wait_alu 0xfffd
	v_add_co_ci_u32_e64 v24, null, s41, v19, vcc_lo
	global_load_b32 v15, v[21:22], off
	v_add_nc_u32_e32 v17, s34, v17
	v_add_co_u32 v18, vcc_lo, v18, s54
	s_wait_alu 0xfffd
	v_add_co_ci_u32_e64 v19, null, s55, v19, vcc_lo
	s_delay_alu instid0(VALU_DEP_3)
	v_cmp_ge_i32_e64 s1, v17, v16
	s_wait_alu 0xfffe
	s_or_b32 s7, s1, s7
	s_wait_loadcnt 0x0
	v_mul_f32_e32 v15, v20, v15
	global_store_b32 v[21:22], v15, off
	global_load_b32 v15, v[23:24], off
	s_wait_loadcnt 0x0
	v_mul_f32_e32 v15, v20, v15
	global_store_b32 v[23:24], v15, off
	s_wait_alu 0xfffe
	s_and_not1_b32 exec_lo, exec_lo, s7
	s_cbranch_execnz .LBB58_38
.LBB58_39:                              ;   in Loop: Header=BB58_7 Depth=1
	s_wait_alu 0xfffe
	s_or_b32 exec_lo, exec_lo, s4
.LBB58_40:                              ;   in Loop: Header=BB58_7 Depth=1
	s_mov_b32 s1, 0
.LBB58_41:                              ;   in Loop: Header=BB58_7 Depth=1
	s_wait_alu 0xfffe
	s_and_not1_b32 vcc_lo, exec_lo, s1
	s_wait_alu 0xfffe
	s_cbranch_vccnz .LBB58_48
; %bb.42:                               ;   in Loop: Header=BB58_7 Depth=1
	v_div_scale_f32 v15, null, s27, s27, s3
	v_div_scale_f32 v19, vcc_lo, s3, s27, s3
	s_delay_alu instid0(VALU_DEP_2)
	v_rcp_f32_e32 v17, v15
	v_xor_b32_e32 v18, 0x80000000, v15
	s_delay_alu instid0(TRANS32_DEP_1) | instid1(VALU_DEP_1)
	v_fma_f32 v15, v18, v17, 1.0
	s_delay_alu instid0(VALU_DEP_1) | instskip(SKIP_2) | instid1(VALU_DEP_1)
	v_fmac_f32_e32 v17, v15, v17
	ds_load_2addr_b32 v[15:16], v36 offset0:4 offset1:8
	v_mul_f32_e32 v20, v19, v17
	v_fma_f32 v21, v18, v20, v19
	s_delay_alu instid0(VALU_DEP_1) | instskip(NEXT) | instid1(VALU_DEP_1)
	v_fmac_f32_e32 v20, v21, v17
	v_fmac_f32_e32 v19, v18, v20
	s_wait_alu 0xfffd
	s_delay_alu instid0(VALU_DEP_1) | instskip(NEXT) | instid1(VALU_DEP_1)
	v_div_fmas_f32 v17, v19, v17, v20
	v_div_fixup_f32 v20, v17, s27, s3
	s_and_saveexec_b32 s1, s2
	s_cbranch_execz .LBB58_44
; %bb.43:                               ;   in Loop: Header=BB58_7 Depth=1
	s_wait_dscnt 0x0
	v_ashrrev_i32_e32 v18, 31, v16
	v_mov_b32_e32 v17, v16
	s_delay_alu instid0(VALU_DEP_1) | instskip(NEXT) | instid1(VALU_DEP_1)
	v_lshlrev_b64_e32 v[17:18], 2, v[17:18]
	v_add_co_u32 v17, vcc_lo, s18, v17
	s_wait_alu 0xfffd
	s_delay_alu instid0(VALU_DEP_2)
	v_add_co_ci_u32_e64 v18, null, s19, v18, vcc_lo
	global_load_b32 v19, v[17:18], off
	s_wait_loadcnt 0x0
	v_mul_f32_e32 v19, v20, v19
	global_store_b32 v[17:18], v19, off
.LBB58_44:                              ;   in Loop: Header=BB58_7 Depth=1
	s_wait_alu 0xfffe
	s_or_b32 exec_lo, exec_lo, s1
	s_wait_dscnt 0x0
	v_add_nc_u32_e32 v17, v15, v0
	s_mov_b32 s3, exec_lo
	s_delay_alu instid0(VALU_DEP_1)
	v_cmpx_lt_i32_e64 v17, v16
	s_cbranch_execz .LBB58_47
; %bb.45:                               ;   in Loop: Header=BB58_7 Depth=1
	v_ashrrev_i32_e32 v18, 31, v17
	s_mov_b32 s4, 0
	s_delay_alu instid0(VALU_DEP_1)
	v_lshlrev_b64_e32 v[18:19], 2, v[17:18]
.LBB58_46:                              ;   Parent Loop BB58_7 Depth=1
                                        ; =>  This Inner Loop Header: Depth=2
	s_delay_alu instid0(VALU_DEP_1) | instskip(SKIP_1) | instid1(VALU_DEP_2)
	v_add_co_u32 v21, vcc_lo, s18, v18
	s_wait_alu 0xfffd
	v_add_co_ci_u32_e64 v22, null, s19, v19, vcc_lo
	v_add_co_u32 v23, vcc_lo, s40, v18
	s_wait_alu 0xfffd
	v_add_co_ci_u32_e64 v24, null, s41, v19, vcc_lo
	global_load_b32 v15, v[21:22], off
	v_add_nc_u32_e32 v17, s34, v17
	v_add_co_u32 v18, vcc_lo, v18, s54
	s_wait_alu 0xfffd
	v_add_co_ci_u32_e64 v19, null, s55, v19, vcc_lo
	s_delay_alu instid0(VALU_DEP_3)
	v_cmp_ge_i32_e64 s1, v17, v16
	s_wait_alu 0xfffe
	s_or_b32 s4, s1, s4
	s_wait_loadcnt 0x0
	v_mul_f32_e32 v15, v20, v15
	global_store_b32 v[21:22], v15, off
	global_load_b32 v15, v[23:24], off
	s_wait_loadcnt 0x0
	v_mul_f32_e32 v15, v20, v15
	global_store_b32 v[23:24], v15, off
	s_wait_alu 0xfffe
	s_and_not1_b32 exec_lo, exec_lo, s4
	s_cbranch_execnz .LBB58_46
.LBB58_47:                              ;   in Loop: Header=BB58_7 Depth=1
	s_wait_alu 0xfffe
	s_or_b32 exec_lo, exec_lo, s3
.LBB58_48:                              ;   in Loop: Header=BB58_7 Depth=1
	s_wait_loadcnt 0x0
	s_wait_storecnt 0x0
	s_barrier_signal -1
	s_barrier_wait -1
	global_inv scope:SCOPE_SE
	ds_load_b32 v18, v36 offset:28
	ds_load_2addr_b32 v[15:16], v36 offset1:5
	s_mov_b32 s4, -1
                                        ; implicit-def: $vgpr21_vgpr22
	s_wait_dscnt 0x1
	v_cmp_gt_i32_e64 s1, s24, v18
	s_wait_dscnt 0x0
	v_cmp_lt_i32_e32 vcc_lo, v16, v15
	v_mov_b32_e32 v17, v16
                                        ; implicit-def: $vgpr16
	s_wait_alu 0xf1ff
	v_cndmask_b32_e64 v19, 0, 1, s1
	s_delay_alu instid0(VALU_DEP_1)
	v_cmp_ne_u32_e64 s3, 1, v19
                                        ; implicit-def: $vgpr19_vgpr20
	s_cbranch_vccnz .LBB58_51
; %bb.49:                               ;   in Loop: Header=BB58_7 Depth=1
	v_dual_mov_b32 v22, v6 :: v_dual_mov_b32 v21, v5
	v_dual_mov_b32 v20, v4 :: v_dual_mov_b32 v19, v3
	;; [unrolled: 1-line block ×4, first 2 shown]
	s_and_b32 vcc_lo, exec_lo, s3
	s_wait_alu 0xfffe
	s_cbranch_vccz .LBB58_147
.LBB58_50:                              ;   in Loop: Header=BB58_7 Depth=1
	s_mov_b32 s4, 0
.LBB58_51:                              ;   in Loop: Header=BB58_7 Depth=1
	s_wait_alu 0xfffe
	s_and_not1_b32 vcc_lo, exec_lo, s4
	s_wait_alu 0xfffe
	s_cbranch_vccz .LBB58_68
; %bb.52:                               ;   in Loop: Header=BB58_7 Depth=1
	v_mov_b32_e32 v3, v19
	v_mov_b32_e32 v5, v21
	v_dual_mov_b32 v39, v16 :: v_dual_mov_b32 v4, v20
	v_mov_b32_e32 v6, v22
.LBB58_53:                              ;   in Loop: Header=BB58_7 Depth=1
	s_wait_loadcnt 0x0
	s_barrier_signal -1
	s_barrier_wait -1
	global_inv scope:SCOPE_SE
	ds_load_b32 v20, v36 offset:24
	s_wait_dscnt 0x0
	v_cmp_nlt_f32_e32 vcc_lo, s27, v20
	s_cbranch_vccnz .LBB58_60
; %bb.54:                               ;   in Loop: Header=BB58_7 Depth=1
	v_div_scale_f32 v15, null, v20, v20, s27
	v_div_scale_f32 v19, vcc_lo, s27, v20, s27
	s_delay_alu instid0(VALU_DEP_2)
	v_rcp_f32_e32 v17, v15
	v_xor_b32_e32 v18, 0x80000000, v15
	s_delay_alu instid0(TRANS32_DEP_1) | instid1(VALU_DEP_1)
	v_fma_f32 v15, v18, v17, 1.0
	s_delay_alu instid0(VALU_DEP_1) | instskip(SKIP_2) | instid1(VALU_DEP_1)
	v_fmac_f32_e32 v17, v15, v17
	ds_load_2addr_b32 v[15:16], v36 offset0:4 offset1:8
	v_mul_f32_e32 v21, v19, v17
	v_fma_f32 v22, v18, v21, v19
	s_delay_alu instid0(VALU_DEP_1) | instskip(NEXT) | instid1(VALU_DEP_1)
	v_fmac_f32_e32 v21, v22, v17
	v_fmac_f32_e32 v19, v18, v21
	s_wait_alu 0xfffd
	s_delay_alu instid0(VALU_DEP_1) | instskip(NEXT) | instid1(VALU_DEP_1)
	v_div_fmas_f32 v17, v19, v17, v21
	v_div_fixup_f32 v21, v17, v20, s27
	s_and_saveexec_b32 s1, s2
	s_cbranch_execz .LBB58_56
; %bb.55:                               ;   in Loop: Header=BB58_7 Depth=1
	s_wait_dscnt 0x0
	v_ashrrev_i32_e32 v18, 31, v16
	v_mov_b32_e32 v17, v16
	s_delay_alu instid0(VALU_DEP_1) | instskip(NEXT) | instid1(VALU_DEP_1)
	v_lshlrev_b64_e32 v[17:18], 2, v[17:18]
	v_add_co_u32 v17, vcc_lo, s18, v17
	s_wait_alu 0xfffd
	s_delay_alu instid0(VALU_DEP_2)
	v_add_co_ci_u32_e64 v18, null, s19, v18, vcc_lo
	global_load_b32 v19, v[17:18], off
	s_wait_loadcnt 0x0
	v_mul_f32_e32 v19, v21, v19
	global_store_b32 v[17:18], v19, off
.LBB58_56:                              ;   in Loop: Header=BB58_7 Depth=1
	s_wait_alu 0xfffe
	s_or_b32 exec_lo, exec_lo, s1
	s_wait_dscnt 0x0
	v_add_nc_u32_e32 v17, v15, v0
	s_mov_b32 s3, exec_lo
	s_delay_alu instid0(VALU_DEP_1)
	v_cmpx_lt_i32_e64 v17, v16
	s_cbranch_execz .LBB58_59
; %bb.57:                               ;   in Loop: Header=BB58_7 Depth=1
	v_ashrrev_i32_e32 v18, 31, v17
	s_mov_b32 s4, 0
	s_delay_alu instid0(VALU_DEP_1)
	v_lshlrev_b64_e32 v[18:19], 2, v[17:18]
.LBB58_58:                              ;   Parent Loop BB58_7 Depth=1
                                        ; =>  This Inner Loop Header: Depth=2
	s_delay_alu instid0(VALU_DEP_1) | instskip(SKIP_1) | instid1(VALU_DEP_2)
	v_add_co_u32 v22, vcc_lo, s18, v18
	s_wait_alu 0xfffd
	v_add_co_ci_u32_e64 v23, null, s19, v19, vcc_lo
	v_add_co_u32 v24, vcc_lo, s40, v18
	s_wait_alu 0xfffd
	v_add_co_ci_u32_e64 v25, null, s41, v19, vcc_lo
	global_load_b32 v15, v[22:23], off
	v_add_nc_u32_e32 v17, s34, v17
	v_add_co_u32 v18, vcc_lo, v18, s54
	s_wait_alu 0xfffd
	v_add_co_ci_u32_e64 v19, null, s55, v19, vcc_lo
	s_delay_alu instid0(VALU_DEP_3)
	v_cmp_ge_i32_e64 s1, v17, v16
	s_wait_alu 0xfffe
	s_or_b32 s4, s1, s4
	s_wait_loadcnt 0x0
	v_mul_f32_e32 v15, v21, v15
	global_store_b32 v[22:23], v15, off
	global_load_b32 v15, v[24:25], off
	s_wait_loadcnt 0x0
	v_mul_f32_e32 v15, v21, v15
	global_store_b32 v[24:25], v15, off
	s_wait_alu 0xfffe
	s_and_not1_b32 exec_lo, exec_lo, s4
	s_cbranch_execnz .LBB58_58
.LBB58_59:                              ;   in Loop: Header=BB58_7 Depth=1
	s_wait_alu 0xfffe
	s_or_b32 exec_lo, exec_lo, s3
.LBB58_60:                              ;   in Loop: Header=BB58_7 Depth=1
	v_cmp_ngt_f32_e32 vcc_lo, s26, v20
	s_cbranch_vccnz .LBB58_5
; %bb.61:                               ;   in Loop: Header=BB58_7 Depth=1
	v_div_scale_f32 v15, null, v20, v20, s26
	v_div_scale_f32 v19, vcc_lo, s26, v20, s26
	s_delay_alu instid0(VALU_DEP_2)
	v_rcp_f32_e32 v17, v15
	v_xor_b32_e32 v18, 0x80000000, v15
	s_delay_alu instid0(TRANS32_DEP_1) | instid1(VALU_DEP_1)
	v_fma_f32 v15, v18, v17, 1.0
	s_delay_alu instid0(VALU_DEP_1) | instskip(SKIP_2) | instid1(VALU_DEP_1)
	v_fmac_f32_e32 v17, v15, v17
	ds_load_2addr_b32 v[15:16], v36 offset0:4 offset1:8
	v_mul_f32_e32 v21, v19, v17
	v_fma_f32 v22, v18, v21, v19
	s_delay_alu instid0(VALU_DEP_1) | instskip(NEXT) | instid1(VALU_DEP_1)
	v_fmac_f32_e32 v21, v22, v17
	v_fmac_f32_e32 v19, v18, v21
	s_wait_alu 0xfffd
	s_delay_alu instid0(VALU_DEP_1) | instskip(NEXT) | instid1(VALU_DEP_1)
	v_div_fmas_f32 v17, v19, v17, v21
	v_div_fixup_f32 v20, v17, v20, s26
	s_and_saveexec_b32 s1, s2
	s_cbranch_execz .LBB58_63
; %bb.62:                               ;   in Loop: Header=BB58_7 Depth=1
	s_wait_dscnt 0x0
	v_ashrrev_i32_e32 v18, 31, v16
	v_mov_b32_e32 v17, v16
	s_delay_alu instid0(VALU_DEP_1) | instskip(NEXT) | instid1(VALU_DEP_1)
	v_lshlrev_b64_e32 v[17:18], 2, v[17:18]
	v_add_co_u32 v17, vcc_lo, s18, v17
	s_wait_alu 0xfffd
	s_delay_alu instid0(VALU_DEP_2)
	v_add_co_ci_u32_e64 v18, null, s19, v18, vcc_lo
	global_load_b32 v19, v[17:18], off
	s_wait_loadcnt 0x0
	v_mul_f32_e32 v19, v20, v19
	global_store_b32 v[17:18], v19, off
.LBB58_63:                              ;   in Loop: Header=BB58_7 Depth=1
	s_wait_alu 0xfffe
	s_or_b32 exec_lo, exec_lo, s1
	s_wait_dscnt 0x0
	v_add_nc_u32_e32 v17, v15, v0
	s_mov_b32 s3, exec_lo
	s_delay_alu instid0(VALU_DEP_1)
	v_cmpx_lt_i32_e64 v17, v16
	s_cbranch_execz .LBB58_4
; %bb.64:                               ;   in Loop: Header=BB58_7 Depth=1
	v_ashrrev_i32_e32 v18, 31, v17
	s_mov_b32 s4, 0
	s_delay_alu instid0(VALU_DEP_1)
	v_lshlrev_b64_e32 v[18:19], 2, v[17:18]
.LBB58_65:                              ;   Parent Loop BB58_7 Depth=1
                                        ; =>  This Inner Loop Header: Depth=2
	s_delay_alu instid0(VALU_DEP_1) | instskip(SKIP_1) | instid1(VALU_DEP_2)
	v_add_co_u32 v21, vcc_lo, s18, v18
	s_wait_alu 0xfffd
	v_add_co_ci_u32_e64 v22, null, s19, v19, vcc_lo
	v_add_co_u32 v23, vcc_lo, s40, v18
	s_wait_alu 0xfffd
	v_add_co_ci_u32_e64 v24, null, s41, v19, vcc_lo
	global_load_b32 v15, v[21:22], off
	v_add_nc_u32_e32 v17, s34, v17
	v_add_co_u32 v18, vcc_lo, v18, s54
	s_wait_alu 0xfffd
	v_add_co_ci_u32_e64 v19, null, s55, v19, vcc_lo
	s_delay_alu instid0(VALU_DEP_3)
	v_cmp_ge_i32_e64 s1, v17, v16
	s_wait_alu 0xfffe
	s_or_b32 s4, s1, s4
	s_wait_loadcnt 0x0
	v_mul_f32_e32 v15, v20, v15
	global_store_b32 v[21:22], v15, off
	global_load_b32 v15, v[23:24], off
	s_wait_loadcnt 0x0
	v_mul_f32_e32 v15, v20, v15
	global_store_b32 v[23:24], v15, off
	s_wait_alu 0xfffe
	s_and_not1_b32 exec_lo, exec_lo, s4
	s_cbranch_execnz .LBB58_65
	s_branch .LBB58_4
.LBB58_66:                              ;   in Loop: Header=BB58_68 Depth=2
	s_wait_alu 0xfffe
	s_or_b32 exec_lo, exec_lo, s3
	s_wait_loadcnt 0x0
	s_wait_storecnt 0x0
	s_barrier_signal -1
	s_barrier_wait -1
	global_inv scope:SCOPE_SE
	ds_load_b32 v15, v36
.LBB58_67:                              ;   in Loop: Header=BB58_68 Depth=2
	ds_load_2addr_b32 v[17:18], v36 offset0:5 offset1:7
	s_wait_dscnt 0x0
	v_cmp_ge_i32_e32 vcc_lo, v15, v17
	v_cmp_gt_i32_e64 s1, s24, v18
	s_and_b32 s1, vcc_lo, s1
.LBB58_68:                              ;   Parent Loop BB58_7 Depth=1
                                        ; =>  This Loop Header: Depth=2
                                        ;       Child Loop BB58_75 Depth 3
                                        ;       Child Loop BB58_95 Depth 3
	;; [unrolled: 1-line block ×3, first 2 shown]
                                        ;         Child Loop BB58_143 Depth 4
	s_wait_alu 0xfffe
	s_and_not1_b32 vcc_lo, exec_lo, s1
	s_wait_alu 0xfffe
	s_cbranch_vccnz .LBB58_53
; %bb.69:                               ;   in Loop: Header=BB58_68 Depth=2
	s_and_saveexec_b32 s4, s2
	s_cbranch_execz .LBB58_138
; %bb.70:                               ;   in Loop: Header=BB58_68 Depth=2
	v_cmp_gt_i32_e32 vcc_lo, v15, v17
	s_mov_b32 s1, 0
	s_cbranch_vccnz .LBB58_72
; %bb.71:                               ;   in Loop: Header=BB58_68 Depth=2
	v_ashrrev_i32_e32 v16, 31, v15
	s_mov_b32 s3, -1
	s_delay_alu instid0(VALU_DEP_1)
	v_dual_mov_b32 v21, v16 :: v_dual_mov_b32 v20, v15
	v_mov_b32_e32 v19, v15
	s_cbranch_execz .LBB58_73
	s_branch .LBB58_78
.LBB58_72:                              ;   in Loop: Header=BB58_68 Depth=2
	s_mov_b32 s3, 0
                                        ; implicit-def: $vgpr20_vgpr21
	v_mov_b32_e32 v19, v15
.LBB58_73:                              ;   in Loop: Header=BB58_68 Depth=2
	v_ashrrev_i32_e32 v16, 31, v15
	v_mov_b32_e32 v19, v15
	s_delay_alu instid0(VALU_DEP_2) | instskip(NEXT) | instid1(VALU_DEP_1)
	v_lshlrev_b64_e32 v[7:8], 2, v[15:16]
	v_add_co_u32 v1, vcc_lo, s40, v7
	s_wait_alu 0xfffd
	s_delay_alu instid0(VALU_DEP_2)
	v_add_co_ci_u32_e64 v2, null, s41, v8, vcc_lo
	v_add_co_u32 v7, vcc_lo, s70, v7
	s_wait_alu 0xfffd
	v_add_co_ci_u32_e64 v8, null, s71, v8, vcc_lo
	s_branch .LBB58_75
.LBB58_74:                              ;   in Loop: Header=BB58_75 Depth=3
	v_add_nc_u32_e32 v19, -1, v40
	v_add_co_u32 v7, vcc_lo, v7, -4
	s_wait_alu 0xfffd
	v_add_co_ci_u32_e64 v8, null, -1, v8, vcc_lo
	s_delay_alu instid0(VALU_DEP_3)
	v_cmp_le_i32_e64 s3, v19, v17
	s_mov_b32 s1, 0
	v_add_co_u32 v1, vcc_lo, v1, -4
	s_wait_alu 0xfffd
	v_add_co_ci_u32_e64 v2, null, -1, v2, vcc_lo
	s_wait_alu 0xfffe
	s_and_not1_b32 vcc_lo, exec_lo, s3
	s_wait_alu 0xfffe
	s_cbranch_vccz .LBB58_77
.LBB58_75:                              ;   Parent Loop BB58_7 Depth=1
                                        ;     Parent Loop BB58_68 Depth=2
                                        ; =>    This Inner Loop Header: Depth=3
	global_load_b64 v[20:21], v[7:8], off
	global_load_b32 v22, v[1:2], off offset:-4
	v_mov_b32_e32 v40, v19
	s_wait_loadcnt 0x0
	v_dual_mul_f32 v20, v21, v20 :: v_dual_mul_f32 v21, v22, v22
	s_delay_alu instid0(VALU_DEP_1) | instskip(NEXT) | instid1(VALU_DEP_1)
	v_and_b32_e32 v20, 0x7fffffff, v20
	v_dual_mul_f32 v20, s10, v20 :: v_dual_and_b32 v21, 0x7fffffff, v21
	s_delay_alu instid0(VALU_DEP_1)
	v_cmp_le_f32_e32 vcc_lo, v21, v20
	s_cbranch_vccz .LBB58_74
; %bb.76:                               ;   in Loop: Header=BB58_68 Depth=2
	s_mov_b32 s1, -1
                                        ; implicit-def: $vgpr19
                                        ; implicit-def: $vgpr7_vgpr8
	v_add_co_u32 v1, vcc_lo, v1, -4
	s_wait_alu 0xfffd
	v_add_co_ci_u32_e64 v2, null, -1, v2, vcc_lo
.LBB58_77:                              ;   in Loop: Header=BB58_68 Depth=2
	v_mov_b32_e32 v21, v16
	v_dual_mov_b32 v7, v15 :: v_dual_mov_b32 v8, v16
	v_dual_mov_b32 v19, v17 :: v_dual_mov_b32 v20, v15
	s_wait_alu 0xfffe
	s_xor_b32 s3, s1, -1
	s_mov_b32 s1, -1
.LBB58_78:                              ;   in Loop: Header=BB58_68 Depth=2
	s_wait_alu 0xfffe
	s_and_b32 vcc_lo, exec_lo, s3
	s_wait_alu 0xfffe
	s_cbranch_vccnz .LBB58_107
; %bb.79:                               ;   in Loop: Header=BB58_68 Depth=2
	s_and_not1_b32 vcc_lo, exec_lo, s1
	s_wait_alu 0xfffe
	s_cbranch_vccnz .LBB58_81
.LBB58_80:                              ;   in Loop: Header=BB58_68 Depth=2
	v_dual_mov_b32 v21, v8 :: v_dual_mov_b32 v20, v7
	v_mov_b32_e32 v19, v40
	ds_store_2addr_b32 v36, v40, v15 offset0:1 offset1:4
	global_store_b32 v[1:2], v36, off
.LBB58_81:                              ;   in Loop: Header=BB58_68 Depth=2
	v_lshlrev_b64_e32 v[21:22], 2, v[20:21]
	v_add_nc_u32_e32 v20, -1, v15
	s_mov_b32 s1, exec_lo
	s_delay_alu instid0(VALU_DEP_2) | instskip(SKIP_1) | instid1(VALU_DEP_3)
	v_add_co_u32 v16, vcc_lo, s18, v21
	s_wait_alu 0xfffd
	v_add_co_ci_u32_e64 v17, null, s19, v22, vcc_lo
	global_load_b32 v27, v[16:17], off
	s_wait_loadcnt 0x0
	ds_store_b32 v36, v27 offset:8
	v_cmpx_ne_u32_e64 v19, v15
	s_wait_alu 0xfffe
	s_xor_b32 s7, exec_lo, s1
	s_cbranch_execz .LBB58_135
; %bb.82:                               ;   in Loop: Header=BB58_68 Depth=2
	s_mov_b32 s1, exec_lo
	v_cmpx_ne_u32_e64 v19, v20
	s_wait_alu 0xfffe
	s_xor_b32 s3, exec_lo, s1
	s_cbranch_execz .LBB58_111
; %bb.83:                               ;   in Loop: Header=BB58_68 Depth=2
	v_add_co_u32 v21, vcc_lo, s40, v21
	s_wait_alu 0xfffd
	v_add_co_ci_u32_e64 v22, null, s41, v22, vcc_lo
	v_ashrrev_i32_e32 v20, 31, v19
	s_mov_b32 s33, exec_lo
	global_load_b32 v29, v[16:17], off offset:-4
	global_load_b32 v30, v[21:22], off offset:-4
	v_add_nc_u32_e32 v18, 1, v18
	v_lshlrev_b64_e32 v[25:26], 2, v[19:20]
	ds_store_2addr_b32 v36, v36, v18 offset0:2 offset1:7
	v_add_co_u32 v23, vcc_lo, s18, v25
	s_wait_alu 0xfffd
	v_add_co_ci_u32_e64 v24, null, s19, v26, vcc_lo
	global_load_b32 v28, v[23:24], off
	s_wait_loadcnt 0x1
	v_dual_sub_f32 v20, v29, v27 :: v_dual_add_f32 v29, v30, v30
	s_delay_alu instid0(VALU_DEP_1) | instskip(SKIP_1) | instid1(VALU_DEP_2)
	v_div_scale_f32 v31, null, v29, v29, v20
	v_div_scale_f32 v34, vcc_lo, v20, v29, v20
	v_rcp_f32_e32 v32, v31
	s_delay_alu instid0(TRANS32_DEP_1) | instskip(NEXT) | instid1(VALU_DEP_1)
	v_fma_f32 v33, -v31, v32, 1.0
	v_fmac_f32_e32 v32, v33, v32
	s_delay_alu instid0(VALU_DEP_1) | instskip(NEXT) | instid1(VALU_DEP_1)
	v_mul_f32_e32 v33, v34, v32
	v_fma_f32 v35, -v31, v33, v34
	s_delay_alu instid0(VALU_DEP_1) | instskip(NEXT) | instid1(VALU_DEP_1)
	v_fmac_f32_e32 v33, v35, v32
	v_fma_f32 v31, -v31, v33, v34
	s_wait_alu 0xfffd
	s_delay_alu instid0(VALU_DEP_1) | instskip(NEXT) | instid1(VALU_DEP_1)
	v_div_fmas_f32 v31, v31, v32, v33
	v_div_fixup_f32 v20, v31, v29, v20
	s_delay_alu instid0(VALU_DEP_1) | instskip(NEXT) | instid1(VALU_DEP_1)
	v_fma_f32 v29, v20, v20, 1.0
	v_mul_f32_e32 v31, 0x4f800000, v29
	v_cmp_gt_f32_e32 vcc_lo, 0xf800000, v29
	s_wait_alu 0xfffd
	s_delay_alu instid0(VALU_DEP_2) | instskip(NEXT) | instid1(VALU_DEP_1)
	v_cndmask_b32_e32 v29, v29, v31, vcc_lo
	v_sqrt_f32_e32 v31, v29
	s_delay_alu instid0(TRANS32_DEP_1) | instskip(SKIP_1) | instid1(VALU_DEP_2)
	v_add_nc_u32_e32 v32, -1, v31
	v_add_nc_u32_e32 v33, 1, v31
	v_fma_f32 v34, -v32, v31, v29
	s_delay_alu instid0(VALU_DEP_2) | instskip(NEXT) | instid1(VALU_DEP_2)
	v_fma_f32 v35, -v33, v31, v29
	v_cmp_ge_f32_e64 s1, 0, v34
	s_wait_alu 0xf1ff
	s_delay_alu instid0(VALU_DEP_1) | instskip(NEXT) | instid1(VALU_DEP_3)
	v_cndmask_b32_e64 v31, v31, v32, s1
	v_cmp_lt_f32_e64 s1, 0, v35
	s_wait_alu 0xf1ff
	s_delay_alu instid0(VALU_DEP_1) | instskip(NEXT) | instid1(VALU_DEP_1)
	v_cndmask_b32_e64 v31, v31, v33, s1
	v_mul_f32_e32 v32, 0x37800000, v31
	s_delay_alu instid0(VALU_DEP_1) | instskip(SKIP_2) | instid1(VALU_DEP_2)
	v_cndmask_b32_e32 v31, v31, v32, vcc_lo
	v_cmp_class_f32_e64 vcc_lo, v29, 0x260
	s_wait_alu 0xfffd
	v_cndmask_b32_e32 v29, v31, v29, vcc_lo
	v_cmp_nle_f32_e32 vcc_lo, 0, v20
	s_wait_alu 0xfffd
	s_delay_alu instid0(VALU_DEP_2) | instskip(NEXT) | instid1(VALU_DEP_1)
	v_cndmask_b32_e64 v29, |v29|, -|v29|, vcc_lo
	v_add_f32_e32 v20, v20, v29
	s_delay_alu instid0(VALU_DEP_1) | instskip(SKIP_1) | instid1(VALU_DEP_2)
	v_div_scale_f32 v29, null, v20, v20, v30
	v_div_scale_f32 v33, vcc_lo, v30, v20, v30
	v_rcp_f32_e32 v31, v29
	s_delay_alu instid0(TRANS32_DEP_1) | instskip(NEXT) | instid1(VALU_DEP_1)
	v_fma_f32 v32, -v29, v31, 1.0
	v_fmac_f32_e32 v31, v32, v31
	s_delay_alu instid0(VALU_DEP_1) | instskip(NEXT) | instid1(VALU_DEP_1)
	v_mul_f32_e32 v32, v33, v31
	v_fma_f32 v34, -v29, v32, v33
	s_delay_alu instid0(VALU_DEP_1) | instskip(NEXT) | instid1(VALU_DEP_1)
	v_fmac_f32_e32 v32, v34, v31
	v_fma_f32 v29, -v29, v32, v33
	s_wait_alu 0xfffd
	s_delay_alu instid0(VALU_DEP_1) | instskip(SKIP_2) | instid1(VALU_DEP_2)
	v_div_fmas_f32 v29, v29, v31, v32
	s_wait_loadcnt 0x0
	v_sub_f32_e32 v31, v28, v27
	v_div_fixup_f32 v20, v29, v20, v30
	s_delay_alu instid0(VALU_DEP_1)
	v_dual_mov_b32 v29, 0 :: v_dual_add_f32 v20, v31, v20
	v_cmpx_lt_i32_e64 v19, v15
	s_cbranch_execz .LBB58_110
; %bb.84:                               ;   in Loop: Header=BB58_68 Depth=2
	v_add_co_u32 v29, vcc_lo, s40, v25
	s_wait_alu 0xfffd
	v_add_co_ci_u32_e64 v30, null, s41, v26, vcc_lo
	v_mov_b32_e32 v32, 0
	v_mov_b32_e32 v18, 1.0
	s_mov_b32 s35, exec_lo
	global_load_b32 v30, v[29:30], off
	s_wait_loadcnt 0x0
	v_cmpx_neq_f32_e32 0, v30
	s_cbranch_execz .LBB58_92
; %bb.85:                               ;   in Loop: Header=BB58_68 Depth=2
	v_mov_b32_e32 v18, 0
	v_mov_b32_e32 v32, 1.0
	s_mov_b32 s37, exec_lo
	v_cmpx_neq_f32_e32 0, v20
	s_cbranch_execz .LBB58_91
; %bb.86:                               ;   in Loop: Header=BB58_68 Depth=2
	s_mov_b32 s74, exec_lo
                                        ; implicit-def: $vgpr32
                                        ; implicit-def: $vgpr18
	v_cmpx_ngt_f32_e64 |v30|, |v20|
	s_wait_alu 0xfffe
	s_xor_b32 s74, exec_lo, s74
	s_cbranch_execz .LBB58_88
; %bb.87:                               ;   in Loop: Header=BB58_68 Depth=2
	v_div_scale_f32 v18, null, v20, v20, -v30
	v_div_scale_f32 v31, vcc_lo, -v30, v20, -v30
	s_delay_alu instid0(VALU_DEP_2) | instskip(NEXT) | instid1(TRANS32_DEP_1)
	v_rcp_f32_e32 v27, v18
	v_fma_f32 v29, -v18, v27, 1.0
	s_delay_alu instid0(VALU_DEP_1) | instskip(NEXT) | instid1(VALU_DEP_1)
	v_fmac_f32_e32 v27, v29, v27
	v_mul_f32_e32 v29, v31, v27
	s_delay_alu instid0(VALU_DEP_1) | instskip(NEXT) | instid1(VALU_DEP_1)
	v_fma_f32 v32, -v18, v29, v31
	v_fmac_f32_e32 v29, v32, v27
	s_delay_alu instid0(VALU_DEP_1) | instskip(SKIP_1) | instid1(VALU_DEP_1)
	v_fma_f32 v18, -v18, v29, v31
	s_wait_alu 0xfffd
	v_div_fmas_f32 v18, v18, v27, v29
	s_delay_alu instid0(VALU_DEP_1) | instskip(NEXT) | instid1(VALU_DEP_1)
	v_div_fixup_f32 v20, v18, v20, -v30
	v_fma_f32 v18, v20, v20, 1.0
	s_delay_alu instid0(VALU_DEP_1) | instskip(SKIP_2) | instid1(VALU_DEP_2)
	v_mul_f32_e32 v27, 0x4f800000, v18
	v_cmp_gt_f32_e32 vcc_lo, 0xf800000, v18
	s_wait_alu 0xfffd
	v_cndmask_b32_e32 v18, v18, v27, vcc_lo
	s_delay_alu instid0(VALU_DEP_1) | instskip(NEXT) | instid1(TRANS32_DEP_1)
	v_sqrt_f32_e32 v27, v18
	v_add_nc_u32_e32 v29, -1, v27
	v_add_nc_u32_e32 v31, 1, v27
	s_delay_alu instid0(VALU_DEP_2) | instskip(NEXT) | instid1(VALU_DEP_2)
	v_fma_f32 v32, -v29, v27, v18
	v_fma_f32 v33, -v31, v27, v18
	s_delay_alu instid0(VALU_DEP_2) | instskip(SKIP_1) | instid1(VALU_DEP_1)
	v_cmp_ge_f32_e64 s1, 0, v32
	s_wait_alu 0xf1ff
	v_cndmask_b32_e64 v27, v27, v29, s1
	s_delay_alu instid0(VALU_DEP_3) | instskip(SKIP_1) | instid1(VALU_DEP_1)
	v_cmp_lt_f32_e64 s1, 0, v33
	s_wait_alu 0xf1ff
	v_cndmask_b32_e64 v27, v27, v31, s1
	s_delay_alu instid0(VALU_DEP_1) | instskip(NEXT) | instid1(VALU_DEP_1)
	v_mul_f32_e32 v29, 0x37800000, v27
	v_cndmask_b32_e32 v27, v27, v29, vcc_lo
	v_cmp_class_f32_e64 vcc_lo, v18, 0x260
	s_wait_alu 0xfffd
	s_delay_alu instid0(VALU_DEP_2) | instskip(NEXT) | instid1(VALU_DEP_1)
	v_cndmask_b32_e32 v18, v27, v18, vcc_lo
	v_div_scale_f32 v27, null, v18, v18, 1.0
	s_delay_alu instid0(VALU_DEP_1) | instskip(NEXT) | instid1(TRANS32_DEP_1)
	v_rcp_f32_e32 v29, v27
	v_fma_f32 v31, -v27, v29, 1.0
	s_delay_alu instid0(VALU_DEP_1) | instskip(SKIP_1) | instid1(VALU_DEP_1)
	v_fmac_f32_e32 v29, v31, v29
	v_div_scale_f32 v31, vcc_lo, 1.0, v18, 1.0
	v_mul_f32_e32 v32, v31, v29
	s_delay_alu instid0(VALU_DEP_1) | instskip(NEXT) | instid1(VALU_DEP_1)
	v_fma_f32 v33, -v27, v32, v31
	v_fmac_f32_e32 v32, v33, v29
	s_delay_alu instid0(VALU_DEP_1) | instskip(SKIP_1) | instid1(VALU_DEP_1)
	v_fma_f32 v27, -v27, v32, v31
	s_wait_alu 0xfffd
	v_div_fmas_f32 v27, v27, v29, v32
	s_delay_alu instid0(VALU_DEP_1) | instskip(NEXT) | instid1(VALU_DEP_1)
	v_div_fixup_f32 v18, v27, v18, 1.0
	v_mul_f32_e32 v32, v20, v18
                                        ; implicit-def: $vgpr20
.LBB58_88:                              ;   in Loop: Header=BB58_68 Depth=2
	s_wait_alu 0xfffe
	s_and_not1_saveexec_b32 s74, s74
	s_cbranch_execz .LBB58_90
; %bb.89:                               ;   in Loop: Header=BB58_68 Depth=2
	v_div_scale_f32 v18, null, v30, v30, -v20
	v_div_scale_f32 v31, vcc_lo, -v20, v30, -v20
	s_delay_alu instid0(VALU_DEP_2) | instskip(NEXT) | instid1(TRANS32_DEP_1)
	v_rcp_f32_e32 v27, v18
	v_fma_f32 v29, -v18, v27, 1.0
	s_delay_alu instid0(VALU_DEP_1) | instskip(NEXT) | instid1(VALU_DEP_1)
	v_fmac_f32_e32 v27, v29, v27
	v_mul_f32_e32 v29, v31, v27
	s_delay_alu instid0(VALU_DEP_1) | instskip(NEXT) | instid1(VALU_DEP_1)
	v_fma_f32 v32, -v18, v29, v31
	v_fmac_f32_e32 v29, v32, v27
	s_delay_alu instid0(VALU_DEP_1) | instskip(SKIP_1) | instid1(VALU_DEP_1)
	v_fma_f32 v18, -v18, v29, v31
	s_wait_alu 0xfffd
	v_div_fmas_f32 v18, v18, v27, v29
	s_delay_alu instid0(VALU_DEP_1) | instskip(NEXT) | instid1(VALU_DEP_1)
	v_div_fixup_f32 v18, v18, v30, -v20
	v_fma_f32 v20, v18, v18, 1.0
	s_delay_alu instid0(VALU_DEP_1) | instskip(SKIP_2) | instid1(VALU_DEP_2)
	v_mul_f32_e32 v27, 0x4f800000, v20
	v_cmp_gt_f32_e32 vcc_lo, 0xf800000, v20
	s_wait_alu 0xfffd
	v_cndmask_b32_e32 v20, v20, v27, vcc_lo
	s_delay_alu instid0(VALU_DEP_1) | instskip(NEXT) | instid1(TRANS32_DEP_1)
	v_sqrt_f32_e32 v27, v20
	v_add_nc_u32_e32 v29, -1, v27
	v_add_nc_u32_e32 v31, 1, v27
	s_delay_alu instid0(VALU_DEP_2) | instskip(NEXT) | instid1(VALU_DEP_2)
	v_fma_f32 v32, -v29, v27, v20
	v_fma_f32 v33, -v31, v27, v20
	s_delay_alu instid0(VALU_DEP_2) | instskip(SKIP_1) | instid1(VALU_DEP_1)
	v_cmp_ge_f32_e64 s1, 0, v32
	s_wait_alu 0xf1ff
	v_cndmask_b32_e64 v27, v27, v29, s1
	s_delay_alu instid0(VALU_DEP_3) | instskip(SKIP_1) | instid1(VALU_DEP_1)
	v_cmp_lt_f32_e64 s1, 0, v33
	s_wait_alu 0xf1ff
	v_cndmask_b32_e64 v27, v27, v31, s1
	s_delay_alu instid0(VALU_DEP_1) | instskip(NEXT) | instid1(VALU_DEP_1)
	v_mul_f32_e32 v29, 0x37800000, v27
	v_cndmask_b32_e32 v27, v27, v29, vcc_lo
	v_cmp_class_f32_e64 vcc_lo, v20, 0x260
	s_wait_alu 0xfffd
	s_delay_alu instid0(VALU_DEP_2) | instskip(NEXT) | instid1(VALU_DEP_1)
	v_cndmask_b32_e32 v20, v27, v20, vcc_lo
	v_div_scale_f32 v27, null, v20, v20, 1.0
	s_delay_alu instid0(VALU_DEP_1) | instskip(NEXT) | instid1(TRANS32_DEP_1)
	v_rcp_f32_e32 v29, v27
	v_fma_f32 v31, -v27, v29, 1.0
	s_delay_alu instid0(VALU_DEP_1) | instskip(SKIP_1) | instid1(VALU_DEP_1)
	v_fmac_f32_e32 v29, v31, v29
	v_div_scale_f32 v31, vcc_lo, 1.0, v20, 1.0
	v_mul_f32_e32 v32, v31, v29
	s_delay_alu instid0(VALU_DEP_1) | instskip(NEXT) | instid1(VALU_DEP_1)
	v_fma_f32 v33, -v27, v32, v31
	v_fmac_f32_e32 v32, v33, v29
	s_delay_alu instid0(VALU_DEP_1) | instskip(SKIP_1) | instid1(VALU_DEP_1)
	v_fma_f32 v27, -v27, v32, v31
	s_wait_alu 0xfffd
	v_div_fmas_f32 v27, v27, v29, v32
	s_delay_alu instid0(VALU_DEP_1) | instskip(NEXT) | instid1(VALU_DEP_1)
	v_div_fixup_f32 v32, v27, v20, 1.0
	v_mul_f32_e32 v18, v18, v32
.LBB58_90:                              ;   in Loop: Header=BB58_68 Depth=2
	s_wait_alu 0xfffe
	s_or_b32 exec_lo, exec_lo, s74
.LBB58_91:                              ;   in Loop: Header=BB58_68 Depth=2
	s_delay_alu instid0(SALU_CYCLE_1)
	s_or_b32 exec_lo, exec_lo, s37
.LBB58_92:                              ;   in Loop: Header=BB58_68 Depth=2
	s_wait_alu 0xfffe
	s_or_b32 exec_lo, exec_lo, s35
	global_load_b32 v20, v[23:24], off offset:4
	v_add_co_u32 v25, vcc_lo, s44, v25
	s_wait_alu 0xfffd
	v_add_co_ci_u32_e64 v26, null, s45, v26, vcc_lo
	v_xor_b32_e32 v31, 0x80000000, v32
	s_mov_b32 s35, exec_lo
	v_add_f32_e32 v29, v18, v18
	s_wait_loadcnt 0x0
	v_dual_sub_f32 v20, v20, v28 :: v_dual_add_nc_u32 v27, 1, v19
	s_delay_alu instid0(VALU_DEP_1) | instskip(NEXT) | instid1(VALU_DEP_1)
	v_mul_f32_e32 v20, v32, v20
	v_fma_f32 v20, v30, v29, -v20
	s_delay_alu instid0(VALU_DEP_1)
	v_mul_f32_e64 v29, v20, -v32
	v_fma_f32 v28, v20, -v32, v28
	v_add_co_u32 v32, vcc_lo, v25, s50
	v_fma_f32 v20, v18, v20, -v30
	s_wait_alu 0xfffd
	v_add_co_ci_u32_e64 v33, null, s51, v26, vcc_lo
	ds_store_b32 v36, v29 offset:8
	global_store_b32 v[23:24], v28, off
	s_clause 0x1
	global_store_b32 v[25:26], v18, off
	global_store_b32 v[32:33], v31, off offset:-4
	v_cmpx_lt_i32_e64 v27, v15
	s_cbranch_execz .LBB58_109
; %bb.93:                               ;   in Loop: Header=BB58_68 Depth=2
	v_ashrrev_i32_e32 v28, 31, v27
	s_mov_b32 s74, 1
	s_mov_b32 s37, 0
	s_delay_alu instid0(VALU_DEP_1) | instskip(NEXT) | instid1(VALU_DEP_1)
	v_lshlrev_b64_e32 v[27:28], 2, v[27:28]
	v_add_co_u32 v23, vcc_lo, s44, v27
	s_wait_alu 0xfffd
	s_delay_alu instid0(VALU_DEP_2)
	v_add_co_ci_u32_e64 v24, null, s45, v28, vcc_lo
	v_add_co_u32 v25, vcc_lo, s60, v27
	s_wait_alu 0xfffd
	v_add_co_ci_u32_e64 v26, null, s61, v28, vcc_lo
	v_add_co_u32 v27, vcc_lo, s48, v27
	s_wait_alu 0xfffd
	v_add_co_ci_u32_e64 v28, null, s49, v28, vcc_lo
	s_branch .LBB58_95
.LBB58_94:                              ;   in Loop: Header=BB58_95 Depth=3
	global_load_b64 v[34:35], v[27:28], off
	s_add_co_i32 s74, s74, 1
	v_add_co_u32 v25, vcc_lo, v25, 4
	s_wait_alu 0xfffd
	v_add_co_ci_u32_e64 v26, null, 0, v26, vcc_lo
	v_xor_b32_e32 v31, 0x80000000, v33
	v_mul_f32_e32 v18, v18, v30
	s_wait_loadcnt 0x0
	v_sub_f32_e32 v20, v34, v29
	v_add_co_u32 v34, vcc_lo, v27, 4
	s_delay_alu instid0(VALU_DEP_2)
	v_sub_f32_e32 v29, v35, v20
	v_add_f32_e32 v30, v32, v32
	s_wait_alu 0xfffd
	v_add_co_ci_u32_e64 v35, null, 0, v28, vcc_lo
	v_add_co_u32 v42, vcc_lo, v23, s62
	v_mul_f32_e32 v29, v33, v29
	s_wait_alu 0xfffd
	v_add_co_ci_u32_e64 v43, null, s63, v24, vcc_lo
	s_delay_alu instid0(VALU_DEP_2) | instskip(SKIP_2) | instid1(VALU_DEP_2)
	v_fma_f32 v30, v18, v30, -v29
	s_wait_alu 0xfffe
	v_add_nc_u32_e32 v29, s74, v19
	v_fma_f32 v44, v30, -v33, v20
	s_delay_alu instid0(VALU_DEP_2)
	v_cmp_ge_i32_e32 vcc_lo, v29, v15
	v_mul_f32_e64 v29, v30, -v33
	v_fma_f32 v20, v32, v30, -v18
	global_store_b32 v[27:28], v44, off
	global_store_b32 v[23:24], v32, off
	v_add_co_u32 v23, s1, v23, 4
	s_wait_alu 0xf1ff
	v_add_co_ci_u32_e64 v24, null, 0, v24, s1
	v_dual_mov_b32 v27, v34 :: v_dual_mov_b32 v28, v35
	v_mov_b32_e32 v18, v32
	s_or_b32 s37, vcc_lo, s37
	global_store_b32 v[42:43], v31, off
	s_and_not1_b32 exec_lo, exec_lo, s37
	s_cbranch_execz .LBB58_108
.LBB58_95:                              ;   Parent Loop BB58_7 Depth=1
                                        ;     Parent Loop BB58_68 Depth=2
                                        ; =>    This Inner Loop Header: Depth=3
	global_load_b32 v30, v[25:26], off offset:4
	v_mov_b32_e32 v33, 0
	s_mov_b32 s75, exec_lo
	s_wait_loadcnt 0x0
	v_dual_mov_b32 v32, 1.0 :: v_dual_mul_f32 v31, v31, v30
	s_delay_alu instid0(VALU_DEP_1)
	v_cmpx_neq_f32_e32 0, v31
	s_cbranch_execz .LBB58_105
; %bb.96:                               ;   in Loop: Header=BB58_95 Depth=3
	v_xor_b32_e32 v34, 0x80000000, v31
                                        ; implicit-def: $vgpr33
                                        ; implicit-def: $vgpr32
	s_mov_b32 s1, exec_lo
	v_cmpx_neq_f32_e32 0, v20
	s_wait_alu 0xfffe
	s_xor_b32 s76, exec_lo, s1
	s_cbranch_execz .LBB58_102
; %bb.97:                               ;   in Loop: Header=BB58_95 Depth=3
	s_mov_b32 s77, exec_lo
                                        ; implicit-def: $vgpr33
                                        ; implicit-def: $vgpr32
	v_cmpx_ngt_f32_e64 |v31|, |v20|
	s_wait_alu 0xfffe
	s_xor_b32 s77, exec_lo, s77
	s_cbranch_execz .LBB58_99
; %bb.98:                               ;   in Loop: Header=BB58_95 Depth=3
	v_div_scale_f32 v32, null, v20, v20, -v31
	v_div_scale_f32 v35, vcc_lo, -v31, v20, -v31
	s_delay_alu instid0(VALU_DEP_2) | instskip(NEXT) | instid1(TRANS32_DEP_1)
	v_rcp_f32_e32 v33, v32
	v_fma_f32 v34, -v32, v33, 1.0
	s_delay_alu instid0(VALU_DEP_1) | instskip(NEXT) | instid1(VALU_DEP_1)
	v_fmac_f32_e32 v33, v34, v33
	v_mul_f32_e32 v34, v35, v33
	s_delay_alu instid0(VALU_DEP_1) | instskip(NEXT) | instid1(VALU_DEP_1)
	v_fma_f32 v42, -v32, v34, v35
	v_fmac_f32_e32 v34, v42, v33
	s_delay_alu instid0(VALU_DEP_1) | instskip(SKIP_1) | instid1(VALU_DEP_1)
	v_fma_f32 v32, -v32, v34, v35
	s_wait_alu 0xfffd
	v_div_fmas_f32 v32, v32, v33, v34
	s_delay_alu instid0(VALU_DEP_1) | instskip(NEXT) | instid1(VALU_DEP_1)
	v_div_fixup_f32 v33, v32, v20, -v31
	v_fma_f32 v32, v33, v33, 1.0
	s_delay_alu instid0(VALU_DEP_1) | instskip(SKIP_2) | instid1(VALU_DEP_2)
	v_mul_f32_e32 v34, 0x4f800000, v32
	v_cmp_gt_f32_e32 vcc_lo, 0xf800000, v32
	s_wait_alu 0xfffd
	v_cndmask_b32_e32 v32, v32, v34, vcc_lo
	s_delay_alu instid0(VALU_DEP_1) | instskip(NEXT) | instid1(TRANS32_DEP_1)
	v_sqrt_f32_e32 v34, v32
	v_add_nc_u32_e32 v35, -1, v34
	v_add_nc_u32_e32 v42, 1, v34
	s_delay_alu instid0(VALU_DEP_2) | instskip(NEXT) | instid1(VALU_DEP_2)
	v_fma_f32 v43, -v35, v34, v32
	v_fma_f32 v44, -v42, v34, v32
	s_delay_alu instid0(VALU_DEP_2) | instskip(SKIP_1) | instid1(VALU_DEP_1)
	v_cmp_ge_f32_e64 s1, 0, v43
	s_wait_alu 0xf1ff
	v_cndmask_b32_e64 v34, v34, v35, s1
	s_delay_alu instid0(VALU_DEP_3) | instskip(SKIP_1) | instid1(VALU_DEP_1)
	v_cmp_lt_f32_e64 s1, 0, v44
	s_wait_alu 0xf1ff
	v_cndmask_b32_e64 v34, v34, v42, s1
	s_delay_alu instid0(VALU_DEP_1) | instskip(NEXT) | instid1(VALU_DEP_1)
	v_mul_f32_e32 v35, 0x37800000, v34
	v_cndmask_b32_e32 v34, v34, v35, vcc_lo
	v_cmp_class_f32_e64 vcc_lo, v32, 0x260
	s_wait_alu 0xfffd
	s_delay_alu instid0(VALU_DEP_2) | instskip(NEXT) | instid1(VALU_DEP_1)
	v_cndmask_b32_e32 v32, v34, v32, vcc_lo
	v_div_scale_f32 v34, null, v32, v32, 1.0
	s_delay_alu instid0(VALU_DEP_1) | instskip(NEXT) | instid1(TRANS32_DEP_1)
	v_rcp_f32_e32 v35, v34
	v_fma_f32 v42, -v34, v35, 1.0
	s_delay_alu instid0(VALU_DEP_1) | instskip(SKIP_1) | instid1(VALU_DEP_1)
	v_fmac_f32_e32 v35, v42, v35
	v_div_scale_f32 v42, vcc_lo, 1.0, v32, 1.0
	v_mul_f32_e32 v43, v42, v35
	s_delay_alu instid0(VALU_DEP_1) | instskip(NEXT) | instid1(VALU_DEP_1)
	v_fma_f32 v44, -v34, v43, v42
	v_fmac_f32_e32 v43, v44, v35
	s_delay_alu instid0(VALU_DEP_1) | instskip(SKIP_1) | instid1(VALU_DEP_1)
	v_fma_f32 v34, -v34, v43, v42
	s_wait_alu 0xfffd
	v_div_fmas_f32 v34, v34, v35, v43
	s_delay_alu instid0(VALU_DEP_1) | instskip(NEXT) | instid1(VALU_DEP_1)
	v_div_fixup_f32 v32, v34, v32, 1.0
	v_mul_f32_e32 v33, v33, v32
.LBB58_99:                              ;   in Loop: Header=BB58_95 Depth=3
	s_wait_alu 0xfffe
	s_and_not1_saveexec_b32 s77, s77
	s_cbranch_execz .LBB58_101
; %bb.100:                              ;   in Loop: Header=BB58_95 Depth=3
	v_div_scale_f32 v32, null, v31, v31, -v20
	v_div_scale_f32 v35, vcc_lo, -v20, v31, -v20
	s_delay_alu instid0(VALU_DEP_2) | instskip(NEXT) | instid1(TRANS32_DEP_1)
	v_rcp_f32_e32 v33, v32
	v_fma_f32 v34, -v32, v33, 1.0
	s_delay_alu instid0(VALU_DEP_1) | instskip(NEXT) | instid1(VALU_DEP_1)
	v_fmac_f32_e32 v33, v34, v33
	v_mul_f32_e32 v34, v35, v33
	s_delay_alu instid0(VALU_DEP_1) | instskip(NEXT) | instid1(VALU_DEP_1)
	v_fma_f32 v42, -v32, v34, v35
	v_fmac_f32_e32 v34, v42, v33
	s_delay_alu instid0(VALU_DEP_1) | instskip(SKIP_1) | instid1(VALU_DEP_1)
	v_fma_f32 v32, -v32, v34, v35
	s_wait_alu 0xfffd
	v_div_fmas_f32 v32, v32, v33, v34
	s_delay_alu instid0(VALU_DEP_1) | instskip(NEXT) | instid1(VALU_DEP_1)
	v_div_fixup_f32 v32, v32, v31, -v20
	v_fma_f32 v33, v32, v32, 1.0
	s_delay_alu instid0(VALU_DEP_1) | instskip(SKIP_2) | instid1(VALU_DEP_2)
	v_mul_f32_e32 v34, 0x4f800000, v33
	v_cmp_gt_f32_e32 vcc_lo, 0xf800000, v33
	s_wait_alu 0xfffd
	v_cndmask_b32_e32 v33, v33, v34, vcc_lo
	s_delay_alu instid0(VALU_DEP_1) | instskip(NEXT) | instid1(TRANS32_DEP_1)
	v_sqrt_f32_e32 v34, v33
	v_add_nc_u32_e32 v35, -1, v34
	v_add_nc_u32_e32 v42, 1, v34
	s_delay_alu instid0(VALU_DEP_2) | instskip(NEXT) | instid1(VALU_DEP_2)
	v_fma_f32 v43, -v35, v34, v33
	v_fma_f32 v44, -v42, v34, v33
	s_delay_alu instid0(VALU_DEP_2) | instskip(SKIP_1) | instid1(VALU_DEP_1)
	v_cmp_ge_f32_e64 s1, 0, v43
	s_wait_alu 0xf1ff
	v_cndmask_b32_e64 v34, v34, v35, s1
	s_delay_alu instid0(VALU_DEP_3) | instskip(SKIP_1) | instid1(VALU_DEP_1)
	v_cmp_lt_f32_e64 s1, 0, v44
	s_wait_alu 0xf1ff
	v_cndmask_b32_e64 v34, v34, v42, s1
	s_delay_alu instid0(VALU_DEP_1) | instskip(NEXT) | instid1(VALU_DEP_1)
	v_mul_f32_e32 v35, 0x37800000, v34
	v_cndmask_b32_e32 v34, v34, v35, vcc_lo
	v_cmp_class_f32_e64 vcc_lo, v33, 0x260
	s_wait_alu 0xfffd
	s_delay_alu instid0(VALU_DEP_2) | instskip(NEXT) | instid1(VALU_DEP_1)
	v_cndmask_b32_e32 v33, v34, v33, vcc_lo
	v_div_scale_f32 v34, null, v33, v33, 1.0
	s_delay_alu instid0(VALU_DEP_1) | instskip(NEXT) | instid1(TRANS32_DEP_1)
	v_rcp_f32_e32 v35, v34
	v_fma_f32 v42, -v34, v35, 1.0
	s_delay_alu instid0(VALU_DEP_1) | instskip(SKIP_1) | instid1(VALU_DEP_1)
	v_fmac_f32_e32 v35, v42, v35
	v_div_scale_f32 v42, vcc_lo, 1.0, v33, 1.0
	v_mul_f32_e32 v43, v42, v35
	s_delay_alu instid0(VALU_DEP_1) | instskip(NEXT) | instid1(VALU_DEP_1)
	v_fma_f32 v44, -v34, v43, v42
	v_fmac_f32_e32 v43, v44, v35
	s_delay_alu instid0(VALU_DEP_1) | instskip(SKIP_1) | instid1(VALU_DEP_1)
	v_fma_f32 v34, -v34, v43, v42
	s_wait_alu 0xfffd
	v_div_fmas_f32 v34, v34, v35, v43
	s_delay_alu instid0(VALU_DEP_1) | instskip(NEXT) | instid1(VALU_DEP_1)
	v_div_fixup_f32 v33, v34, v33, 1.0
	v_mul_f32_e32 v32, v32, v33
.LBB58_101:                             ;   in Loop: Header=BB58_95 Depth=3
	s_wait_alu 0xfffe
	s_or_b32 exec_lo, exec_lo, s77
	v_mul_f32_e32 v31, v31, v33
	s_delay_alu instid0(VALU_DEP_1)
	v_fma_f32 v34, v20, v32, -v31
.LBB58_102:                             ;   in Loop: Header=BB58_95 Depth=3
	s_wait_alu 0xfffe
	s_and_not1_saveexec_b32 s1, s76
; %bb.103:                              ;   in Loop: Header=BB58_95 Depth=3
	v_dual_mov_b32 v32, 0 :: v_dual_mov_b32 v33, 1.0
; %bb.104:                              ;   in Loop: Header=BB58_95 Depth=3
	s_wait_alu 0xfffe
	s_or_b32 exec_lo, exec_lo, s1
	v_mov_b32_e32 v20, v34
.LBB58_105:                             ;   in Loop: Header=BB58_95 Depth=3
	s_wait_alu 0xfffe
	s_or_b32 exec_lo, exec_lo, s75
	s_cmp_eq_u32 s74, 0
	s_cbranch_scc1 .LBB58_94
; %bb.106:                              ;   in Loop: Header=BB58_95 Depth=3
	global_store_b32 v[25:26], v20, off
	s_branch .LBB58_94
.LBB58_107:                             ;   in Loop: Header=BB58_68 Depth=2
	ds_store_2addr_b32 v36, v19, v15 offset0:1 offset1:4
	s_cbranch_execz .LBB58_80
	s_branch .LBB58_81
.LBB58_108:                             ;   in Loop: Header=BB58_68 Depth=2
	s_or_b32 exec_lo, exec_lo, s37
	ds_store_b32 v36, v29 offset:8
.LBB58_109:                             ;   in Loop: Header=BB58_68 Depth=2
	s_wait_alu 0xfffe
	s_or_b32 exec_lo, exec_lo, s35
	global_load_b32 v27, v[16:17], off
.LBB58_110:                             ;   in Loop: Header=BB58_68 Depth=2
	s_or_b32 exec_lo, exec_lo, s33
	s_wait_loadcnt 0x0
	v_sub_f32_e32 v15, v27, v29
                                        ; implicit-def: $vgpr27
                                        ; implicit-def: $vgpr19
	global_store_b32 v[16:17], v15, off
	global_store_b32 v[21:22], v20, off offset:-4
                                        ; implicit-def: $vgpr16_vgpr17
                                        ; implicit-def: $vgpr21_vgpr22
                                        ; implicit-def: $vgpr15
.LBB58_111:                             ;   in Loop: Header=BB58_68 Depth=2
	s_wait_alu 0xfffe
	s_and_not1_saveexec_b32 s33, s3
	s_cbranch_execz .LBB58_144
; %bb.112:                              ;   in Loop: Header=BB58_68 Depth=2
	v_ashrrev_i32_e32 v20, 31, v19
	s_mov_b32 s3, exec_lo
	s_delay_alu instid0(VALU_DEP_1) | instskip(NEXT) | instid1(VALU_DEP_1)
	v_lshlrev_b64_e32 v[18:19], 2, v[19:20]
	v_add_co_u32 v23, vcc_lo, s40, v18
	s_wait_alu 0xfffd
	s_delay_alu instid0(VALU_DEP_2)
	v_add_co_ci_u32_e64 v24, null, s41, v19, vcc_lo
	v_add_co_u32 v25, vcc_lo, s18, v18
	s_wait_alu 0xfffd
	v_add_co_ci_u32_e64 v26, null, s19, v19, vcc_lo
	global_load_b32 v28, v[23:24], off
	global_load_b32 v23, v[25:26], off
                                        ; implicit-def: $vgpr26
	s_wait_loadcnt 0x0
	v_dual_add_f32 v20, v28, v28 :: v_dual_sub_f32 v25, v23, v27
	s_delay_alu instid0(VALU_DEP_1) | instskip(NEXT) | instid1(VALU_DEP_2)
	v_and_b32_e32 v24, 0x7fffffff, v20
	v_cmpx_ngt_f32_e64 |v25|, |v20|
	s_wait_alu 0xfffe
	s_xor_b32 s3, exec_lo, s3
	s_cbranch_execz .LBB58_118
; %bb.113:                              ;   in Loop: Header=BB58_68 Depth=2
	v_cmp_nlt_f32_e64 s1, |v25|, |v20|
                                        ; implicit-def: $vgpr26
	s_and_saveexec_b32 s35, s1
	s_wait_alu 0xfffe
	s_xor_b32 s1, exec_lo, s35
	s_cbranch_execz .LBB58_115
; %bb.114:                              ;   in Loop: Header=BB58_68 Depth=2
	v_cvt_f64_f32_e32 v[29:30], v24
                                        ; implicit-def: $vgpr24
	s_delay_alu instid0(VALU_DEP_1) | instskip(NEXT) | instid1(VALU_DEP_1)
	v_mul_f64_e32 v[29:30], s[72:73], v[29:30]
	v_cvt_f32_f64_e32 v26, v[29:30]
.LBB58_115:                             ;   in Loop: Header=BB58_68 Depth=2
	s_wait_alu 0xfffe
	s_and_not1_saveexec_b32 s35, s1
	s_cbranch_execz .LBB58_117
; %bb.116:                              ;   in Loop: Header=BB58_68 Depth=2
	v_and_b32_e32 v26, 0x7fffffff, v25
	s_delay_alu instid0(VALU_DEP_1) | instskip(SKIP_1) | instid1(VALU_DEP_2)
	v_div_scale_f32 v29, null, v24, v24, v26
	v_div_scale_f32 v24, vcc_lo, v26, v24, v26
	v_rcp_f32_e32 v30, v29
	s_delay_alu instid0(TRANS32_DEP_1) | instskip(NEXT) | instid1(VALU_DEP_1)
	v_fma_f32 v31, -v29, v30, 1.0
	v_fmac_f32_e32 v30, v31, v30
	s_delay_alu instid0(VALU_DEP_1) | instskip(NEXT) | instid1(VALU_DEP_1)
	v_mul_f32_e32 v26, v24, v30
	v_fma_f32 v31, -v29, v26, v24
	s_delay_alu instid0(VALU_DEP_1) | instskip(NEXT) | instid1(VALU_DEP_1)
	v_fmac_f32_e32 v26, v31, v30
	v_fma_f32 v24, -v29, v26, v24
	s_wait_alu 0xfffd
	s_delay_alu instid0(VALU_DEP_1) | instskip(NEXT) | instid1(VALU_DEP_1)
	v_div_fmas_f32 v24, v24, v30, v26
	v_div_fixup_f32 v24, v24, |v20|, |v25|
	s_delay_alu instid0(VALU_DEP_1) | instskip(NEXT) | instid1(VALU_DEP_1)
	v_fma_f32 v24, v24, v24, 1.0
	v_mul_f32_e32 v26, 0x4f800000, v24
	v_cmp_gt_f32_e32 vcc_lo, 0xf800000, v24
	s_wait_alu 0xfffd
	s_delay_alu instid0(VALU_DEP_2) | instskip(NEXT) | instid1(VALU_DEP_1)
	v_cndmask_b32_e32 v24, v24, v26, vcc_lo
	v_sqrt_f32_e32 v26, v24
	s_delay_alu instid0(TRANS32_DEP_1) | instskip(SKIP_1) | instid1(VALU_DEP_2)
	v_add_nc_u32_e32 v29, -1, v26
	v_add_nc_u32_e32 v30, 1, v26
	v_fma_f32 v31, -v29, v26, v24
	s_delay_alu instid0(VALU_DEP_2) | instskip(NEXT) | instid1(VALU_DEP_2)
	v_fma_f32 v32, -v30, v26, v24
	v_cmp_ge_f32_e64 s1, 0, v31
	s_wait_alu 0xf1ff
	s_delay_alu instid0(VALU_DEP_1) | instskip(NEXT) | instid1(VALU_DEP_3)
	v_cndmask_b32_e64 v26, v26, v29, s1
	v_cmp_lt_f32_e64 s1, 0, v32
	s_wait_alu 0xf1ff
	s_delay_alu instid0(VALU_DEP_1) | instskip(NEXT) | instid1(VALU_DEP_1)
	v_cndmask_b32_e64 v26, v26, v30, s1
	v_mul_f32_e32 v29, 0x37800000, v26
	s_delay_alu instid0(VALU_DEP_1) | instskip(SKIP_2) | instid1(VALU_DEP_2)
	v_cndmask_b32_e32 v26, v26, v29, vcc_lo
	v_cmp_class_f32_e64 vcc_lo, v24, 0x260
	s_wait_alu 0xfffd
	v_cndmask_b32_e32 v24, v26, v24, vcc_lo
	s_delay_alu instid0(VALU_DEP_1)
	v_mul_f32_e64 v26, |v20|, v24
.LBB58_117:                             ;   in Loop: Header=BB58_68 Depth=2
	s_wait_alu 0xfffe
	s_or_b32 exec_lo, exec_lo, s35
                                        ; implicit-def: $vgpr24
.LBB58_118:                             ;   in Loop: Header=BB58_68 Depth=2
	s_wait_alu 0xfffe
	s_and_not1_saveexec_b32 s3, s3
	s_cbranch_execz .LBB58_120
; %bb.119:                              ;   in Loop: Header=BB58_68 Depth=2
	v_and_b32_e32 v26, 0x7fffffff, v25
	s_delay_alu instid0(VALU_DEP_1) | instskip(SKIP_1) | instid1(VALU_DEP_2)
	v_div_scale_f32 v29, null, v26, v26, v24
	v_div_scale_f32 v24, vcc_lo, v24, v26, v24
	v_rcp_f32_e32 v30, v29
	s_delay_alu instid0(TRANS32_DEP_1) | instskip(NEXT) | instid1(VALU_DEP_1)
	v_fma_f32 v31, -v29, v30, 1.0
	v_fmac_f32_e32 v30, v31, v30
	s_delay_alu instid0(VALU_DEP_1) | instskip(NEXT) | instid1(VALU_DEP_1)
	v_mul_f32_e32 v26, v24, v30
	v_fma_f32 v31, -v29, v26, v24
	s_delay_alu instid0(VALU_DEP_1) | instskip(NEXT) | instid1(VALU_DEP_1)
	v_fmac_f32_e32 v26, v31, v30
	v_fma_f32 v24, -v29, v26, v24
	s_wait_alu 0xfffd
	s_delay_alu instid0(VALU_DEP_1) | instskip(NEXT) | instid1(VALU_DEP_1)
	v_div_fmas_f32 v24, v24, v30, v26
	v_div_fixup_f32 v24, v24, |v25|, |v20|
	s_delay_alu instid0(VALU_DEP_1) | instskip(NEXT) | instid1(VALU_DEP_1)
	v_fma_f32 v24, v24, v24, 1.0
	v_mul_f32_e32 v26, 0x4f800000, v24
	v_cmp_gt_f32_e32 vcc_lo, 0xf800000, v24
	s_wait_alu 0xfffd
	s_delay_alu instid0(VALU_DEP_2) | instskip(NEXT) | instid1(VALU_DEP_1)
	v_cndmask_b32_e32 v24, v24, v26, vcc_lo
	v_sqrt_f32_e32 v26, v24
	s_delay_alu instid0(TRANS32_DEP_1) | instskip(SKIP_1) | instid1(VALU_DEP_2)
	v_add_nc_u32_e32 v29, -1, v26
	v_add_nc_u32_e32 v30, 1, v26
	v_fma_f32 v31, -v29, v26, v24
	s_delay_alu instid0(VALU_DEP_2) | instskip(NEXT) | instid1(VALU_DEP_2)
	v_fma_f32 v32, -v30, v26, v24
	v_cmp_ge_f32_e64 s1, 0, v31
	s_wait_alu 0xf1ff
	s_delay_alu instid0(VALU_DEP_1) | instskip(NEXT) | instid1(VALU_DEP_3)
	v_cndmask_b32_e64 v26, v26, v29, s1
	v_cmp_lt_f32_e64 s1, 0, v32
	s_wait_alu 0xf1ff
	s_delay_alu instid0(VALU_DEP_1) | instskip(NEXT) | instid1(VALU_DEP_1)
	v_cndmask_b32_e64 v26, v26, v30, s1
	v_mul_f32_e32 v29, 0x37800000, v26
	s_delay_alu instid0(VALU_DEP_1) | instskip(SKIP_2) | instid1(VALU_DEP_2)
	v_cndmask_b32_e32 v26, v26, v29, vcc_lo
	v_cmp_class_f32_e64 vcc_lo, v24, 0x260
	s_wait_alu 0xfffd
	v_cndmask_b32_e32 v24, v26, v24, vcc_lo
	s_delay_alu instid0(VALU_DEP_1)
	v_mul_f32_e64 v26, |v25|, v24
.LBB58_120:                             ;   in Loop: Header=BB58_68 Depth=2
	s_wait_alu 0xfffe
	s_or_b32 exec_lo, exec_lo, s3
	v_cmp_gt_f32_e64 vcc_lo, |v23|, |v27|
	v_add_f32_e32 v30, v27, v23
	s_mov_b32 s1, exec_lo
	s_wait_alu 0xfffd
	v_cndmask_b32_e32 v29, v23, v27, vcc_lo
	v_cndmask_b32_e32 v31, v27, v23, vcc_lo
                                        ; implicit-def: $vgpr24
	v_cmpx_ngt_f32_e32 0, v30
	s_wait_alu 0xfffe
	s_xor_b32 s3, exec_lo, s1
	s_cbranch_execz .LBB58_126
; %bb.121:                              ;   in Loop: Header=BB58_68 Depth=2
	s_mov_b32 s1, exec_lo
                                        ; implicit-def: $vgpr24
	v_cmpx_nlt_f32_e32 0, v30
	s_wait_alu 0xfffe
	s_xor_b32 s1, exec_lo, s1
; %bb.122:                              ;   in Loop: Header=BB58_68 Depth=2
	v_mul_f32_e32 v23, 0.5, v26
	v_mul_f32_e32 v24, -0.5, v26
                                        ; implicit-def: $vgpr30
                                        ; implicit-def: $vgpr31
                                        ; implicit-def: $vgpr29
                                        ; implicit-def: $vgpr28
; %bb.123:                              ;   in Loop: Header=BB58_68 Depth=2
	s_wait_alu 0xfffe
	s_and_not1_saveexec_b32 s35, s1
	s_cbranch_execz .LBB58_125
; %bb.124:                              ;   in Loop: Header=BB58_68 Depth=2
	v_add_f32_e32 v23, v30, v26
	v_cvt_f64_f32_e32 v[30:31], v31
	v_cvt_f64_f32_e32 v[27:28], v28
	s_delay_alu instid0(VALU_DEP_3) | instskip(NEXT) | instid1(VALU_DEP_1)
	v_mul_f32_e32 v23, 0.5, v23
	v_cvt_f64_f32_e32 v[32:33], v23
	s_delay_alu instid0(VALU_DEP_1) | instskip(NEXT) | instid1(VALU_DEP_4)
	v_div_scale_f64 v[34:35], null, v[32:33], v[32:33], v[30:31]
	v_div_scale_f64 v[42:43], null, v[32:33], v[32:33], v[27:28]
	v_div_scale_f64 v[52:53], vcc_lo, v[30:31], v[32:33], v[30:31]
	s_delay_alu instid0(VALU_DEP_3) | instskip(NEXT) | instid1(VALU_DEP_2)
	v_rcp_f64_e32 v[44:45], v[34:35]
	v_rcp_f64_e32 v[46:47], v[42:43]
	s_delay_alu instid0(TRANS32_DEP_2) | instskip(NEXT) | instid1(TRANS32_DEP_1)
	v_fma_f64 v[48:49], -v[34:35], v[44:45], 1.0
	v_fma_f64 v[50:51], -v[42:43], v[46:47], 1.0
	s_delay_alu instid0(VALU_DEP_2) | instskip(NEXT) | instid1(VALU_DEP_2)
	v_fma_f64 v[44:45], v[44:45], v[48:49], v[44:45]
	v_fma_f64 v[46:47], v[46:47], v[50:51], v[46:47]
	s_delay_alu instid0(VALU_DEP_2) | instskip(NEXT) | instid1(VALU_DEP_2)
	v_fma_f64 v[48:49], -v[34:35], v[44:45], 1.0
	v_fma_f64 v[50:51], -v[42:43], v[46:47], 1.0
	s_delay_alu instid0(VALU_DEP_2) | instskip(SKIP_1) | instid1(VALU_DEP_3)
	v_fma_f64 v[44:45], v[44:45], v[48:49], v[44:45]
	v_div_scale_f64 v[48:49], s1, v[27:28], v[32:33], v[27:28]
	v_fma_f64 v[46:47], v[46:47], v[50:51], v[46:47]
	s_delay_alu instid0(VALU_DEP_3) | instskip(NEXT) | instid1(VALU_DEP_2)
	v_mul_f64_e32 v[50:51], v[52:53], v[44:45]
	v_mul_f64_e32 v[54:55], v[48:49], v[46:47]
	s_delay_alu instid0(VALU_DEP_2) | instskip(NEXT) | instid1(VALU_DEP_2)
	v_fma_f64 v[34:35], -v[34:35], v[50:51], v[52:53]
	v_fma_f64 v[42:43], -v[42:43], v[54:55], v[48:49]
	s_wait_alu 0xfffd
	s_delay_alu instid0(VALU_DEP_2) | instskip(SKIP_2) | instid1(VALU_DEP_2)
	v_div_fmas_f64 v[34:35], v[34:35], v[44:45], v[50:51]
	s_mov_b32 vcc_lo, s1
	s_wait_alu 0xfffe
	v_div_fmas_f64 v[42:43], v[42:43], v[46:47], v[54:55]
	s_delay_alu instid0(VALU_DEP_2) | instskip(NEXT) | instid1(VALU_DEP_2)
	v_div_fixup_f64 v[30:31], v[34:35], v[32:33], v[30:31]
	v_div_fixup_f64 v[42:43], v[42:43], v[32:33], v[27:28]
	v_cvt_f64_f32_e32 v[32:33], v29
	s_delay_alu instid0(VALU_DEP_2) | instskip(NEXT) | instid1(VALU_DEP_1)
	v_mul_f64_e32 v[27:28], v[42:43], v[27:28]
	v_fma_f64 v[27:28], v[30:31], v[32:33], -v[27:28]
	s_delay_alu instid0(VALU_DEP_1)
	v_cvt_f32_f64_e32 v24, v[27:28]
.LBB58_125:                             ;   in Loop: Header=BB58_68 Depth=2
	s_wait_alu 0xfffe
	s_or_b32 exec_lo, exec_lo, s35
                                        ; implicit-def: $vgpr30
                                        ; implicit-def: $vgpr31
                                        ; implicit-def: $vgpr29
                                        ; implicit-def: $vgpr28
.LBB58_126:                             ;   in Loop: Header=BB58_68 Depth=2
	s_wait_alu 0xfffe
	s_or_saveexec_b32 s3, s3
	v_mov_b32_e32 v27, 1
	s_wait_alu 0xfffe
	s_xor_b32 exec_lo, exec_lo, s3
	s_cbranch_execz .LBB58_128
; %bb.127:                              ;   in Loop: Header=BB58_68 Depth=2
	v_sub_f32_e32 v23, v30, v26
	v_cvt_f64_f32_e32 v[30:31], v31
	v_cvt_f64_f32_e32 v[27:28], v28
	s_delay_alu instid0(VALU_DEP_3) | instskip(NEXT) | instid1(VALU_DEP_1)
	v_mul_f32_e32 v23, 0.5, v23
	v_cvt_f64_f32_e32 v[32:33], v23
	s_delay_alu instid0(VALU_DEP_1) | instskip(NEXT) | instid1(VALU_DEP_4)
	v_div_scale_f64 v[34:35], null, v[32:33], v[32:33], v[30:31]
	v_div_scale_f64 v[42:43], null, v[32:33], v[32:33], v[27:28]
	v_div_scale_f64 v[52:53], vcc_lo, v[30:31], v[32:33], v[30:31]
	s_delay_alu instid0(VALU_DEP_3) | instskip(NEXT) | instid1(VALU_DEP_2)
	v_rcp_f64_e32 v[44:45], v[34:35]
	v_rcp_f64_e32 v[46:47], v[42:43]
	s_delay_alu instid0(TRANS32_DEP_2) | instskip(NEXT) | instid1(TRANS32_DEP_1)
	v_fma_f64 v[48:49], -v[34:35], v[44:45], 1.0
	v_fma_f64 v[50:51], -v[42:43], v[46:47], 1.0
	s_delay_alu instid0(VALU_DEP_2) | instskip(NEXT) | instid1(VALU_DEP_2)
	v_fma_f64 v[44:45], v[44:45], v[48:49], v[44:45]
	v_fma_f64 v[46:47], v[46:47], v[50:51], v[46:47]
	s_delay_alu instid0(VALU_DEP_2) | instskip(NEXT) | instid1(VALU_DEP_2)
	v_fma_f64 v[48:49], -v[34:35], v[44:45], 1.0
	v_fma_f64 v[50:51], -v[42:43], v[46:47], 1.0
	s_delay_alu instid0(VALU_DEP_2) | instskip(SKIP_1) | instid1(VALU_DEP_3)
	v_fma_f64 v[44:45], v[44:45], v[48:49], v[44:45]
	v_div_scale_f64 v[48:49], s1, v[27:28], v[32:33], v[27:28]
	v_fma_f64 v[46:47], v[46:47], v[50:51], v[46:47]
	s_delay_alu instid0(VALU_DEP_3) | instskip(NEXT) | instid1(VALU_DEP_2)
	v_mul_f64_e32 v[50:51], v[52:53], v[44:45]
	v_mul_f64_e32 v[54:55], v[48:49], v[46:47]
	s_delay_alu instid0(VALU_DEP_2) | instskip(NEXT) | instid1(VALU_DEP_2)
	v_fma_f64 v[34:35], -v[34:35], v[50:51], v[52:53]
	v_fma_f64 v[42:43], -v[42:43], v[54:55], v[48:49]
	s_wait_alu 0xfffd
	s_delay_alu instid0(VALU_DEP_2) | instskip(SKIP_2) | instid1(VALU_DEP_2)
	v_div_fmas_f64 v[34:35], v[34:35], v[44:45], v[50:51]
	s_mov_b32 vcc_lo, s1
	s_wait_alu 0xfffe
	v_div_fmas_f64 v[42:43], v[42:43], v[46:47], v[54:55]
	s_delay_alu instid0(VALU_DEP_2) | instskip(NEXT) | instid1(VALU_DEP_2)
	v_div_fixup_f64 v[30:31], v[34:35], v[32:33], v[30:31]
	v_div_fixup_f64 v[42:43], v[42:43], v[32:33], v[27:28]
	v_cvt_f64_f32_e32 v[32:33], v29
	s_delay_alu instid0(VALU_DEP_2) | instskip(NEXT) | instid1(VALU_DEP_1)
	v_mul_f64_e32 v[27:28], v[42:43], v[27:28]
	v_fma_f64 v[27:28], v[30:31], v[32:33], -v[27:28]
	s_delay_alu instid0(VALU_DEP_1)
	v_cvt_f32_f64_e32 v24, v[27:28]
	v_mov_b32_e32 v27, -1
.LBB58_128:                             ;   in Loop: Header=BB58_68 Depth=2
	s_or_b32 exec_lo, exec_lo, s3
	v_cmp_nle_f32_e64 s1, 0, v25
	s_mov_b32 s35, exec_lo
                                        ; implicit-def: $vgpr28
	s_wait_alu 0xf1ff
	v_cndmask_b32_e64 v26, v26, -v26, s1
	s_delay_alu instid0(VALU_DEP_1) | instskip(NEXT) | instid1(VALU_DEP_1)
	v_add_f32_e32 v25, v25, v26
                                        ; implicit-def: $vgpr26
	v_cmpx_ngt_f32_e64 |v25|, |v20|
	s_wait_alu 0xfffe
	s_xor_b32 s35, exec_lo, s35
	s_cbranch_execz .LBB58_132
; %bb.129:                              ;   in Loop: Header=BB58_68 Depth=2
	v_mov_b32_e32 v26, 0
	v_mov_b32_e32 v28, 1.0
	s_mov_b32 s37, exec_lo
	v_cmpx_neq_f32_e32 0, v20
	s_cbranch_execz .LBB58_131
; %bb.130:                              ;   in Loop: Header=BB58_68 Depth=2
	v_div_scale_f32 v26, null, v20, v20, -v25
	v_div_scale_f32 v30, vcc_lo, -v25, v20, -v25
	s_delay_alu instid0(VALU_DEP_2) | instskip(NEXT) | instid1(TRANS32_DEP_1)
	v_rcp_f32_e32 v28, v26
	v_fma_f32 v29, -v26, v28, 1.0
	s_delay_alu instid0(VALU_DEP_1) | instskip(NEXT) | instid1(VALU_DEP_1)
	v_fmac_f32_e32 v28, v29, v28
	v_mul_f32_e32 v29, v30, v28
	s_delay_alu instid0(VALU_DEP_1) | instskip(NEXT) | instid1(VALU_DEP_1)
	v_fma_f32 v31, -v26, v29, v30
	v_fmac_f32_e32 v29, v31, v28
	s_delay_alu instid0(VALU_DEP_1) | instskip(SKIP_1) | instid1(VALU_DEP_1)
	v_fma_f32 v26, -v26, v29, v30
	s_wait_alu 0xfffd
	v_div_fmas_f32 v26, v26, v28, v29
	s_delay_alu instid0(VALU_DEP_1) | instskip(NEXT) | instid1(VALU_DEP_1)
	v_div_fixup_f32 v20, v26, v20, -v25
	v_fma_f32 v25, v20, v20, 1.0
	s_delay_alu instid0(VALU_DEP_1) | instskip(SKIP_2) | instid1(VALU_DEP_2)
	v_mul_f32_e32 v26, 0x4f800000, v25
	v_cmp_gt_f32_e32 vcc_lo, 0xf800000, v25
	s_wait_alu 0xfffd
	v_cndmask_b32_e32 v25, v25, v26, vcc_lo
	s_delay_alu instid0(VALU_DEP_1) | instskip(NEXT) | instid1(TRANS32_DEP_1)
	v_sqrt_f32_e32 v26, v25
	v_add_nc_u32_e32 v28, -1, v26
	v_add_nc_u32_e32 v29, 1, v26
	s_delay_alu instid0(VALU_DEP_2) | instskip(NEXT) | instid1(VALU_DEP_2)
	v_fma_f32 v30, -v28, v26, v25
	v_fma_f32 v31, -v29, v26, v25
	s_delay_alu instid0(VALU_DEP_2) | instskip(SKIP_1) | instid1(VALU_DEP_1)
	v_cmp_ge_f32_e64 s3, 0, v30
	s_wait_alu 0xf1ff
	v_cndmask_b32_e64 v26, v26, v28, s3
	s_delay_alu instid0(VALU_DEP_3) | instskip(SKIP_1) | instid1(VALU_DEP_1)
	v_cmp_lt_f32_e64 s3, 0, v31
	s_wait_alu 0xf1ff
	v_cndmask_b32_e64 v26, v26, v29, s3
	s_delay_alu instid0(VALU_DEP_1) | instskip(NEXT) | instid1(VALU_DEP_1)
	v_mul_f32_e32 v28, 0x37800000, v26
	v_cndmask_b32_e32 v26, v26, v28, vcc_lo
	v_cmp_class_f32_e64 vcc_lo, v25, 0x260
	s_wait_alu 0xfffd
	s_delay_alu instid0(VALU_DEP_2) | instskip(NEXT) | instid1(VALU_DEP_1)
	v_cndmask_b32_e32 v25, v26, v25, vcc_lo
	v_div_scale_f32 v26, null, v25, v25, 1.0
	s_delay_alu instid0(VALU_DEP_1) | instskip(NEXT) | instid1(TRANS32_DEP_1)
	v_rcp_f32_e32 v28, v26
	v_fma_f32 v29, -v26, v28, 1.0
	s_delay_alu instid0(VALU_DEP_1) | instskip(SKIP_1) | instid1(VALU_DEP_1)
	v_fmac_f32_e32 v28, v29, v28
	v_div_scale_f32 v29, vcc_lo, 1.0, v25, 1.0
	v_mul_f32_e32 v30, v29, v28
	s_delay_alu instid0(VALU_DEP_1) | instskip(NEXT) | instid1(VALU_DEP_1)
	v_fma_f32 v31, -v26, v30, v29
	v_fmac_f32_e32 v30, v31, v28
	s_delay_alu instid0(VALU_DEP_1) | instskip(SKIP_1) | instid1(VALU_DEP_1)
	v_fma_f32 v26, -v26, v30, v29
	s_wait_alu 0xfffd
	v_div_fmas_f32 v26, v26, v28, v30
	s_delay_alu instid0(VALU_DEP_1) | instskip(NEXT) | instid1(VALU_DEP_1)
	v_div_fixup_f32 v28, v26, v25, 1.0
	v_mul_f32_e32 v26, v20, v28
.LBB58_131:                             ;   in Loop: Header=BB58_68 Depth=2
	s_or_b32 exec_lo, exec_lo, s37
                                        ; implicit-def: $vgpr25
                                        ; implicit-def: $vgpr20
.LBB58_132:                             ;   in Loop: Header=BB58_68 Depth=2
	s_wait_alu 0xfffe
	s_and_not1_saveexec_b32 s35, s35
	s_cbranch_execz .LBB58_134
; %bb.133:                              ;   in Loop: Header=BB58_68 Depth=2
	v_div_scale_f32 v26, null, v25, v25, -v20
	v_div_scale_f32 v30, vcc_lo, -v20, v25, -v20
	s_delay_alu instid0(VALU_DEP_2) | instskip(NEXT) | instid1(TRANS32_DEP_1)
	v_rcp_f32_e32 v28, v26
	v_fma_f32 v29, -v26, v28, 1.0
	s_delay_alu instid0(VALU_DEP_1) | instskip(NEXT) | instid1(VALU_DEP_1)
	v_fmac_f32_e32 v28, v29, v28
	v_mul_f32_e32 v29, v30, v28
	s_delay_alu instid0(VALU_DEP_1) | instskip(NEXT) | instid1(VALU_DEP_1)
	v_fma_f32 v31, -v26, v29, v30
	v_fmac_f32_e32 v29, v31, v28
	s_delay_alu instid0(VALU_DEP_1) | instskip(SKIP_1) | instid1(VALU_DEP_1)
	v_fma_f32 v26, -v26, v29, v30
	s_wait_alu 0xfffd
	v_div_fmas_f32 v26, v26, v28, v29
	s_delay_alu instid0(VALU_DEP_1) | instskip(NEXT) | instid1(VALU_DEP_1)
	v_div_fixup_f32 v20, v26, v25, -v20
	v_fma_f32 v25, v20, v20, 1.0
	s_delay_alu instid0(VALU_DEP_1) | instskip(SKIP_2) | instid1(VALU_DEP_2)
	v_mul_f32_e32 v26, 0x4f800000, v25
	v_cmp_gt_f32_e32 vcc_lo, 0xf800000, v25
	s_wait_alu 0xfffd
	v_cndmask_b32_e32 v25, v25, v26, vcc_lo
	s_delay_alu instid0(VALU_DEP_1) | instskip(NEXT) | instid1(TRANS32_DEP_1)
	v_sqrt_f32_e32 v26, v25
	v_add_nc_u32_e32 v28, -1, v26
	v_add_nc_u32_e32 v29, 1, v26
	s_delay_alu instid0(VALU_DEP_2) | instskip(NEXT) | instid1(VALU_DEP_2)
	v_fma_f32 v30, -v28, v26, v25
	v_fma_f32 v31, -v29, v26, v25
	s_delay_alu instid0(VALU_DEP_2) | instskip(SKIP_1) | instid1(VALU_DEP_1)
	v_cmp_ge_f32_e64 s3, 0, v30
	s_wait_alu 0xf1ff
	v_cndmask_b32_e64 v26, v26, v28, s3
	s_delay_alu instid0(VALU_DEP_3) | instskip(SKIP_1) | instid1(VALU_DEP_1)
	v_cmp_lt_f32_e64 s3, 0, v31
	s_wait_alu 0xf1ff
	v_cndmask_b32_e64 v26, v26, v29, s3
	s_delay_alu instid0(VALU_DEP_1) | instskip(NEXT) | instid1(VALU_DEP_1)
	v_mul_f32_e32 v28, 0x37800000, v26
	v_cndmask_b32_e32 v26, v26, v28, vcc_lo
	v_cmp_class_f32_e64 vcc_lo, v25, 0x260
	s_wait_alu 0xfffd
	s_delay_alu instid0(VALU_DEP_2) | instskip(NEXT) | instid1(VALU_DEP_1)
	v_cndmask_b32_e32 v25, v26, v25, vcc_lo
	v_div_scale_f32 v26, null, v25, v25, 1.0
	s_delay_alu instid0(VALU_DEP_1) | instskip(NEXT) | instid1(TRANS32_DEP_1)
	v_rcp_f32_e32 v28, v26
	v_fma_f32 v29, -v26, v28, 1.0
	s_delay_alu instid0(VALU_DEP_1) | instskip(SKIP_1) | instid1(VALU_DEP_1)
	v_fmac_f32_e32 v28, v29, v28
	v_div_scale_f32 v29, vcc_lo, 1.0, v25, 1.0
	v_mul_f32_e32 v30, v29, v28
	s_delay_alu instid0(VALU_DEP_1) | instskip(NEXT) | instid1(VALU_DEP_1)
	v_fma_f32 v31, -v26, v30, v29
	v_fmac_f32_e32 v30, v31, v28
	s_delay_alu instid0(VALU_DEP_1) | instskip(SKIP_1) | instid1(VALU_DEP_1)
	v_fma_f32 v26, -v26, v30, v29
	s_wait_alu 0xfffd
	v_div_fmas_f32 v26, v26, v28, v30
	s_delay_alu instid0(VALU_DEP_1) | instskip(NEXT) | instid1(VALU_DEP_1)
	v_div_fixup_f32 v26, v26, v25, 1.0
	v_mul_f32_e32 v28, v20, v26
.LBB58_134:                             ;   in Loop: Header=BB58_68 Depth=2
	s_wait_alu 0xfffe
	s_or_b32 exec_lo, exec_lo, s35
	v_cndmask_b32_e64 v20, 1, -1, s1
	v_add_co_u32 v18, s1, s44, v18
	s_wait_alu 0xf1ff
	v_add_co_ci_u32_e64 v19, null, s45, v19, s1
	s_delay_alu instid0(VALU_DEP_3)
	v_cmp_eq_u32_e32 vcc_lo, v27, v20
	v_add_nc_u32_e32 v15, -2, v15
	s_wait_alu 0xfffd
	v_cndmask_b32_e64 v27, v28, -v26, vcc_lo
	v_cndmask_b32_e32 v28, v26, v28, vcc_lo
	v_add_co_u32 v25, vcc_lo, v18, s50
	s_wait_alu 0xfffd
	v_add_co_ci_u32_e64 v26, null, s51, v19, vcc_lo
	v_add_co_u32 v20, vcc_lo, s40, v21
	s_wait_alu 0xfffd
	v_add_co_ci_u32_e64 v21, null, s41, v22, vcc_lo
	s_clause 0x1
	global_store_b32 v[18:19], v27, off
	global_store_b32 v[25:26], v28, off offset:-4
	global_store_b64 v[16:17], v[23:24], off offset:-4
	global_store_b32 v[20:21], v36, off offset:-4
	ds_store_b32 v36, v15
	s_or_b32 exec_lo, exec_lo, s33
                                        ; implicit-def: $vgpr20
.LBB58_135:                             ;   in Loop: Header=BB58_68 Depth=2
	s_wait_alu 0xfffe
	s_and_not1_saveexec_b32 s1, s7
.LBB58_136:                             ;   in Loop: Header=BB58_68 Depth=2
	ds_store_b32 v36, v20
.LBB58_137:                             ;   in Loop: Header=BB58_68 Depth=2
	s_wait_alu 0xfffe
	s_or_b32 exec_lo, exec_lo, s1
.LBB58_138:                             ;   in Loop: Header=BB58_68 Depth=2
	s_wait_alu 0xfffe
	s_or_b32 exec_lo, exec_lo, s4
	s_wait_storecnt 0x0
	s_wait_loadcnt_dscnt 0x0
	s_barrier_signal -1
	s_barrier_wait -1
	global_inv scope:SCOPE_SE
	ds_load_b64 v[15:16], v36
	s_wait_dscnt 0x0
	v_readfirstlane_b32 s74, v16
	s_wait_alu 0xf1ff
	s_delay_alu instid0(VALU_DEP_1)
	v_cmp_eq_u32_e32 vcc_lo, s74, v15
	v_mov_b32_e32 v15, s74
	s_cbranch_vccnz .LBB58_67
; %bb.139:                              ;   in Loop: Header=BB58_68 Depth=2
	s_and_saveexec_b32 s3, s0
	s_cbranch_execz .LBB58_66
; %bb.140:                              ;   in Loop: Header=BB58_68 Depth=2
	ds_load_b32 v15, v36 offset:16
	s_mul_i32 s76, s74, s11
	s_ashr_i32 s75, s74, 31
	s_wait_alu 0xfffe
	s_ashr_i32 s77, s76, 31
	s_lshl_b64 s[78:79], s[74:75], 2
	s_wait_alu 0xfffe
	s_lshl_b64 s[80:81], s[76:77], 3
	v_mov_b32_e32 v17, v0
	s_add_nc_u64 s[76:77], s[44:45], s[78:79]
	s_wait_alu 0xfffe
	s_add_nc_u64 s[78:79], s[42:43], s[80:81]
	s_mov_b32 s7, 0
	s_wait_dscnt 0x0
	v_readfirstlane_b32 s1, v15
	v_add_co_u32 v15, vcc_lo, v37, s80
	s_wait_alu 0xfffd
	v_add_co_ci_u32_e64 v16, null, s81, v38, vcc_lo
	s_sub_co_i32 s74, s1, s74
	s_wait_alu 0xfffe
	s_cmp_gt_i32 s74, 0
	s_cselect_b32 s4, -1, 0
	s_ashr_i32 s75, s74, 31
	s_wait_alu 0xfffe
	s_mul_u64 s[82:83], s[74:75], s[46:47]
	s_wait_alu 0xfffe
	s_lshl_b64 s[80:81], s[82:83], 3
	s_wait_alu 0xfffe
	s_add_nc_u64 s[80:81], s[78:79], s[80:81]
	s_branch .LBB58_142
.LBB58_141:                             ;   in Loop: Header=BB58_142 Depth=3
	v_add_nc_u32_e32 v17, s34, v17
	v_add_co_u32 v18, vcc_lo, s80, v18
	s_wait_alu 0xfffd
	v_add_co_ci_u32_e64 v19, null, s81, v19, vcc_lo
	s_delay_alu instid0(VALU_DEP_3)
	v_cmp_le_i32_e32 vcc_lo, s6, v17
	v_add_co_u32 v15, s1, v15, s66
	s_wait_alu 0xf1ff
	v_add_co_ci_u32_e64 v16, null, s67, v16, s1
	s_or_b32 s7, vcc_lo, s7
	s_wait_loadcnt 0x0
	global_store_b64 v[18:19], v[20:21], off
	s_wait_alu 0xfffe
	s_and_not1_b32 exec_lo, exec_lo, s7
	s_cbranch_execz .LBB58_66
.LBB58_142:                             ;   Parent Loop BB58_7 Depth=1
                                        ;     Parent Loop BB58_68 Depth=2
                                        ; =>    This Loop Header: Depth=3
                                        ;         Child Loop BB58_143 Depth 4
	v_ashrrev_i32_e32 v18, 31, v17
	v_dual_mov_b32 v23, v16 :: v_dual_mov_b32 v22, v15
	s_mov_b64 s[82:83], s[76:77]
	s_mov_b32 s1, s74
	s_delay_alu instid0(VALU_DEP_2) | instskip(NEXT) | instid1(VALU_DEP_1)
	v_lshlrev_b64_e32 v[18:19], 3, v[17:18]
	v_add_co_u32 v20, vcc_lo, s78, v18
	s_wait_alu 0xfffd
	s_delay_alu instid0(VALU_DEP_2)
	v_add_co_ci_u32_e64 v21, null, s79, v19, vcc_lo
	s_and_not1_b32 vcc_lo, exec_lo, s4
	global_load_b64 v[20:21], v[20:21], off
	s_wait_alu 0xfffe
	s_cbranch_vccnz .LBB58_141
.LBB58_143:                             ;   Parent Loop BB58_7 Depth=1
                                        ;     Parent Loop BB58_68 Depth=2
                                        ;       Parent Loop BB58_142 Depth=3
                                        ; =>      This Inner Loop Header: Depth=4
	s_delay_alu instid0(VALU_DEP_1)
	v_add_co_u32 v24, vcc_lo, v22, s64
	s_wait_alu 0xfffd
	v_add_co_ci_u32_e64 v25, null, s65, v23, vcc_lo
	s_wait_alu 0xfffe
	s_add_nc_u64 s[84:85], s[82:83], s[62:63]
	s_add_co_i32 s1, s1, -1
	global_load_b64 v[26:27], v[24:25], off offset:-4
	s_clause 0x1
	global_load_b32 v30, v36, s[84:85]
	global_load_b32 v31, v36, s[82:83]
	s_wait_alu 0xfffe
	s_cmp_eq_u32 s1, 0
	s_add_nc_u64 s[82:83], s[82:83], 4
	s_wait_loadcnt 0x1
	v_dual_mul_f32 v29, v30, v27 :: v_dual_mul_f32 v32, v20, v30
	v_mul_f32_e32 v28, v30, v26
	v_mul_f32_e32 v30, v21, v30
	s_wait_loadcnt 0x0
	s_delay_alu instid0(VALU_DEP_3) | instskip(NEXT) | instid1(VALU_DEP_3)
	v_fmac_f32_e32 v29, v21, v31
	v_fmac_f32_e32 v28, v20, v31
	v_fma_f32 v20, v31, v26, -v32
	v_fma_f32 v21, v31, v27, -v30
	global_store_b64 v[22:23], v[28:29], off offset:-4
	v_dual_mov_b32 v22, v24 :: v_dual_mov_b32 v23, v25
	s_cbranch_scc0 .LBB58_143
	s_branch .LBB58_141
.LBB58_144:                             ;   in Loop: Header=BB58_68 Depth=2
	s_or_b32 exec_lo, exec_lo, s33
                                        ; implicit-def: $vgpr20
	s_and_not1_saveexec_b32 s1, s7
	s_cbranch_execnz .LBB58_136
	s_branch .LBB58_137
.LBB58_145:                             ;   in Loop: Header=BB58_147 Depth=2
	s_wait_alu 0xfffe
	s_or_b32 exec_lo, exec_lo, s7
	s_wait_loadcnt 0x0
	s_wait_storecnt 0x0
	s_barrier_signal -1
	s_barrier_wait -1
	global_inv scope:SCOPE_SE
	ds_load_b32 v23, v36
.LBB58_146:                             ;   in Loop: Header=BB58_147 Depth=2
	ds_load_2addr_b32 v[29:30], v36 offset0:5 offset1:7
	s_wait_dscnt 0x0
	v_cmp_le_i32_e32 vcc_lo, v23, v29
	v_cmp_gt_i32_e64 s3, s24, v30
	s_and_b32 s3, vcc_lo, s3
	s_wait_alu 0xfffe
	s_and_not1_b32 vcc_lo, exec_lo, s3
	s_wait_alu 0xfffe
	s_cbranch_vccnz .LBB58_50
.LBB58_147:                             ;   Parent Loop BB58_7 Depth=1
                                        ; =>  This Loop Header: Depth=2
                                        ;       Child Loop BB58_153 Depth 3
                                        ;       Child Loop BB58_173 Depth 3
	;; [unrolled: 1-line block ×3, first 2 shown]
                                        ;         Child Loop BB58_221 Depth 4
	s_and_saveexec_b32 s7, s2
	s_cbranch_execz .LBB58_216
; %bb.148:                              ;   in Loop: Header=BB58_147 Depth=2
	v_cmp_lt_i32_e32 vcc_lo, v23, v29
	s_mov_b32 s3, 0
	s_cbranch_vccnz .LBB58_150
; %bb.149:                              ;   in Loop: Header=BB58_147 Depth=2
	v_ashrrev_i32_e32 v24, 31, v23
	s_mov_b32 s4, -1
	s_delay_alu instid0(VALU_DEP_1)
	v_mov_b32_e32 v25, v24
	v_mov_b32_e32 v24, v23
	;; [unrolled: 1-line block ×3, first 2 shown]
	s_cbranch_execz .LBB58_151
	s_branch .LBB58_156
.LBB58_150:                             ;   in Loop: Header=BB58_147 Depth=2
	s_mov_b32 s4, 0
                                        ; implicit-def: $vgpr24_vgpr25
	v_mov_b32_e32 v26, v23
.LBB58_151:                             ;   in Loop: Header=BB58_147 Depth=2
	v_ashrrev_i32_e32 v24, 31, v23
	v_mov_b32_e32 v27, v23
	s_delay_alu instid0(VALU_DEP_2) | instskip(NEXT) | instid1(VALU_DEP_1)
	v_lshlrev_b64_e32 v[19:20], 2, v[23:24]
	v_add_co_u32 v25, vcc_lo, s40, v19
	s_wait_alu 0xfffd
	s_delay_alu instid0(VALU_DEP_2)
	v_add_co_ci_u32_e64 v26, null, s41, v20, vcc_lo
	v_add_co_u32 v21, vcc_lo, s48, v19
	s_wait_alu 0xfffd
	v_add_co_ci_u32_e64 v22, null, s49, v20, vcc_lo
	s_branch .LBB58_153
.LBB58_152:                             ;   in Loop: Header=BB58_153 Depth=3
	s_delay_alu instid0(VALU_DEP_1)
	v_add_nc_u32_e32 v27, 1, v16
	v_add_co_u32 v25, vcc_lo, v19, 4
	s_wait_alu 0xfffd
	v_add_co_ci_u32_e64 v26, null, 0, v20, vcc_lo
	v_add_co_u32 v21, vcc_lo, v21, 4
	s_wait_alu 0xfffd
	v_add_co_ci_u32_e64 v22, null, 0, v22, vcc_lo
	v_cmp_ge_i32_e64 s4, v27, v29
	s_mov_b32 s3, 0
	s_wait_alu 0xfffe
	s_and_not1_b32 vcc_lo, exec_lo, s4
	s_wait_alu 0xfffe
	s_cbranch_vccz .LBB58_155
.LBB58_153:                             ;   Parent Loop BB58_7 Depth=1
                                        ;     Parent Loop BB58_147 Depth=2
                                        ; =>    This Inner Loop Header: Depth=3
	v_dual_mov_b32 v19, v25 :: v_dual_mov_b32 v20, v26
	global_load_b64 v[25:26], v[21:22], off
	global_load_b32 v16, v[19:20], off
	s_wait_loadcnt 0x0
	v_dual_mul_f32 v25, v25, v26 :: v_dual_mul_f32 v16, v16, v16
	s_delay_alu instid0(VALU_DEP_1) | instskip(NEXT) | instid1(VALU_DEP_1)
	v_and_b32_e32 v25, 0x7fffffff, v25
	v_dual_mul_f32 v25, s10, v25 :: v_dual_and_b32 v16, 0x7fffffff, v16
	s_delay_alu instid0(VALU_DEP_1)
	v_cmp_le_f32_e32 vcc_lo, v16, v25
	v_mov_b32_e32 v16, v27
	s_cbranch_vccz .LBB58_152
; %bb.154:                              ;   in Loop: Header=BB58_147 Depth=2
	s_mov_b32 s3, -1
                                        ; implicit-def: $vgpr27
                                        ; implicit-def: $vgpr25_vgpr26
                                        ; implicit-def: $vgpr21_vgpr22
.LBB58_155:                             ;   in Loop: Header=BB58_147 Depth=2
	v_dual_mov_b32 v21, v23 :: v_dual_mov_b32 v22, v24
	v_dual_mov_b32 v26, v29 :: v_dual_mov_b32 v25, v24
	v_mov_b32_e32 v24, v23
	s_wait_alu 0xfffe
	s_xor_b32 s4, s3, -1
	s_mov_b32 s3, -1
.LBB58_156:                             ;   in Loop: Header=BB58_147 Depth=2
	s_wait_alu 0xfffe
	s_and_b32 vcc_lo, exec_lo, s4
	s_wait_alu 0xfffe
	s_cbranch_vccnz .LBB58_185
; %bb.157:                              ;   in Loop: Header=BB58_147 Depth=2
	s_and_not1_b32 vcc_lo, exec_lo, s3
	s_wait_alu 0xfffe
	s_cbranch_vccnz .LBB58_159
.LBB58_158:                             ;   in Loop: Header=BB58_147 Depth=2
	v_dual_mov_b32 v25, v22 :: v_dual_mov_b32 v24, v21
	v_mov_b32_e32 v26, v16
	ds_store_2addr_b32 v36, v16, v23 offset0:1 offset1:4
	global_store_b32 v[19:20], v36, off
.LBB58_159:                             ;   in Loop: Header=BB58_147 Depth=2
	v_lshlrev_b64_e32 v[28:29], 2, v[24:25]
	v_add_nc_u32_e32 v27, 1, v23
	s_mov_b32 s3, exec_lo
	s_delay_alu instid0(VALU_DEP_2) | instskip(SKIP_1) | instid1(VALU_DEP_3)
	v_add_co_u32 v24, vcc_lo, s18, v28
	s_wait_alu 0xfffd
	v_add_co_ci_u32_e64 v25, null, s19, v29, vcc_lo
	global_load_b32 v42, v[24:25], off
	s_wait_loadcnt 0x0
	ds_store_b32 v36, v42 offset:8
	v_cmpx_ne_u32_e64 v26, v23
	s_wait_alu 0xfffe
	s_xor_b32 s33, exec_lo, s3
	s_cbranch_execz .LBB58_213
; %bb.160:                              ;   in Loop: Header=BB58_147 Depth=2
	s_mov_b32 s3, exec_lo
	v_cmpx_ne_u32_e64 v26, v27
	s_wait_alu 0xfffe
	s_xor_b32 s4, exec_lo, s3
	s_cbranch_execz .LBB58_189
; %bb.161:                              ;   in Loop: Header=BB58_147 Depth=2
	v_add_co_u32 v28, vcc_lo, s40, v28
	s_wait_alu 0xfffd
	v_add_co_ci_u32_e64 v29, null, s41, v29, vcc_lo
	v_ashrrev_i32_e32 v27, 31, v26
	s_mov_b32 s35, exec_lo
	global_load_b32 v35, v[24:25], off offset:4
	global_load_b32 v43, v[28:29], off
	v_add_nc_u32_e32 v30, 1, v30
	v_lshlrev_b64_e32 v[33:34], 2, v[26:27]
	ds_store_2addr_b32 v36, v36, v30 offset0:2 offset1:7
	v_add_co_u32 v31, vcc_lo, s18, v33
	s_wait_alu 0xfffd
	v_add_co_ci_u32_e64 v32, null, s19, v34, vcc_lo
	global_load_b32 v44, v[31:32], off
	s_wait_loadcnt 0x2
	v_sub_f32_e32 v27, v35, v42
	s_wait_loadcnt 0x1
	v_add_f32_e32 v35, v43, v43
	s_delay_alu instid0(VALU_DEP_1) | instskip(SKIP_1) | instid1(VALU_DEP_2)
	v_div_scale_f32 v45, null, v35, v35, v27
	v_div_scale_f32 v48, vcc_lo, v27, v35, v27
	v_rcp_f32_e32 v46, v45
	s_delay_alu instid0(TRANS32_DEP_1) | instskip(NEXT) | instid1(VALU_DEP_1)
	v_fma_f32 v47, -v45, v46, 1.0
	v_fmac_f32_e32 v46, v47, v46
	s_delay_alu instid0(VALU_DEP_1) | instskip(NEXT) | instid1(VALU_DEP_1)
	v_mul_f32_e32 v47, v48, v46
	v_fma_f32 v49, -v45, v47, v48
	s_delay_alu instid0(VALU_DEP_1) | instskip(NEXT) | instid1(VALU_DEP_1)
	v_fmac_f32_e32 v47, v49, v46
	v_fma_f32 v45, -v45, v47, v48
	s_wait_alu 0xfffd
	s_delay_alu instid0(VALU_DEP_1) | instskip(NEXT) | instid1(VALU_DEP_1)
	v_div_fmas_f32 v45, v45, v46, v47
	v_div_fixup_f32 v27, v45, v35, v27
	s_delay_alu instid0(VALU_DEP_1) | instskip(NEXT) | instid1(VALU_DEP_1)
	v_fma_f32 v35, v27, v27, 1.0
	v_mul_f32_e32 v45, 0x4f800000, v35
	v_cmp_gt_f32_e32 vcc_lo, 0xf800000, v35
	s_wait_alu 0xfffd
	s_delay_alu instid0(VALU_DEP_2) | instskip(NEXT) | instid1(VALU_DEP_1)
	v_cndmask_b32_e32 v35, v35, v45, vcc_lo
	v_sqrt_f32_e32 v45, v35
	s_delay_alu instid0(TRANS32_DEP_1) | instskip(SKIP_1) | instid1(VALU_DEP_2)
	v_add_nc_u32_e32 v46, -1, v45
	v_add_nc_u32_e32 v47, 1, v45
	v_fma_f32 v48, -v46, v45, v35
	s_delay_alu instid0(VALU_DEP_2) | instskip(NEXT) | instid1(VALU_DEP_2)
	v_fma_f32 v49, -v47, v45, v35
	v_cmp_ge_f32_e64 s3, 0, v48
	s_wait_alu 0xf1ff
	s_delay_alu instid0(VALU_DEP_1) | instskip(NEXT) | instid1(VALU_DEP_3)
	v_cndmask_b32_e64 v45, v45, v46, s3
	v_cmp_lt_f32_e64 s3, 0, v49
	s_wait_alu 0xf1ff
	s_delay_alu instid0(VALU_DEP_1) | instskip(NEXT) | instid1(VALU_DEP_1)
	v_cndmask_b32_e64 v45, v45, v47, s3
	v_mul_f32_e32 v46, 0x37800000, v45
	s_delay_alu instid0(VALU_DEP_1) | instskip(SKIP_2) | instid1(VALU_DEP_2)
	v_cndmask_b32_e32 v45, v45, v46, vcc_lo
	v_cmp_class_f32_e64 vcc_lo, v35, 0x260
	s_wait_alu 0xfffd
	v_cndmask_b32_e32 v35, v45, v35, vcc_lo
	v_cmp_nle_f32_e32 vcc_lo, 0, v27
	s_wait_alu 0xfffd
	s_delay_alu instid0(VALU_DEP_2) | instskip(NEXT) | instid1(VALU_DEP_1)
	v_cndmask_b32_e64 v35, |v35|, -|v35|, vcc_lo
	v_add_f32_e32 v27, v27, v35
	s_delay_alu instid0(VALU_DEP_1) | instskip(SKIP_1) | instid1(VALU_DEP_2)
	v_div_scale_f32 v35, null, v27, v27, v43
	v_div_scale_f32 v47, vcc_lo, v43, v27, v43
	v_rcp_f32_e32 v45, v35
	s_delay_alu instid0(TRANS32_DEP_1) | instskip(NEXT) | instid1(VALU_DEP_1)
	v_fma_f32 v46, -v35, v45, 1.0
	v_fmac_f32_e32 v45, v46, v45
	s_delay_alu instid0(VALU_DEP_1) | instskip(NEXT) | instid1(VALU_DEP_1)
	v_mul_f32_e32 v46, v47, v45
	v_fma_f32 v48, -v35, v46, v47
	s_delay_alu instid0(VALU_DEP_1) | instskip(NEXT) | instid1(VALU_DEP_1)
	v_fmac_f32_e32 v46, v48, v45
	v_fma_f32 v35, -v35, v46, v47
	s_wait_alu 0xfffd
	s_delay_alu instid0(VALU_DEP_1) | instskip(SKIP_2) | instid1(VALU_DEP_2)
	v_div_fmas_f32 v35, v35, v45, v46
	s_wait_loadcnt 0x0
	v_sub_f32_e32 v45, v44, v42
	v_div_fixup_f32 v27, v35, v27, v43
	v_mov_b32_e32 v43, 0
	s_delay_alu instid0(VALU_DEP_2)
	v_add_f32_e32 v35, v45, v27
	v_cmpx_gt_i32_e64 v26, v23
	s_cbranch_execz .LBB58_188
; %bb.162:                              ;   in Loop: Header=BB58_147 Depth=2
	v_add_co_u32 v42, vcc_lo, s40, v33
	s_wait_alu 0xfffd
	v_add_co_ci_u32_e64 v43, null, s41, v34, vcc_lo
	v_mov_b32_e32 v45, 0
	v_mov_b32_e32 v27, 1.0
	s_mov_b32 s37, exec_lo
	global_load_b32 v42, v[42:43], off offset:-4
	s_wait_loadcnt 0x0
	v_cmpx_neq_f32_e32 0, v42
	s_cbranch_execz .LBB58_170
; %bb.163:                              ;   in Loop: Header=BB58_147 Depth=2
	v_mov_b32_e32 v27, 0
	v_mov_b32_e32 v45, 1.0
	s_mov_b32 s74, exec_lo
	v_cmpx_neq_f32_e32 0, v35
	s_cbranch_execz .LBB58_169
; %bb.164:                              ;   in Loop: Header=BB58_147 Depth=2
	s_mov_b32 s75, exec_lo
                                        ; implicit-def: $vgpr45
                                        ; implicit-def: $vgpr27
	v_cmpx_ngt_f32_e64 |v42|, |v35|
	s_wait_alu 0xfffe
	s_xor_b32 s75, exec_lo, s75
	s_cbranch_execz .LBB58_166
; %bb.165:                              ;   in Loop: Header=BB58_147 Depth=2
	v_div_scale_f32 v27, null, v35, v35, -v42
	v_div_scale_f32 v45, vcc_lo, -v42, v35, -v42
	s_delay_alu instid0(VALU_DEP_2) | instskip(NEXT) | instid1(TRANS32_DEP_1)
	v_rcp_f32_e32 v30, v27
	v_fma_f32 v43, -v27, v30, 1.0
	s_delay_alu instid0(VALU_DEP_1) | instskip(NEXT) | instid1(VALU_DEP_1)
	v_fmac_f32_e32 v30, v43, v30
	v_mul_f32_e32 v43, v45, v30
	s_delay_alu instid0(VALU_DEP_1) | instskip(NEXT) | instid1(VALU_DEP_1)
	v_fma_f32 v46, -v27, v43, v45
	v_fmac_f32_e32 v43, v46, v30
	s_delay_alu instid0(VALU_DEP_1) | instskip(SKIP_1) | instid1(VALU_DEP_1)
	v_fma_f32 v27, -v27, v43, v45
	s_wait_alu 0xfffd
	v_div_fmas_f32 v27, v27, v30, v43
	s_delay_alu instid0(VALU_DEP_1) | instskip(NEXT) | instid1(VALU_DEP_1)
	v_div_fixup_f32 v30, v27, v35, -v42
	v_fma_f32 v27, v30, v30, 1.0
	s_delay_alu instid0(VALU_DEP_1) | instskip(SKIP_2) | instid1(VALU_DEP_2)
	v_mul_f32_e32 v35, 0x4f800000, v27
	v_cmp_gt_f32_e32 vcc_lo, 0xf800000, v27
	s_wait_alu 0xfffd
	v_cndmask_b32_e32 v27, v27, v35, vcc_lo
	s_delay_alu instid0(VALU_DEP_1) | instskip(NEXT) | instid1(TRANS32_DEP_1)
	v_sqrt_f32_e32 v35, v27
	v_add_nc_u32_e32 v43, -1, v35
	v_add_nc_u32_e32 v45, 1, v35
	s_delay_alu instid0(VALU_DEP_2) | instskip(NEXT) | instid1(VALU_DEP_2)
	v_fma_f32 v46, -v43, v35, v27
	v_fma_f32 v47, -v45, v35, v27
	s_delay_alu instid0(VALU_DEP_2) | instskip(SKIP_1) | instid1(VALU_DEP_1)
	v_cmp_ge_f32_e64 s3, 0, v46
	s_wait_alu 0xf1ff
	v_cndmask_b32_e64 v35, v35, v43, s3
	s_delay_alu instid0(VALU_DEP_3) | instskip(SKIP_1) | instid1(VALU_DEP_1)
	v_cmp_lt_f32_e64 s3, 0, v47
	s_wait_alu 0xf1ff
	v_cndmask_b32_e64 v35, v35, v45, s3
	s_delay_alu instid0(VALU_DEP_1) | instskip(NEXT) | instid1(VALU_DEP_1)
	v_mul_f32_e32 v43, 0x37800000, v35
	v_cndmask_b32_e32 v35, v35, v43, vcc_lo
	v_cmp_class_f32_e64 vcc_lo, v27, 0x260
	s_wait_alu 0xfffd
	s_delay_alu instid0(VALU_DEP_2) | instskip(NEXT) | instid1(VALU_DEP_1)
	v_cndmask_b32_e32 v27, v35, v27, vcc_lo
	v_div_scale_f32 v35, null, v27, v27, 1.0
	s_delay_alu instid0(VALU_DEP_1) | instskip(NEXT) | instid1(TRANS32_DEP_1)
	v_rcp_f32_e32 v43, v35
	v_fma_f32 v45, -v35, v43, 1.0
	s_delay_alu instid0(VALU_DEP_1) | instskip(SKIP_1) | instid1(VALU_DEP_1)
	v_fmac_f32_e32 v43, v45, v43
	v_div_scale_f32 v45, vcc_lo, 1.0, v27, 1.0
	v_mul_f32_e32 v46, v45, v43
	s_delay_alu instid0(VALU_DEP_1) | instskip(NEXT) | instid1(VALU_DEP_1)
	v_fma_f32 v47, -v35, v46, v45
	v_fmac_f32_e32 v46, v47, v43
	s_delay_alu instid0(VALU_DEP_1) | instskip(SKIP_1) | instid1(VALU_DEP_1)
	v_fma_f32 v35, -v35, v46, v45
	s_wait_alu 0xfffd
	v_div_fmas_f32 v35, v35, v43, v46
	s_delay_alu instid0(VALU_DEP_1) | instskip(NEXT) | instid1(VALU_DEP_1)
	v_div_fixup_f32 v27, v35, v27, 1.0
                                        ; implicit-def: $vgpr35
	v_mul_f32_e32 v45, v30, v27
.LBB58_166:                             ;   in Loop: Header=BB58_147 Depth=2
	s_wait_alu 0xfffe
	s_and_not1_saveexec_b32 s75, s75
	s_cbranch_execz .LBB58_168
; %bb.167:                              ;   in Loop: Header=BB58_147 Depth=2
	v_div_scale_f32 v27, null, v42, v42, -v35
	v_div_scale_f32 v45, vcc_lo, -v35, v42, -v35
	s_delay_alu instid0(VALU_DEP_2) | instskip(NEXT) | instid1(TRANS32_DEP_1)
	v_rcp_f32_e32 v30, v27
	v_fma_f32 v43, -v27, v30, 1.0
	s_delay_alu instid0(VALU_DEP_1) | instskip(NEXT) | instid1(VALU_DEP_1)
	v_fmac_f32_e32 v30, v43, v30
	v_mul_f32_e32 v43, v45, v30
	s_delay_alu instid0(VALU_DEP_1) | instskip(NEXT) | instid1(VALU_DEP_1)
	v_fma_f32 v46, -v27, v43, v45
	v_fmac_f32_e32 v43, v46, v30
	s_delay_alu instid0(VALU_DEP_1) | instskip(SKIP_1) | instid1(VALU_DEP_1)
	v_fma_f32 v27, -v27, v43, v45
	s_wait_alu 0xfffd
	v_div_fmas_f32 v27, v27, v30, v43
	s_delay_alu instid0(VALU_DEP_1) | instskip(NEXT) | instid1(VALU_DEP_1)
	v_div_fixup_f32 v27, v27, v42, -v35
	v_fma_f32 v30, v27, v27, 1.0
	s_delay_alu instid0(VALU_DEP_1) | instskip(SKIP_2) | instid1(VALU_DEP_2)
	v_mul_f32_e32 v35, 0x4f800000, v30
	v_cmp_gt_f32_e32 vcc_lo, 0xf800000, v30
	s_wait_alu 0xfffd
	v_cndmask_b32_e32 v30, v30, v35, vcc_lo
	s_delay_alu instid0(VALU_DEP_1) | instskip(NEXT) | instid1(TRANS32_DEP_1)
	v_sqrt_f32_e32 v35, v30
	v_add_nc_u32_e32 v43, -1, v35
	v_add_nc_u32_e32 v45, 1, v35
	s_delay_alu instid0(VALU_DEP_2) | instskip(NEXT) | instid1(VALU_DEP_2)
	v_fma_f32 v46, -v43, v35, v30
	v_fma_f32 v47, -v45, v35, v30
	s_delay_alu instid0(VALU_DEP_2) | instskip(SKIP_1) | instid1(VALU_DEP_1)
	v_cmp_ge_f32_e64 s3, 0, v46
	s_wait_alu 0xf1ff
	v_cndmask_b32_e64 v35, v35, v43, s3
	s_delay_alu instid0(VALU_DEP_3) | instskip(SKIP_1) | instid1(VALU_DEP_1)
	v_cmp_lt_f32_e64 s3, 0, v47
	s_wait_alu 0xf1ff
	v_cndmask_b32_e64 v35, v35, v45, s3
	s_delay_alu instid0(VALU_DEP_1) | instskip(NEXT) | instid1(VALU_DEP_1)
	v_mul_f32_e32 v43, 0x37800000, v35
	v_cndmask_b32_e32 v35, v35, v43, vcc_lo
	v_cmp_class_f32_e64 vcc_lo, v30, 0x260
	s_wait_alu 0xfffd
	s_delay_alu instid0(VALU_DEP_2) | instskip(NEXT) | instid1(VALU_DEP_1)
	v_cndmask_b32_e32 v30, v35, v30, vcc_lo
	v_div_scale_f32 v35, null, v30, v30, 1.0
	s_delay_alu instid0(VALU_DEP_1) | instskip(NEXT) | instid1(TRANS32_DEP_1)
	v_rcp_f32_e32 v43, v35
	v_fma_f32 v45, -v35, v43, 1.0
	s_delay_alu instid0(VALU_DEP_1) | instskip(SKIP_1) | instid1(VALU_DEP_1)
	v_fmac_f32_e32 v43, v45, v43
	v_div_scale_f32 v45, vcc_lo, 1.0, v30, 1.0
	v_mul_f32_e32 v46, v45, v43
	s_delay_alu instid0(VALU_DEP_1) | instskip(NEXT) | instid1(VALU_DEP_1)
	v_fma_f32 v47, -v35, v46, v45
	v_fmac_f32_e32 v46, v47, v43
	s_delay_alu instid0(VALU_DEP_1) | instskip(SKIP_1) | instid1(VALU_DEP_1)
	v_fma_f32 v35, -v35, v46, v45
	s_wait_alu 0xfffd
	v_div_fmas_f32 v35, v35, v43, v46
	s_delay_alu instid0(VALU_DEP_1) | instskip(NEXT) | instid1(VALU_DEP_1)
	v_div_fixup_f32 v45, v35, v30, 1.0
	v_mul_f32_e32 v27, v27, v45
.LBB58_168:                             ;   in Loop: Header=BB58_147 Depth=2
	s_wait_alu 0xfffe
	s_or_b32 exec_lo, exec_lo, s75
.LBB58_169:                             ;   in Loop: Header=BB58_147 Depth=2
	s_wait_alu 0xfffe
	s_or_b32 exec_lo, exec_lo, s74
.LBB58_170:                             ;   in Loop: Header=BB58_147 Depth=2
	s_delay_alu instid0(SALU_CYCLE_1)
	s_or_b32 exec_lo, exec_lo, s37
	global_load_b32 v30, v[31:32], off offset:-4
	v_add_f32_e32 v43, v27, v27
	v_add_co_u32 v33, vcc_lo, s44, v33
	s_wait_alu 0xfffd
	v_add_co_ci_u32_e64 v34, null, s45, v34, vcc_lo
	s_mov_b32 s37, exec_lo
	v_add_co_u32 v46, vcc_lo, v33, -4
	s_wait_alu 0xfffd
	v_add_co_ci_u32_e64 v47, null, -1, v34, vcc_lo
	s_delay_alu instid0(VALU_DEP_2) | instskip(SKIP_1) | instid1(VALU_DEP_2)
	v_add_co_u32 v46, s3, v46, s50
	s_wait_alu 0xf1ff
	v_add_co_ci_u32_e64 v47, null, s51, v47, s3
	s_wait_loadcnt 0x0
	v_dual_sub_f32 v35, v30, v44 :: v_dual_add_nc_u32 v30, -1, v26
	s_delay_alu instid0(VALU_DEP_1) | instskip(NEXT) | instid1(VALU_DEP_1)
	v_mul_f32_e32 v35, v45, v35
	v_fma_f32 v35, v42, v43, -v35
	s_delay_alu instid0(VALU_DEP_1)
	v_mul_f32_e64 v43, v35, -v45
	v_fma_f32 v44, v35, -v45, v44
	v_fma_f32 v35, v27, v35, -v42
	ds_store_b32 v36, v43 offset:8
	global_store_b32 v[31:32], v44, off
	s_clause 0x1
	global_store_b32 v[33:34], v27, off offset:-4
	global_store_b32 v[46:47], v45, off offset:-4
	v_cmpx_gt_i32_e64 v30, v23
	s_cbranch_execz .LBB58_187
; %bb.171:                              ;   in Loop: Header=BB58_147 Depth=2
	v_ashrrev_i32_e32 v31, 31, v30
	v_xor_b32_e32 v42, 0x80000000, v45
	s_mov_b32 s82, -1
	s_mov_b32 s83, 0
	s_mov_b64 s[74:75], s[60:61]
	v_lshlrev_b64_e32 v[30:31], 2, v[30:31]
	s_mov_b64 s[76:77], s[18:19]
	s_mov_b64 s[78:79], s[58:59]
	;; [unrolled: 1-line block ×3, first 2 shown]
	s_branch .LBB58_173
.LBB58_172:                             ;   in Loop: Header=BB58_173 Depth=3
	v_add_co_u32 v32, vcc_lo, s76, v30
	s_wait_alu 0xfffd
	v_add_co_ci_u32_e64 v33, null, s77, v31, vcc_lo
	s_add_co_i32 s82, s82, -1
	v_dual_mul_f32 v34, v27, v34 :: v_dual_add_f32 v27, v45, v45
	global_load_b64 v[46:47], v[32:33], off offset:-4
	v_xor_b32_e32 v42, 0x80000000, v44
	s_add_nc_u64 s[76:77], s[76:77], -4
	s_add_nc_u64 s[74:75], s[74:75], -4
	s_wait_loadcnt 0x0
	s_wait_alu 0xfffe
	v_dual_sub_f32 v35, v47, v43 :: v_dual_add_nc_u32 v50, s82, v26
	s_delay_alu instid0(VALU_DEP_1) | instskip(SKIP_3) | instid1(VALU_DEP_3)
	v_sub_f32_e32 v43, v46, v35
	v_add_co_u32 v46, vcc_lo, s78, v30
	s_wait_alu 0xfffd
	v_add_co_ci_u32_e64 v47, null, s79, v31, vcc_lo
	v_mul_f32_e32 v43, v44, v43
	v_add_co_u32 v48, vcc_lo, s80, v30
	s_wait_alu 0xfffd
	v_add_co_ci_u32_e64 v49, null, s81, v31, vcc_lo
	s_delay_alu instid0(VALU_DEP_3)
	v_fma_f32 v51, v34, v27, -v43
	v_cmp_le_i32_e32 vcc_lo, v50, v23
	v_mov_b32_e32 v27, v45
	s_add_nc_u64 s[80:81], s[80:81], -4
	s_add_nc_u64 s[78:79], s[78:79], -4
	v_fma_f32 v50, v51, -v44, v35
	v_mul_f32_e64 v43, v51, -v44
	v_fma_f32 v35, v45, v51, -v34
	s_or_b32 s83, vcc_lo, s83
	global_store_b32 v[32:33], v50, off
	global_store_b32 v[46:47], v45, off
	;; [unrolled: 1-line block ×3, first 2 shown]
	s_wait_alu 0xfffe
	s_and_not1_b32 exec_lo, exec_lo, s83
	s_cbranch_execz .LBB58_186
.LBB58_173:                             ;   Parent Loop BB58_7 Depth=1
                                        ;     Parent Loop BB58_147 Depth=2
                                        ; =>    This Inner Loop Header: Depth=3
	s_wait_alu 0xfffe
	v_add_co_u32 v32, vcc_lo, s74, v30
	s_wait_alu 0xfffd
	v_add_co_ci_u32_e64 v33, null, s75, v31, vcc_lo
	v_mov_b32_e32 v44, 0
	s_mov_b32 s84, exec_lo
	v_mov_b32_e32 v45, 1.0
	global_load_b32 v34, v[32:33], off
	s_wait_loadcnt 0x0
	v_mul_f32_e32 v42, v42, v34
	s_delay_alu instid0(VALU_DEP_1)
	v_cmpx_neq_f32_e32 0, v42
	s_cbranch_execz .LBB58_183
; %bb.174:                              ;   in Loop: Header=BB58_173 Depth=3
	v_xor_b32_e32 v46, 0x80000000, v42
                                        ; implicit-def: $vgpr44
                                        ; implicit-def: $vgpr45
	s_mov_b32 s3, exec_lo
	v_cmpx_neq_f32_e32 0, v35
	s_wait_alu 0xfffe
	s_xor_b32 s85, exec_lo, s3
	s_cbranch_execz .LBB58_180
; %bb.175:                              ;   in Loop: Header=BB58_173 Depth=3
	s_mov_b32 s86, exec_lo
                                        ; implicit-def: $vgpr44
                                        ; implicit-def: $vgpr45
	v_cmpx_ngt_f32_e64 |v42|, |v35|
	s_xor_b32 s86, exec_lo, s86
	s_cbranch_execz .LBB58_177
; %bb.176:                              ;   in Loop: Header=BB58_173 Depth=3
	v_div_scale_f32 v44, null, v35, v35, -v42
	v_div_scale_f32 v47, vcc_lo, -v42, v35, -v42
	s_delay_alu instid0(VALU_DEP_2) | instskip(NEXT) | instid1(TRANS32_DEP_1)
	v_rcp_f32_e32 v45, v44
	v_fma_f32 v46, -v44, v45, 1.0
	s_delay_alu instid0(VALU_DEP_1) | instskip(NEXT) | instid1(VALU_DEP_1)
	v_fmac_f32_e32 v45, v46, v45
	v_mul_f32_e32 v46, v47, v45
	s_delay_alu instid0(VALU_DEP_1) | instskip(NEXT) | instid1(VALU_DEP_1)
	v_fma_f32 v48, -v44, v46, v47
	v_fmac_f32_e32 v46, v48, v45
	s_delay_alu instid0(VALU_DEP_1) | instskip(SKIP_1) | instid1(VALU_DEP_1)
	v_fma_f32 v44, -v44, v46, v47
	s_wait_alu 0xfffd
	v_div_fmas_f32 v44, v44, v45, v46
	s_delay_alu instid0(VALU_DEP_1) | instskip(NEXT) | instid1(VALU_DEP_1)
	v_div_fixup_f32 v44, v44, v35, -v42
	v_fma_f32 v45, v44, v44, 1.0
	s_delay_alu instid0(VALU_DEP_1) | instskip(SKIP_2) | instid1(VALU_DEP_2)
	v_mul_f32_e32 v46, 0x4f800000, v45
	v_cmp_gt_f32_e32 vcc_lo, 0xf800000, v45
	s_wait_alu 0xfffd
	v_cndmask_b32_e32 v45, v45, v46, vcc_lo
	s_delay_alu instid0(VALU_DEP_1) | instskip(NEXT) | instid1(TRANS32_DEP_1)
	v_sqrt_f32_e32 v46, v45
	v_add_nc_u32_e32 v47, -1, v46
	v_add_nc_u32_e32 v48, 1, v46
	s_delay_alu instid0(VALU_DEP_2) | instskip(NEXT) | instid1(VALU_DEP_2)
	v_fma_f32 v49, -v47, v46, v45
	v_fma_f32 v50, -v48, v46, v45
	s_delay_alu instid0(VALU_DEP_2) | instskip(SKIP_1) | instid1(VALU_DEP_1)
	v_cmp_ge_f32_e64 s3, 0, v49
	s_wait_alu 0xf1ff
	v_cndmask_b32_e64 v46, v46, v47, s3
	s_delay_alu instid0(VALU_DEP_3) | instskip(SKIP_1) | instid1(VALU_DEP_1)
	v_cmp_lt_f32_e64 s3, 0, v50
	s_wait_alu 0xf1ff
	v_cndmask_b32_e64 v46, v46, v48, s3
	s_delay_alu instid0(VALU_DEP_1) | instskip(NEXT) | instid1(VALU_DEP_1)
	v_mul_f32_e32 v47, 0x37800000, v46
	v_cndmask_b32_e32 v46, v46, v47, vcc_lo
	v_cmp_class_f32_e64 vcc_lo, v45, 0x260
	s_wait_alu 0xfffd
	s_delay_alu instid0(VALU_DEP_2) | instskip(NEXT) | instid1(VALU_DEP_1)
	v_cndmask_b32_e32 v45, v46, v45, vcc_lo
	v_div_scale_f32 v46, null, v45, v45, 1.0
	s_delay_alu instid0(VALU_DEP_1) | instskip(NEXT) | instid1(TRANS32_DEP_1)
	v_rcp_f32_e32 v47, v46
	v_fma_f32 v48, -v46, v47, 1.0
	s_delay_alu instid0(VALU_DEP_1) | instskip(SKIP_1) | instid1(VALU_DEP_1)
	v_fmac_f32_e32 v47, v48, v47
	v_div_scale_f32 v48, vcc_lo, 1.0, v45, 1.0
	v_mul_f32_e32 v49, v48, v47
	s_delay_alu instid0(VALU_DEP_1) | instskip(NEXT) | instid1(VALU_DEP_1)
	v_fma_f32 v50, -v46, v49, v48
	v_fmac_f32_e32 v49, v50, v47
	s_delay_alu instid0(VALU_DEP_1) | instskip(SKIP_1) | instid1(VALU_DEP_1)
	v_fma_f32 v46, -v46, v49, v48
	s_wait_alu 0xfffd
	v_div_fmas_f32 v46, v46, v47, v49
	s_delay_alu instid0(VALU_DEP_1) | instskip(NEXT) | instid1(VALU_DEP_1)
	v_div_fixup_f32 v45, v46, v45, 1.0
	v_mul_f32_e32 v44, v44, v45
.LBB58_177:                             ;   in Loop: Header=BB58_173 Depth=3
	s_and_not1_saveexec_b32 s86, s86
	s_cbranch_execz .LBB58_179
; %bb.178:                              ;   in Loop: Header=BB58_173 Depth=3
	v_div_scale_f32 v44, null, v42, v42, -v35
	v_div_scale_f32 v47, vcc_lo, -v35, v42, -v35
	s_delay_alu instid0(VALU_DEP_2) | instskip(NEXT) | instid1(TRANS32_DEP_1)
	v_rcp_f32_e32 v45, v44
	v_fma_f32 v46, -v44, v45, 1.0
	s_delay_alu instid0(VALU_DEP_1) | instskip(NEXT) | instid1(VALU_DEP_1)
	v_fmac_f32_e32 v45, v46, v45
	v_mul_f32_e32 v46, v47, v45
	s_delay_alu instid0(VALU_DEP_1) | instskip(NEXT) | instid1(VALU_DEP_1)
	v_fma_f32 v48, -v44, v46, v47
	v_fmac_f32_e32 v46, v48, v45
	s_delay_alu instid0(VALU_DEP_1) | instskip(SKIP_1) | instid1(VALU_DEP_1)
	v_fma_f32 v44, -v44, v46, v47
	s_wait_alu 0xfffd
	v_div_fmas_f32 v44, v44, v45, v46
	s_delay_alu instid0(VALU_DEP_1) | instskip(NEXT) | instid1(VALU_DEP_1)
	v_div_fixup_f32 v45, v44, v42, -v35
	v_fma_f32 v44, v45, v45, 1.0
	s_delay_alu instid0(VALU_DEP_1) | instskip(SKIP_2) | instid1(VALU_DEP_2)
	v_mul_f32_e32 v46, 0x4f800000, v44
	v_cmp_gt_f32_e32 vcc_lo, 0xf800000, v44
	s_wait_alu 0xfffd
	v_cndmask_b32_e32 v44, v44, v46, vcc_lo
	s_delay_alu instid0(VALU_DEP_1) | instskip(NEXT) | instid1(TRANS32_DEP_1)
	v_sqrt_f32_e32 v46, v44
	v_add_nc_u32_e32 v47, -1, v46
	v_add_nc_u32_e32 v48, 1, v46
	s_delay_alu instid0(VALU_DEP_2) | instskip(NEXT) | instid1(VALU_DEP_2)
	v_fma_f32 v49, -v47, v46, v44
	v_fma_f32 v50, -v48, v46, v44
	s_delay_alu instid0(VALU_DEP_2) | instskip(SKIP_1) | instid1(VALU_DEP_1)
	v_cmp_ge_f32_e64 s3, 0, v49
	s_wait_alu 0xf1ff
	v_cndmask_b32_e64 v46, v46, v47, s3
	s_delay_alu instid0(VALU_DEP_3) | instskip(SKIP_1) | instid1(VALU_DEP_1)
	v_cmp_lt_f32_e64 s3, 0, v50
	s_wait_alu 0xf1ff
	v_cndmask_b32_e64 v46, v46, v48, s3
	s_delay_alu instid0(VALU_DEP_1) | instskip(NEXT) | instid1(VALU_DEP_1)
	v_mul_f32_e32 v47, 0x37800000, v46
	v_cndmask_b32_e32 v46, v46, v47, vcc_lo
	v_cmp_class_f32_e64 vcc_lo, v44, 0x260
	s_wait_alu 0xfffd
	s_delay_alu instid0(VALU_DEP_2) | instskip(NEXT) | instid1(VALU_DEP_1)
	v_cndmask_b32_e32 v44, v46, v44, vcc_lo
	v_div_scale_f32 v46, null, v44, v44, 1.0
	s_delay_alu instid0(VALU_DEP_1) | instskip(NEXT) | instid1(TRANS32_DEP_1)
	v_rcp_f32_e32 v47, v46
	v_fma_f32 v48, -v46, v47, 1.0
	s_delay_alu instid0(VALU_DEP_1) | instskip(SKIP_1) | instid1(VALU_DEP_1)
	v_fmac_f32_e32 v47, v48, v47
	v_div_scale_f32 v48, vcc_lo, 1.0, v44, 1.0
	v_mul_f32_e32 v49, v48, v47
	s_delay_alu instid0(VALU_DEP_1) | instskip(NEXT) | instid1(VALU_DEP_1)
	v_fma_f32 v50, -v46, v49, v48
	v_fmac_f32_e32 v49, v50, v47
	s_delay_alu instid0(VALU_DEP_1) | instskip(SKIP_1) | instid1(VALU_DEP_1)
	v_fma_f32 v46, -v46, v49, v48
	s_wait_alu 0xfffd
	v_div_fmas_f32 v46, v46, v47, v49
	s_delay_alu instid0(VALU_DEP_1) | instskip(NEXT) | instid1(VALU_DEP_1)
	v_div_fixup_f32 v44, v46, v44, 1.0
	v_mul_f32_e32 v45, v45, v44
.LBB58_179:                             ;   in Loop: Header=BB58_173 Depth=3
	s_or_b32 exec_lo, exec_lo, s86
	s_delay_alu instid0(VALU_DEP_1) | instskip(NEXT) | instid1(VALU_DEP_1)
	v_mul_f32_e32 v42, v42, v44
	v_fma_f32 v46, v35, v45, -v42
.LBB58_180:                             ;   in Loop: Header=BB58_173 Depth=3
	s_and_not1_saveexec_b32 s3, s85
; %bb.181:                              ;   in Loop: Header=BB58_173 Depth=3
	v_dual_mov_b32 v45, 0 :: v_dual_mov_b32 v44, 1.0
; %bb.182:                              ;   in Loop: Header=BB58_173 Depth=3
	s_wait_alu 0xfffe
	s_or_b32 exec_lo, exec_lo, s3
	v_mov_b32_e32 v35, v46
.LBB58_183:                             ;   in Loop: Header=BB58_173 Depth=3
	s_or_b32 exec_lo, exec_lo, s84
	s_cmp_eq_u32 s82, 0
	s_cbranch_scc1 .LBB58_172
; %bb.184:                              ;   in Loop: Header=BB58_173 Depth=3
	global_store_b32 v[32:33], v35, off offset:4
	s_branch .LBB58_172
.LBB58_185:                             ;   in Loop: Header=BB58_147 Depth=2
	ds_store_2addr_b32 v36, v26, v23 offset0:1 offset1:4
	s_cbranch_execz .LBB58_158
	s_branch .LBB58_159
.LBB58_186:                             ;   in Loop: Header=BB58_147 Depth=2
	s_or_b32 exec_lo, exec_lo, s83
	ds_store_b32 v36, v43 offset:8
.LBB58_187:                             ;   in Loop: Header=BB58_147 Depth=2
	s_or_b32 exec_lo, exec_lo, s37
	global_load_b32 v42, v[24:25], off
.LBB58_188:                             ;   in Loop: Header=BB58_147 Depth=2
	s_wait_alu 0xfffe
	s_or_b32 exec_lo, exec_lo, s35
	s_wait_loadcnt 0x0
	v_sub_f32_e32 v23, v42, v43
                                        ; implicit-def: $vgpr42
	global_store_b32 v[24:25], v23, off
	global_store_b32 v[28:29], v35, off
                                        ; implicit-def: $vgpr28_vgpr29
                                        ; implicit-def: $vgpr24_vgpr25
                                        ; implicit-def: $vgpr23
.LBB58_189:                             ;   in Loop: Header=BB58_147 Depth=2
	s_wait_alu 0xfffe
	s_and_not1_saveexec_b32 s35, s4
	s_cbranch_execz .LBB58_222
; %bb.190:                              ;   in Loop: Header=BB58_147 Depth=2
	v_add_co_u32 v26, vcc_lo, s40, v28
	s_wait_alu 0xfffd
	v_add_co_ci_u32_e64 v27, null, s41, v29, vcc_lo
	s_mov_b32 s4, exec_lo
                                        ; implicit-def: $vgpr34
	global_load_b32 v35, v[26:27], off
	global_load_b32 v30, v[24:25], off offset:4
	s_wait_loadcnt 0x0
	v_dual_add_f32 v32, v35, v35 :: v_dual_sub_f32 v33, v42, v30
	s_delay_alu instid0(VALU_DEP_1) | instskip(NEXT) | instid1(VALU_DEP_2)
	v_and_b32_e32 v31, 0x7fffffff, v32
	v_cmpx_ngt_f32_e64 |v33|, |v32|
	s_wait_alu 0xfffe
	s_xor_b32 s4, exec_lo, s4
	s_cbranch_execz .LBB58_196
; %bb.191:                              ;   in Loop: Header=BB58_147 Depth=2
	v_cmp_nlt_f32_e64 s3, |v33|, |v32|
                                        ; implicit-def: $vgpr34
	s_and_saveexec_b32 s37, s3
	s_delay_alu instid0(SALU_CYCLE_1)
	s_xor_b32 s3, exec_lo, s37
	s_cbranch_execz .LBB58_193
; %bb.192:                              ;   in Loop: Header=BB58_147 Depth=2
	v_cvt_f64_f32_e32 v[43:44], v31
                                        ; implicit-def: $vgpr31
	s_delay_alu instid0(VALU_DEP_1) | instskip(NEXT) | instid1(VALU_DEP_1)
	v_mul_f64_e32 v[43:44], s[72:73], v[43:44]
	v_cvt_f32_f64_e32 v34, v[43:44]
.LBB58_193:                             ;   in Loop: Header=BB58_147 Depth=2
	s_wait_alu 0xfffe
	s_and_not1_saveexec_b32 s37, s3
	s_cbranch_execz .LBB58_195
; %bb.194:                              ;   in Loop: Header=BB58_147 Depth=2
	v_and_b32_e32 v34, 0x7fffffff, v33
	s_delay_alu instid0(VALU_DEP_1) | instskip(SKIP_1) | instid1(VALU_DEP_2)
	v_div_scale_f32 v43, null, v31, v31, v34
	v_div_scale_f32 v31, vcc_lo, v34, v31, v34
	v_rcp_f32_e32 v44, v43
	s_delay_alu instid0(TRANS32_DEP_1) | instskip(NEXT) | instid1(VALU_DEP_1)
	v_fma_f32 v45, -v43, v44, 1.0
	v_fmac_f32_e32 v44, v45, v44
	s_delay_alu instid0(VALU_DEP_1) | instskip(NEXT) | instid1(VALU_DEP_1)
	v_mul_f32_e32 v34, v31, v44
	v_fma_f32 v45, -v43, v34, v31
	s_delay_alu instid0(VALU_DEP_1) | instskip(NEXT) | instid1(VALU_DEP_1)
	v_fmac_f32_e32 v34, v45, v44
	v_fma_f32 v31, -v43, v34, v31
	s_wait_alu 0xfffd
	s_delay_alu instid0(VALU_DEP_1) | instskip(NEXT) | instid1(VALU_DEP_1)
	v_div_fmas_f32 v31, v31, v44, v34
	v_div_fixup_f32 v31, v31, |v32|, |v33|
	s_delay_alu instid0(VALU_DEP_1) | instskip(NEXT) | instid1(VALU_DEP_1)
	v_fma_f32 v31, v31, v31, 1.0
	v_mul_f32_e32 v34, 0x4f800000, v31
	v_cmp_gt_f32_e32 vcc_lo, 0xf800000, v31
	s_wait_alu 0xfffd
	s_delay_alu instid0(VALU_DEP_2) | instskip(NEXT) | instid1(VALU_DEP_1)
	v_cndmask_b32_e32 v31, v31, v34, vcc_lo
	v_sqrt_f32_e32 v34, v31
	s_delay_alu instid0(TRANS32_DEP_1) | instskip(SKIP_1) | instid1(VALU_DEP_2)
	v_add_nc_u32_e32 v43, -1, v34
	v_add_nc_u32_e32 v44, 1, v34
	v_fma_f32 v45, -v43, v34, v31
	s_delay_alu instid0(VALU_DEP_2) | instskip(NEXT) | instid1(VALU_DEP_2)
	v_fma_f32 v46, -v44, v34, v31
	v_cmp_ge_f32_e64 s3, 0, v45
	s_wait_alu 0xf1ff
	s_delay_alu instid0(VALU_DEP_1) | instskip(NEXT) | instid1(VALU_DEP_3)
	v_cndmask_b32_e64 v34, v34, v43, s3
	v_cmp_lt_f32_e64 s3, 0, v46
	s_wait_alu 0xf1ff
	s_delay_alu instid0(VALU_DEP_1) | instskip(NEXT) | instid1(VALU_DEP_1)
	v_cndmask_b32_e64 v34, v34, v44, s3
	v_mul_f32_e32 v43, 0x37800000, v34
	s_delay_alu instid0(VALU_DEP_1) | instskip(SKIP_2) | instid1(VALU_DEP_2)
	v_cndmask_b32_e32 v34, v34, v43, vcc_lo
	v_cmp_class_f32_e64 vcc_lo, v31, 0x260
	s_wait_alu 0xfffd
	v_cndmask_b32_e32 v31, v34, v31, vcc_lo
	s_delay_alu instid0(VALU_DEP_1)
	v_mul_f32_e64 v34, |v32|, v31
.LBB58_195:                             ;   in Loop: Header=BB58_147 Depth=2
	s_or_b32 exec_lo, exec_lo, s37
                                        ; implicit-def: $vgpr31
.LBB58_196:                             ;   in Loop: Header=BB58_147 Depth=2
	s_wait_alu 0xfffe
	s_and_not1_saveexec_b32 s4, s4
	s_cbranch_execz .LBB58_198
; %bb.197:                              ;   in Loop: Header=BB58_147 Depth=2
	v_and_b32_e32 v34, 0x7fffffff, v33
	s_delay_alu instid0(VALU_DEP_1) | instskip(SKIP_1) | instid1(VALU_DEP_2)
	v_div_scale_f32 v43, null, v34, v34, v31
	v_div_scale_f32 v31, vcc_lo, v31, v34, v31
	v_rcp_f32_e32 v44, v43
	s_delay_alu instid0(TRANS32_DEP_1) | instskip(NEXT) | instid1(VALU_DEP_1)
	v_fma_f32 v45, -v43, v44, 1.0
	v_fmac_f32_e32 v44, v45, v44
	s_delay_alu instid0(VALU_DEP_1) | instskip(NEXT) | instid1(VALU_DEP_1)
	v_mul_f32_e32 v34, v31, v44
	v_fma_f32 v45, -v43, v34, v31
	s_delay_alu instid0(VALU_DEP_1) | instskip(NEXT) | instid1(VALU_DEP_1)
	v_fmac_f32_e32 v34, v45, v44
	v_fma_f32 v31, -v43, v34, v31
	s_wait_alu 0xfffd
	s_delay_alu instid0(VALU_DEP_1) | instskip(NEXT) | instid1(VALU_DEP_1)
	v_div_fmas_f32 v31, v31, v44, v34
	v_div_fixup_f32 v31, v31, |v33|, |v32|
	s_delay_alu instid0(VALU_DEP_1) | instskip(NEXT) | instid1(VALU_DEP_1)
	v_fma_f32 v31, v31, v31, 1.0
	v_mul_f32_e32 v34, 0x4f800000, v31
	v_cmp_gt_f32_e32 vcc_lo, 0xf800000, v31
	s_wait_alu 0xfffd
	s_delay_alu instid0(VALU_DEP_2) | instskip(NEXT) | instid1(VALU_DEP_1)
	v_cndmask_b32_e32 v31, v31, v34, vcc_lo
	v_sqrt_f32_e32 v34, v31
	s_delay_alu instid0(TRANS32_DEP_1) | instskip(SKIP_1) | instid1(VALU_DEP_2)
	v_add_nc_u32_e32 v43, -1, v34
	v_add_nc_u32_e32 v44, 1, v34
	v_fma_f32 v45, -v43, v34, v31
	s_delay_alu instid0(VALU_DEP_2) | instskip(NEXT) | instid1(VALU_DEP_2)
	v_fma_f32 v46, -v44, v34, v31
	v_cmp_ge_f32_e64 s3, 0, v45
	s_wait_alu 0xf1ff
	s_delay_alu instid0(VALU_DEP_1) | instskip(NEXT) | instid1(VALU_DEP_3)
	v_cndmask_b32_e64 v34, v34, v43, s3
	v_cmp_lt_f32_e64 s3, 0, v46
	s_wait_alu 0xf1ff
	s_delay_alu instid0(VALU_DEP_1) | instskip(NEXT) | instid1(VALU_DEP_1)
	v_cndmask_b32_e64 v34, v34, v44, s3
	v_mul_f32_e32 v43, 0x37800000, v34
	s_delay_alu instid0(VALU_DEP_1) | instskip(SKIP_2) | instid1(VALU_DEP_2)
	v_cndmask_b32_e32 v34, v34, v43, vcc_lo
	v_cmp_class_f32_e64 vcc_lo, v31, 0x260
	s_wait_alu 0xfffd
	v_cndmask_b32_e32 v31, v34, v31, vcc_lo
	s_delay_alu instid0(VALU_DEP_1)
	v_mul_f32_e64 v34, |v33|, v31
.LBB58_198:                             ;   in Loop: Header=BB58_147 Depth=2
	s_wait_alu 0xfffe
	s_or_b32 exec_lo, exec_lo, s4
	v_cmp_gt_f32_e64 vcc_lo, |v42|, |v30|
	v_add_f32_e32 v44, v42, v30
	s_mov_b32 s3, exec_lo
	s_wait_alu 0xfffd
	v_cndmask_b32_e32 v43, v42, v30, vcc_lo
	v_cndmask_b32_e32 v45, v30, v42, vcc_lo
                                        ; implicit-def: $vgpr31
	v_cmpx_ngt_f32_e32 0, v44
	s_wait_alu 0xfffe
	s_xor_b32 s4, exec_lo, s3
	s_cbranch_execz .LBB58_204
; %bb.199:                              ;   in Loop: Header=BB58_147 Depth=2
	s_mov_b32 s3, exec_lo
                                        ; implicit-def: $vgpr31
	v_cmpx_nlt_f32_e32 0, v44
	s_wait_alu 0xfffe
	s_xor_b32 s3, exec_lo, s3
; %bb.200:                              ;   in Loop: Header=BB58_147 Depth=2
	v_mul_f32_e32 v30, 0.5, v34
	v_mul_f32_e32 v31, -0.5, v34
                                        ; implicit-def: $vgpr44
                                        ; implicit-def: $vgpr45
                                        ; implicit-def: $vgpr43
                                        ; implicit-def: $vgpr35
; %bb.201:                              ;   in Loop: Header=BB58_147 Depth=2
	s_wait_alu 0xfffe
	s_and_not1_saveexec_b32 s37, s3
	s_cbranch_execz .LBB58_203
; %bb.202:                              ;   in Loop: Header=BB58_147 Depth=2
	v_add_f32_e32 v30, v44, v34
	v_cvt_f64_f32_e32 v[44:45], v45
	v_cvt_f64_f32_e32 v[48:49], v35
	v_cvt_f64_f32_e32 v[42:43], v43
	s_delay_alu instid0(VALU_DEP_4) | instskip(NEXT) | instid1(VALU_DEP_1)
	v_mul_f32_e32 v30, 0.5, v30
	v_cvt_f64_f32_e32 v[46:47], v30
	s_delay_alu instid0(VALU_DEP_1) | instskip(SKIP_2) | instid1(VALU_DEP_3)
	v_div_scale_f64 v[50:51], null, v[46:47], v[46:47], v[44:45]
	v_div_scale_f64 v[52:53], null, v[46:47], v[46:47], v[48:49]
	v_div_scale_f64 v[62:63], vcc_lo, v[44:45], v[46:47], v[44:45]
	v_rcp_f64_e32 v[54:55], v[50:51]
	s_delay_alu instid0(VALU_DEP_2) | instskip(NEXT) | instid1(TRANS32_DEP_2)
	v_rcp_f64_e32 v[56:57], v[52:53]
	v_fma_f64 v[58:59], -v[50:51], v[54:55], 1.0
	s_delay_alu instid0(TRANS32_DEP_1) | instskip(NEXT) | instid1(VALU_DEP_2)
	v_fma_f64 v[60:61], -v[52:53], v[56:57], 1.0
	v_fma_f64 v[54:55], v[54:55], v[58:59], v[54:55]
	s_delay_alu instid0(VALU_DEP_2) | instskip(NEXT) | instid1(VALU_DEP_2)
	v_fma_f64 v[56:57], v[56:57], v[60:61], v[56:57]
	v_fma_f64 v[58:59], -v[50:51], v[54:55], 1.0
	s_delay_alu instid0(VALU_DEP_2) | instskip(NEXT) | instid1(VALU_DEP_2)
	v_fma_f64 v[60:61], -v[52:53], v[56:57], 1.0
	v_fma_f64 v[54:55], v[54:55], v[58:59], v[54:55]
	v_div_scale_f64 v[58:59], s3, v[48:49], v[46:47], v[48:49]
	s_delay_alu instid0(VALU_DEP_3) | instskip(NEXT) | instid1(VALU_DEP_3)
	v_fma_f64 v[56:57], v[56:57], v[60:61], v[56:57]
	v_mul_f64_e32 v[60:61], v[62:63], v[54:55]
	s_delay_alu instid0(VALU_DEP_2) | instskip(NEXT) | instid1(VALU_DEP_2)
	v_mul_f64_e32 v[64:65], v[58:59], v[56:57]
	v_fma_f64 v[50:51], -v[50:51], v[60:61], v[62:63]
	s_delay_alu instid0(VALU_DEP_2) | instskip(SKIP_1) | instid1(VALU_DEP_2)
	v_fma_f64 v[52:53], -v[52:53], v[64:65], v[58:59]
	s_wait_alu 0xfffd
	v_div_fmas_f64 v[50:51], v[50:51], v[54:55], v[60:61]
	s_mov_b32 vcc_lo, s3
	s_wait_alu 0xfffe
	s_delay_alu instid0(VALU_DEP_2) | instskip(NEXT) | instid1(VALU_DEP_2)
	v_div_fmas_f64 v[52:53], v[52:53], v[56:57], v[64:65]
	v_div_fixup_f64 v[44:45], v[50:51], v[46:47], v[44:45]
	s_delay_alu instid0(VALU_DEP_2) | instskip(NEXT) | instid1(VALU_DEP_1)
	v_div_fixup_f64 v[52:53], v[52:53], v[46:47], v[48:49]
	v_mul_f64_e32 v[46:47], v[52:53], v[48:49]
	s_delay_alu instid0(VALU_DEP_1) | instskip(NEXT) | instid1(VALU_DEP_1)
	v_fma_f64 v[42:43], v[44:45], v[42:43], -v[46:47]
	v_cvt_f32_f64_e32 v31, v[42:43]
.LBB58_203:                             ;   in Loop: Header=BB58_147 Depth=2
	s_or_b32 exec_lo, exec_lo, s37
                                        ; implicit-def: $vgpr44
                                        ; implicit-def: $vgpr45
                                        ; implicit-def: $vgpr43
                                        ; implicit-def: $vgpr35
.LBB58_204:                             ;   in Loop: Header=BB58_147 Depth=2
	s_wait_alu 0xfffe
	s_or_saveexec_b32 s4, s4
	v_mov_b32_e32 v42, 1
	s_wait_alu 0xfffe
	s_xor_b32 exec_lo, exec_lo, s4
	s_cbranch_execz .LBB58_206
; %bb.205:                              ;   in Loop: Header=BB58_147 Depth=2
	v_sub_f32_e32 v30, v44, v34
	v_cvt_f64_f32_e32 v[44:45], v45
	v_cvt_f64_f32_e32 v[48:49], v35
	;; [unrolled: 1-line block ×3, first 2 shown]
	s_delay_alu instid0(VALU_DEP_4) | instskip(NEXT) | instid1(VALU_DEP_1)
	v_mul_f32_e32 v30, 0.5, v30
	v_cvt_f64_f32_e32 v[46:47], v30
	s_delay_alu instid0(VALU_DEP_1) | instskip(SKIP_2) | instid1(VALU_DEP_3)
	v_div_scale_f64 v[50:51], null, v[46:47], v[46:47], v[44:45]
	v_div_scale_f64 v[52:53], null, v[46:47], v[46:47], v[48:49]
	v_div_scale_f64 v[62:63], vcc_lo, v[44:45], v[46:47], v[44:45]
	v_rcp_f64_e32 v[54:55], v[50:51]
	s_delay_alu instid0(VALU_DEP_2) | instskip(NEXT) | instid1(TRANS32_DEP_2)
	v_rcp_f64_e32 v[56:57], v[52:53]
	v_fma_f64 v[58:59], -v[50:51], v[54:55], 1.0
	s_delay_alu instid0(TRANS32_DEP_1) | instskip(NEXT) | instid1(VALU_DEP_2)
	v_fma_f64 v[60:61], -v[52:53], v[56:57], 1.0
	v_fma_f64 v[54:55], v[54:55], v[58:59], v[54:55]
	s_delay_alu instid0(VALU_DEP_2) | instskip(NEXT) | instid1(VALU_DEP_2)
	v_fma_f64 v[56:57], v[56:57], v[60:61], v[56:57]
	v_fma_f64 v[58:59], -v[50:51], v[54:55], 1.0
	s_delay_alu instid0(VALU_DEP_2) | instskip(NEXT) | instid1(VALU_DEP_2)
	v_fma_f64 v[60:61], -v[52:53], v[56:57], 1.0
	v_fma_f64 v[54:55], v[54:55], v[58:59], v[54:55]
	v_div_scale_f64 v[58:59], s3, v[48:49], v[46:47], v[48:49]
	s_delay_alu instid0(VALU_DEP_3) | instskip(NEXT) | instid1(VALU_DEP_3)
	v_fma_f64 v[56:57], v[56:57], v[60:61], v[56:57]
	v_mul_f64_e32 v[60:61], v[62:63], v[54:55]
	s_delay_alu instid0(VALU_DEP_2) | instskip(NEXT) | instid1(VALU_DEP_2)
	v_mul_f64_e32 v[64:65], v[58:59], v[56:57]
	v_fma_f64 v[50:51], -v[50:51], v[60:61], v[62:63]
	s_delay_alu instid0(VALU_DEP_2) | instskip(SKIP_1) | instid1(VALU_DEP_2)
	v_fma_f64 v[52:53], -v[52:53], v[64:65], v[58:59]
	s_wait_alu 0xfffd
	v_div_fmas_f64 v[50:51], v[50:51], v[54:55], v[60:61]
	s_mov_b32 vcc_lo, s3
	s_wait_alu 0xfffe
	s_delay_alu instid0(VALU_DEP_2) | instskip(NEXT) | instid1(VALU_DEP_2)
	v_div_fmas_f64 v[52:53], v[52:53], v[56:57], v[64:65]
	v_div_fixup_f64 v[44:45], v[50:51], v[46:47], v[44:45]
	s_delay_alu instid0(VALU_DEP_2) | instskip(NEXT) | instid1(VALU_DEP_1)
	v_div_fixup_f64 v[52:53], v[52:53], v[46:47], v[48:49]
	v_mul_f64_e32 v[46:47], v[52:53], v[48:49]
	s_delay_alu instid0(VALU_DEP_1) | instskip(NEXT) | instid1(VALU_DEP_1)
	v_fma_f64 v[42:43], v[44:45], v[42:43], -v[46:47]
	v_cvt_f32_f64_e32 v31, v[42:43]
	v_mov_b32_e32 v42, -1
.LBB58_206:                             ;   in Loop: Header=BB58_147 Depth=2
	s_or_b32 exec_lo, exec_lo, s4
	v_cmp_nle_f32_e64 s3, 0, v33
	s_mov_b32 s37, exec_lo
                                        ; implicit-def: $vgpr35
	s_wait_alu 0xf1ff
	v_cndmask_b32_e64 v34, v34, -v34, s3
	s_delay_alu instid0(VALU_DEP_1) | instskip(NEXT) | instid1(VALU_DEP_1)
	v_add_f32_e32 v33, v33, v34
                                        ; implicit-def: $vgpr34
	v_cmpx_ngt_f32_e64 |v33|, |v32|
	s_xor_b32 s37, exec_lo, s37
	s_cbranch_execz .LBB58_210
; %bb.207:                              ;   in Loop: Header=BB58_147 Depth=2
	v_dual_mov_b32 v34, 0 :: v_dual_mov_b32 v35, 1.0
	s_mov_b32 s74, exec_lo
	v_cmpx_neq_f32_e32 0, v32
	s_cbranch_execz .LBB58_209
; %bb.208:                              ;   in Loop: Header=BB58_147 Depth=2
	v_div_scale_f32 v34, null, v32, v32, -v33
	v_div_scale_f32 v44, vcc_lo, -v33, v32, -v33
	s_delay_alu instid0(VALU_DEP_2) | instskip(NEXT) | instid1(TRANS32_DEP_1)
	v_rcp_f32_e32 v35, v34
	v_fma_f32 v43, -v34, v35, 1.0
	s_delay_alu instid0(VALU_DEP_1) | instskip(NEXT) | instid1(VALU_DEP_1)
	v_fmac_f32_e32 v35, v43, v35
	v_mul_f32_e32 v43, v44, v35
	s_delay_alu instid0(VALU_DEP_1) | instskip(NEXT) | instid1(VALU_DEP_1)
	v_fma_f32 v45, -v34, v43, v44
	v_fmac_f32_e32 v43, v45, v35
	s_delay_alu instid0(VALU_DEP_1) | instskip(SKIP_1) | instid1(VALU_DEP_1)
	v_fma_f32 v34, -v34, v43, v44
	s_wait_alu 0xfffd
	v_div_fmas_f32 v34, v34, v35, v43
	s_delay_alu instid0(VALU_DEP_1) | instskip(NEXT) | instid1(VALU_DEP_1)
	v_div_fixup_f32 v32, v34, v32, -v33
	v_fma_f32 v33, v32, v32, 1.0
	s_delay_alu instid0(VALU_DEP_1) | instskip(SKIP_2) | instid1(VALU_DEP_2)
	v_mul_f32_e32 v34, 0x4f800000, v33
	v_cmp_gt_f32_e32 vcc_lo, 0xf800000, v33
	s_wait_alu 0xfffd
	v_cndmask_b32_e32 v33, v33, v34, vcc_lo
	s_delay_alu instid0(VALU_DEP_1) | instskip(NEXT) | instid1(TRANS32_DEP_1)
	v_sqrt_f32_e32 v34, v33
	v_add_nc_u32_e32 v35, -1, v34
	v_add_nc_u32_e32 v43, 1, v34
	s_delay_alu instid0(VALU_DEP_2) | instskip(NEXT) | instid1(VALU_DEP_2)
	v_fma_f32 v44, -v35, v34, v33
	v_fma_f32 v45, -v43, v34, v33
	s_delay_alu instid0(VALU_DEP_2) | instskip(SKIP_1) | instid1(VALU_DEP_1)
	v_cmp_ge_f32_e64 s4, 0, v44
	s_wait_alu 0xf1ff
	v_cndmask_b32_e64 v34, v34, v35, s4
	s_delay_alu instid0(VALU_DEP_3) | instskip(SKIP_1) | instid1(VALU_DEP_1)
	v_cmp_lt_f32_e64 s4, 0, v45
	s_wait_alu 0xf1ff
	v_cndmask_b32_e64 v34, v34, v43, s4
	s_delay_alu instid0(VALU_DEP_1) | instskip(NEXT) | instid1(VALU_DEP_1)
	v_mul_f32_e32 v35, 0x37800000, v34
	v_cndmask_b32_e32 v34, v34, v35, vcc_lo
	v_cmp_class_f32_e64 vcc_lo, v33, 0x260
	s_wait_alu 0xfffd
	s_delay_alu instid0(VALU_DEP_2) | instskip(NEXT) | instid1(VALU_DEP_1)
	v_cndmask_b32_e32 v33, v34, v33, vcc_lo
	v_div_scale_f32 v34, null, v33, v33, 1.0
	s_delay_alu instid0(VALU_DEP_1) | instskip(NEXT) | instid1(TRANS32_DEP_1)
	v_rcp_f32_e32 v35, v34
	v_fma_f32 v43, -v34, v35, 1.0
	s_delay_alu instid0(VALU_DEP_1) | instskip(SKIP_1) | instid1(VALU_DEP_1)
	v_fmac_f32_e32 v35, v43, v35
	v_div_scale_f32 v43, vcc_lo, 1.0, v33, 1.0
	v_mul_f32_e32 v44, v43, v35
	s_delay_alu instid0(VALU_DEP_1) | instskip(NEXT) | instid1(VALU_DEP_1)
	v_fma_f32 v45, -v34, v44, v43
	v_fmac_f32_e32 v44, v45, v35
	s_delay_alu instid0(VALU_DEP_1) | instskip(SKIP_1) | instid1(VALU_DEP_1)
	v_fma_f32 v34, -v34, v44, v43
	s_wait_alu 0xfffd
	v_div_fmas_f32 v34, v34, v35, v44
	s_delay_alu instid0(VALU_DEP_1) | instskip(NEXT) | instid1(VALU_DEP_1)
	v_div_fixup_f32 v35, v34, v33, 1.0
	v_mul_f32_e32 v34, v32, v35
.LBB58_209:                             ;   in Loop: Header=BB58_147 Depth=2
	s_wait_alu 0xfffe
	s_or_b32 exec_lo, exec_lo, s74
                                        ; implicit-def: $vgpr33
                                        ; implicit-def: $vgpr32
.LBB58_210:                             ;   in Loop: Header=BB58_147 Depth=2
	s_and_not1_saveexec_b32 s37, s37
	s_cbranch_execz .LBB58_212
; %bb.211:                              ;   in Loop: Header=BB58_147 Depth=2
	v_div_scale_f32 v34, null, v33, v33, -v32
	v_div_scale_f32 v44, vcc_lo, -v32, v33, -v32
	s_delay_alu instid0(VALU_DEP_2) | instskip(NEXT) | instid1(TRANS32_DEP_1)
	v_rcp_f32_e32 v35, v34
	v_fma_f32 v43, -v34, v35, 1.0
	s_delay_alu instid0(VALU_DEP_1) | instskip(NEXT) | instid1(VALU_DEP_1)
	v_fmac_f32_e32 v35, v43, v35
	v_mul_f32_e32 v43, v44, v35
	s_delay_alu instid0(VALU_DEP_1) | instskip(NEXT) | instid1(VALU_DEP_1)
	v_fma_f32 v45, -v34, v43, v44
	v_fmac_f32_e32 v43, v45, v35
	s_delay_alu instid0(VALU_DEP_1) | instskip(SKIP_1) | instid1(VALU_DEP_1)
	v_fma_f32 v34, -v34, v43, v44
	s_wait_alu 0xfffd
	v_div_fmas_f32 v34, v34, v35, v43
	s_delay_alu instid0(VALU_DEP_1) | instskip(NEXT) | instid1(VALU_DEP_1)
	v_div_fixup_f32 v32, v34, v33, -v32
	v_fma_f32 v33, v32, v32, 1.0
	s_delay_alu instid0(VALU_DEP_1) | instskip(SKIP_2) | instid1(VALU_DEP_2)
	v_mul_f32_e32 v34, 0x4f800000, v33
	v_cmp_gt_f32_e32 vcc_lo, 0xf800000, v33
	s_wait_alu 0xfffd
	v_cndmask_b32_e32 v33, v33, v34, vcc_lo
	s_delay_alu instid0(VALU_DEP_1) | instskip(NEXT) | instid1(TRANS32_DEP_1)
	v_sqrt_f32_e32 v34, v33
	v_add_nc_u32_e32 v35, -1, v34
	v_add_nc_u32_e32 v43, 1, v34
	s_delay_alu instid0(VALU_DEP_2) | instskip(NEXT) | instid1(VALU_DEP_2)
	v_fma_f32 v44, -v35, v34, v33
	v_fma_f32 v45, -v43, v34, v33
	s_delay_alu instid0(VALU_DEP_2) | instskip(SKIP_1) | instid1(VALU_DEP_1)
	v_cmp_ge_f32_e64 s4, 0, v44
	s_wait_alu 0xf1ff
	v_cndmask_b32_e64 v34, v34, v35, s4
	s_delay_alu instid0(VALU_DEP_3) | instskip(SKIP_1) | instid1(VALU_DEP_1)
	v_cmp_lt_f32_e64 s4, 0, v45
	s_wait_alu 0xf1ff
	v_cndmask_b32_e64 v34, v34, v43, s4
	s_delay_alu instid0(VALU_DEP_1) | instskip(NEXT) | instid1(VALU_DEP_1)
	v_mul_f32_e32 v35, 0x37800000, v34
	v_cndmask_b32_e32 v34, v34, v35, vcc_lo
	v_cmp_class_f32_e64 vcc_lo, v33, 0x260
	s_wait_alu 0xfffd
	s_delay_alu instid0(VALU_DEP_2) | instskip(NEXT) | instid1(VALU_DEP_1)
	v_cndmask_b32_e32 v33, v34, v33, vcc_lo
	v_div_scale_f32 v34, null, v33, v33, 1.0
	s_delay_alu instid0(VALU_DEP_1) | instskip(NEXT) | instid1(TRANS32_DEP_1)
	v_rcp_f32_e32 v35, v34
	v_fma_f32 v43, -v34, v35, 1.0
	s_delay_alu instid0(VALU_DEP_1) | instskip(SKIP_1) | instid1(VALU_DEP_1)
	v_fmac_f32_e32 v35, v43, v35
	v_div_scale_f32 v43, vcc_lo, 1.0, v33, 1.0
	v_mul_f32_e32 v44, v43, v35
	s_delay_alu instid0(VALU_DEP_1) | instskip(NEXT) | instid1(VALU_DEP_1)
	v_fma_f32 v45, -v34, v44, v43
	v_fmac_f32_e32 v44, v45, v35
	s_delay_alu instid0(VALU_DEP_1) | instskip(SKIP_1) | instid1(VALU_DEP_1)
	v_fma_f32 v34, -v34, v44, v43
	s_wait_alu 0xfffd
	v_div_fmas_f32 v34, v34, v35, v44
	s_delay_alu instid0(VALU_DEP_1) | instskip(NEXT) | instid1(VALU_DEP_1)
	v_div_fixup_f32 v34, v34, v33, 1.0
	v_mul_f32_e32 v35, v32, v34
.LBB58_212:                             ;   in Loop: Header=BB58_147 Depth=2
	s_or_b32 exec_lo, exec_lo, s37
	v_cndmask_b32_e64 v32, 1, -1, s3
	v_add_co_u32 v28, s3, s44, v28
	s_wait_alu 0xf1ff
	v_add_co_ci_u32_e64 v29, null, s45, v29, s3
	s_delay_alu instid0(VALU_DEP_3)
	v_cmp_eq_u32_e32 vcc_lo, v42, v32
	v_add_nc_u32_e32 v23, 2, v23
	s_wait_alu 0xfffd
	v_cndmask_b32_e32 v42, v34, v35, vcc_lo
	v_cndmask_b32_e64 v34, v35, -v34, vcc_lo
	v_add_co_u32 v32, vcc_lo, v28, s50
	s_wait_alu 0xfffd
	v_add_co_ci_u32_e64 v33, null, s51, v29, vcc_lo
	s_clause 0x1
	global_store_b32 v[28:29], v34, off
	global_store_b32 v[32:33], v42, off offset:-4
	global_store_b64 v[24:25], v[30:31], off
	global_store_b32 v[26:27], v36, off
	ds_store_b32 v36, v23
	s_or_b32 exec_lo, exec_lo, s35
                                        ; implicit-def: $vgpr27
.LBB58_213:                             ;   in Loop: Header=BB58_147 Depth=2
	s_and_not1_saveexec_b32 s3, s33
.LBB58_214:                             ;   in Loop: Header=BB58_147 Depth=2
	ds_store_b32 v36, v27
.LBB58_215:                             ;   in Loop: Header=BB58_147 Depth=2
	s_wait_alu 0xfffe
	s_or_b32 exec_lo, exec_lo, s3
.LBB58_216:                             ;   in Loop: Header=BB58_147 Depth=2
	s_wait_alu 0xfffe
	s_or_b32 exec_lo, exec_lo, s7
	s_wait_storecnt 0x0
	s_wait_loadcnt_dscnt 0x0
	s_barrier_signal -1
	s_barrier_wait -1
	global_inv scope:SCOPE_SE
	ds_load_b64 v[23:24], v36
	s_wait_dscnt 0x0
	v_readfirstlane_b32 s3, v24
	s_wait_alu 0xf1ff
	s_delay_alu instid0(VALU_DEP_1)
	v_cmp_eq_u32_e32 vcc_lo, s3, v23
	v_mov_b32_e32 v23, s3
	s_cbranch_vccnz .LBB58_146
; %bb.217:                              ;   in Loop: Header=BB58_147 Depth=2
	s_and_saveexec_b32 s7, s0
	s_cbranch_execz .LBB58_145
; %bb.218:                              ;   in Loop: Header=BB58_147 Depth=2
	ds_load_b32 v23, v36 offset:16
	v_mov_b32_e32 v27, v0
	s_mov_b32 s35, 0
	s_wait_dscnt 0x0
	v_readfirstlane_b32 s4, v23
	v_ashrrev_i32_e32 v24, 31, v23
	s_sub_co_i32 s74, s3, s4
	s_mul_i32 s76, s4, s11
	s_wait_alu 0xfffe
	s_ashr_i32 s75, s74, 31
	s_ashr_i32 s77, s76, 31
	s_wait_alu 0xfffe
	s_mul_u64 s[78:79], s[74:75], s[46:47]
	s_lshl_b64 s[80:81], s[76:77], 3
	s_wait_alu 0xfffe
	s_lshl_b64 s[78:79], s[78:79], 3
	s_cmp_gt_i32 s74, 0
	v_lshlrev_b64_e32 v[23:24], 2, v[23:24]
	s_cselect_b32 s33, -1, 0
	s_add_co_i32 s4, s74, -1
	s_add_nc_u64 s[76:77], s[42:43], s[80:81]
	s_wait_alu 0xfffe
	s_lshl_b64 s[82:83], s[4:5], 2
	s_mul_u64 s[84:85], s[64:65], s[4:5]
	s_wait_alu 0xfffe
	v_add_co_u32 v25, vcc_lo, v23, s82
	s_add_nc_u64 s[80:81], s[84:85], s[80:81]
	s_wait_alu 0xfffd
	v_add_co_ci_u32_e64 v26, null, s83, v24, vcc_lo
	s_wait_alu 0xfffe
	v_add_co_u32 v23, vcc_lo, v37, s80
	s_wait_alu 0xfffd
	v_add_co_ci_u32_e64 v24, null, s81, v38, vcc_lo
	v_add_co_u32 v25, vcc_lo, s44, v25
	s_wait_alu 0xfffd
	v_add_co_ci_u32_e64 v26, null, s45, v26, vcc_lo
	s_add_nc_u64 s[78:79], s[76:77], s[78:79]
	s_branch .LBB58_220
.LBB58_219:                             ;   in Loop: Header=BB58_220 Depth=3
	v_add_nc_u32_e32 v27, s34, v27
	v_add_co_u32 v23, s3, v23, s66
	s_wait_alu 0xf1ff
	v_add_co_ci_u32_e64 v24, null, s67, v24, s3
	s_delay_alu instid0(VALU_DEP_3)
	v_cmp_le_i32_e32 vcc_lo, s6, v27
	s_wait_loadcnt 0x0
	global_store_b64 v[28:29], v[30:31], off
	s_or_b32 s35, vcc_lo, s35
	s_wait_alu 0xfffe
	s_and_not1_b32 exec_lo, exec_lo, s35
	s_cbranch_execz .LBB58_145
.LBB58_220:                             ;   Parent Loop BB58_7 Depth=1
                                        ;     Parent Loop BB58_147 Depth=2
                                        ; =>    This Loop Header: Depth=3
                                        ;         Child Loop BB58_221 Depth 4
	v_ashrrev_i32_e32 v28, 31, v27
	v_dual_mov_b32 v33, v24 :: v_dual_mov_b32 v32, v23
	v_dual_mov_b32 v35, v26 :: v_dual_mov_b32 v34, v25
	s_delay_alu instid0(VALU_DEP_3) | instskip(SKIP_2) | instid1(VALU_DEP_1)
	v_lshlrev_b64_e32 v[28:29], 3, v[27:28]
	s_mov_b32 s4, s74
	s_wait_alu 0xfffe
	v_add_co_u32 v30, vcc_lo, s78, v28
	s_wait_alu 0xfffd
	s_delay_alu instid0(VALU_DEP_2)
	v_add_co_ci_u32_e64 v31, null, s79, v29, vcc_lo
	v_add_co_u32 v28, vcc_lo, s76, v28
	s_wait_alu 0xfffd
	v_add_co_ci_u32_e64 v29, null, s77, v29, vcc_lo
	global_load_b64 v[30:31], v[30:31], off
	s_and_not1_b32 vcc_lo, exec_lo, s33
	s_wait_alu 0xfffe
	s_cbranch_vccnz .LBB58_219
.LBB58_221:                             ;   Parent Loop BB58_7 Depth=1
                                        ;     Parent Loop BB58_147 Depth=2
                                        ;       Parent Loop BB58_220 Depth=3
                                        ; =>      This Inner Loop Header: Depth=4
	v_add_co_u32 v42, vcc_lo, v34, s62
	s_wait_alu 0xfffd
	v_add_co_ci_u32_e64 v43, null, s63, v35, vcc_lo
	s_wait_alu 0xfffe
	s_mul_u64 s[80:81], s[4:5], s[46:47]
	s_wait_loadcnt 0x0
	v_dual_mov_b32 v48, v31 :: v_dual_mov_b32 v49, v30
	global_load_b64 v[44:45], v[32:33], off offset:-4
	s_clause 0x1
	global_load_b32 v46, v[42:43], off
	global_load_b32 v47, v[34:35], off
	v_add_co_u32 v34, vcc_lo, v34, -4
	s_wait_alu 0xfffd
	v_add_co_ci_u32_e64 v35, null, -1, v35, vcc_lo
	v_add_co_u32 v32, vcc_lo, v32, s68
	s_wait_alu 0xfffe
	s_lshl_b64 s[80:81], s[80:81], 3
	s_wait_alu 0xfffd
	v_add_co_ci_u32_e64 v33, null, s69, v33, vcc_lo
	s_wait_alu 0xfffe
	v_add_co_u32 v42, vcc_lo, v28, s80
	s_wait_alu 0xfffd
	v_add_co_ci_u32_e64 v43, null, s81, v29, vcc_lo
	s_add_co_i32 s3, s4, -1
	s_wait_alu 0xfffe
	s_cmp_eq_u32 s3, 0
	s_mov_b32 s4, s3
	s_wait_loadcnt 0x0
	v_mul_f32_e32 v30, v47, v44
	v_dual_mul_f32 v31, v47, v45 :: v_dual_mul_f32 v44, v46, v44
	s_delay_alu instid0(VALU_DEP_2) | instskip(NEXT) | instid1(VALU_DEP_2)
	v_dual_mul_f32 v45, v46, v45 :: v_dual_fmac_f32 v30, v49, v46
	v_fmac_f32_e32 v31, v48, v46
	s_delay_alu instid0(VALU_DEP_3) | instskip(NEXT) | instid1(VALU_DEP_3)
	v_fma_f32 v44, v49, v47, -v44
	v_fma_f32 v45, v48, v47, -v45
	global_store_b64 v[42:43], v[44:45], off
	s_cbranch_scc0 .LBB58_221
	s_branch .LBB58_219
.LBB58_222:                             ;   in Loop: Header=BB58_147 Depth=2
	s_wait_alu 0xfffe
	s_or_b32 exec_lo, exec_lo, s35
                                        ; implicit-def: $vgpr27
	s_and_not1_saveexec_b32 s3, s33
	s_cbranch_execnz .LBB58_214
	s_branch .LBB58_215
.LBB58_223:
	s_mov_b32 s1, exec_lo
	v_cmpx_gt_i32_e64 s36, v0
	s_cbranch_execz .LBB58_229
; %bb.224:
	v_ashrrev_i32_e32 v1, 31, v0
	s_lshl_b64 s[24:25], s[38:39], 2
	v_mov_b32_e32 v3, 0
	s_wait_alu 0xfffe
	s_add_nc_u64 s[20:21], s[20:21], s[24:25]
	s_lshl_b64 s[4:5], s[28:29], 2
	v_lshlrev_b64_e32 v[1:2], 2, v[0:1]
	s_ashr_i32 s35, s34, 31
	s_wait_alu 0xfffe
	s_add_nc_u64 s[4:5], s[14:15], s[4:5]
	s_lshl_b64 s[14:15], s[34:35], 2
	s_mov_b32 s3, 0
	v_add_co_u32 v1, vcc_lo, s20, v1
	s_wait_alu 0xfffd
	v_add_co_ci_u32_e64 v2, null, s21, v2, vcc_lo
	s_branch .LBB58_226
.LBB58_225:                             ;   in Loop: Header=BB58_226 Depth=1
	s_wait_alu 0xfffe
	s_or_b32 exec_lo, exec_lo, s0
	v_add_nc_u32_e32 v0, s34, v0
	v_add_co_u32 v1, s0, v1, s14
	s_wait_alu 0xf1ff
	v_add_co_ci_u32_e64 v2, null, s15, v2, s0
	s_delay_alu instid0(VALU_DEP_3)
	v_cmp_le_i32_e32 vcc_lo, s36, v0
	s_or_b32 s3, vcc_lo, s3
	s_wait_alu 0xfffe
	s_and_not1_b32 exec_lo, exec_lo, s3
	s_cbranch_execz .LBB58_229
.LBB58_226:                             ; =>This Inner Loop Header: Depth=1
	global_load_b32 v4, v[1:2], off
	s_mov_b32 s0, exec_lo
	s_wait_loadcnt 0x0
	v_cmpx_neq_f32_e32 0, v4
	s_cbranch_execz .LBB58_225
; %bb.227:                              ;   in Loop: Header=BB58_226 Depth=1
	s_mov_b32 s7, exec_lo
	s_wait_alu 0xfffe
	v_mbcnt_lo_u32_b32 v4, s7, 0
	s_delay_alu instid0(VALU_DEP_1)
	v_cmp_eq_u32_e32 vcc_lo, 0, v4
	s_and_b32 s10, exec_lo, vcc_lo
	s_wait_alu 0xfffe
	s_mov_b32 exec_lo, s10
	s_cbranch_execz .LBB58_225
; %bb.228:                              ;   in Loop: Header=BB58_226 Depth=1
	s_bcnt1_i32_b32 s7, s7
	s_wait_alu 0xfffe
	v_mov_b32_e32 v4, s7
	global_atomic_add_u32 v3, v4, s[4:5] scope:SCOPE_DEV
	s_branch .LBB58_225
.LBB58_229:
	s_wait_alu 0xfffe
	s_or_b32 exec_lo, exec_lo, s1
	s_cmp_lt_i32 s6, 2
	s_cbranch_scc1 .LBB58_242
; %bb.230:
	s_lshl_b64 s[0:1], s[12:13], 3
	s_lshl_b64 s[4:5], s[22:23], 3
	v_mov_b32_e32 v0, 0
	s_add_nc_u64 s[12:13], s[16:17], s[30:31]
	s_wait_alu 0xfffe
	s_add_nc_u64 s[4:5], s[0:1], s[4:5]
	s_add_nc_u64 s[0:1], s[12:13], 4
	s_wait_alu 0xfffe
	s_add_nc_u64 s[4:5], s[8:9], s[4:5]
	s_mov_b32 s8, 1
	s_branch .LBB58_232
.LBB58_231:                             ;   in Loop: Header=BB58_232 Depth=1
	s_add_co_i32 s8, s8, 1
	s_add_nc_u64 s[0:1], s[0:1], 4
	s_wait_alu 0xfffe
	s_cmp_lg_u32 s8, s6
	s_wait_loadcnt 0x0
	s_wait_storecnt 0x0
	s_barrier_signal -1
	s_barrier_wait -1
	global_inv scope:SCOPE_SE
	s_cbranch_scc0 .LBB58_242
.LBB58_232:                             ; =>This Loop Header: Depth=1
                                        ;     Child Loop BB58_235 Depth 2
                                        ;     Child Loop BB58_241 Depth 2
	s_and_saveexec_b32 s3, s2
	s_cbranch_execz .LBB58_239
; %bb.233:                              ;   in Loop: Header=BB58_232 Depth=1
	s_ashr_i32 s9, s8, 31
	s_add_co_i32 s7, s8, -1
	s_wait_alu 0xfffe
	s_lshl_b64 s[12:13], s[8:9], 2
	v_dual_mov_b32 v3, s7 :: v_dual_mov_b32 v4, s7
	s_add_nc_u64 s[12:13], s[18:19], s[12:13]
	s_mov_b64 s[14:15], s[0:1]
	global_load_b32 v1, v0, s[12:13] offset:-4
	s_mov_b32 s16, s7
	s_mov_b32 s9, s8
	ds_store_b64 v0, v[3:4]
	s_wait_loadcnt 0x0
	ds_store_b32 v0, v1 offset:8
	v_mov_b32_e32 v2, v1
	s_branch .LBB58_235
.LBB58_234:                             ;   in Loop: Header=BB58_235 Depth=2
	s_wait_alu 0xfffe
	s_add_co_i32 s9, s9, 1
	s_add_nc_u64 s[14:15], s[14:15], 4
	s_wait_alu 0xfffe
	s_cmp_eq_u32 s6, s9
	s_cbranch_scc1 .LBB58_237
.LBB58_235:                             ;   Parent Loop BB58_232 Depth=1
                                        ; =>  This Inner Loop Header: Depth=2
	global_load_b32 v3, v0, s[14:15]
	s_wait_loadcnt 0x0
	v_cmp_nlt_f32_e32 vcc_lo, v3, v2
	s_cbranch_vccnz .LBB58_234
; %bb.236:                              ;   in Loop: Header=BB58_235 Depth=2
	s_wait_alu 0xfffe
	v_mov_b32_e32 v4, s9
	v_mov_b32_e32 v2, v3
	s_mov_b32 s16, s9
	ds_store_2addr_b32 v0, v4, v3 offset0:1 offset1:2
	s_branch .LBB58_234
.LBB58_237:                             ;   in Loop: Header=BB58_232 Depth=1
	s_cmp_lg_u32 s16, s7
	s_cbranch_scc0 .LBB58_239
; %bb.238:                              ;   in Loop: Header=BB58_232 Depth=1
	s_ashr_i32 s17, s16, 31
	s_delay_alu instid0(SALU_CYCLE_1)
	s_lshl_b64 s[14:15], s[16:17], 2
	s_wait_alu 0xfffe
	s_add_nc_u64 s[14:15], s[18:19], s[14:15]
	s_clause 0x1
	global_store_b32 v0, v1, s[14:15]
	global_store_b32 v0, v2, s[12:13] offset:-4
.LBB58_239:                             ;   in Loop: Header=BB58_232 Depth=1
	s_wait_alu 0xfffe
	s_or_b32 exec_lo, exec_lo, s3
	s_wait_storecnt 0x0
	s_wait_loadcnt_dscnt 0x0
	s_barrier_signal -1
	s_barrier_wait -1
	global_inv scope:SCOPE_SE
	ds_load_b64 v[1:2], v0
	s_wait_dscnt 0x0
	v_readfirstlane_b32 s3, v1
	v_readfirstlane_b32 s7, v2
	s_cmp_eq_u32 s7, s3
	s_cbranch_scc1 .LBB58_231
; %bb.240:                              ;   in Loop: Header=BB58_232 Depth=1
	s_mul_i32 s12, s7, s11
	s_mul_i32 s14, s3, s11
	s_ashr_i32 s13, s12, 31
	s_wait_alu 0xfffe
	s_ashr_i32 s15, s14, 31
	s_lshl_b64 s[12:13], s[12:13], 3
	s_wait_alu 0xfffe
	s_lshl_b64 s[14:15], s[14:15], 3
	s_add_nc_u64 s[12:13], s[4:5], s[12:13]
	s_wait_alu 0xfffe
	s_add_nc_u64 s[14:15], s[4:5], s[14:15]
	s_mov_b32 s3, s6
.LBB58_241:                             ;   Parent Loop BB58_232 Depth=1
                                        ; =>  This Inner Loop Header: Depth=2
	s_clause 0x1
	global_load_b64 v[1:2], v0, s[12:13]
	global_load_b64 v[3:4], v0, s[14:15]
	s_wait_alu 0xfffe
	s_add_co_i32 s3, s3, -1
	s_wait_loadcnt 0x1
	global_store_b64 v0, v[1:2], s[14:15]
	s_wait_loadcnt 0x0
	global_store_b64 v0, v[3:4], s[12:13]
	s_wait_alu 0xfffe
	s_cmp_lg_u32 s3, 0
	s_add_nc_u64 s[12:13], s[12:13], 8
	s_add_nc_u64 s[14:15], s[14:15], 8
	s_cbranch_scc1 .LBB58_241
	s_branch .LBB58_231
.LBB58_242:
	s_endpgm
	.section	.rodata,"a",@progbits
	.p2align	6, 0x0
	.amdhsa_kernel _ZN9rocsolver6v33100L12steqr_kernelI19rocblas_complex_numIfEfPS3_EEviPT0_lS6_lT1_iilPiS6_iS5_S5_S5_
		.amdhsa_group_segment_fixed_size 36
		.amdhsa_private_segment_fixed_size 0
		.amdhsa_kernarg_size 352
		.amdhsa_user_sgpr_count 2
		.amdhsa_user_sgpr_dispatch_ptr 0
		.amdhsa_user_sgpr_queue_ptr 0
		.amdhsa_user_sgpr_kernarg_segment_ptr 1
		.amdhsa_user_sgpr_dispatch_id 0
		.amdhsa_user_sgpr_private_segment_size 0
		.amdhsa_wavefront_size32 1
		.amdhsa_uses_dynamic_stack 0
		.amdhsa_enable_private_segment 0
		.amdhsa_system_sgpr_workgroup_id_x 1
		.amdhsa_system_sgpr_workgroup_id_y 1
		.amdhsa_system_sgpr_workgroup_id_z 0
		.amdhsa_system_sgpr_workgroup_info 0
		.amdhsa_system_vgpr_workitem_id 0
		.amdhsa_next_free_vgpr 66
		.amdhsa_next_free_sgpr 87
		.amdhsa_reserve_vcc 1
		.amdhsa_float_round_mode_32 0
		.amdhsa_float_round_mode_16_64 0
		.amdhsa_float_denorm_mode_32 3
		.amdhsa_float_denorm_mode_16_64 3
		.amdhsa_fp16_overflow 0
		.amdhsa_workgroup_processor_mode 1
		.amdhsa_memory_ordered 1
		.amdhsa_forward_progress 1
		.amdhsa_inst_pref_size 136
		.amdhsa_round_robin_scheduling 0
		.amdhsa_exception_fp_ieee_invalid_op 0
		.amdhsa_exception_fp_denorm_src 0
		.amdhsa_exception_fp_ieee_div_zero 0
		.amdhsa_exception_fp_ieee_overflow 0
		.amdhsa_exception_fp_ieee_underflow 0
		.amdhsa_exception_fp_ieee_inexact 0
		.amdhsa_exception_int_div_zero 0
	.end_amdhsa_kernel
	.section	.text._ZN9rocsolver6v33100L12steqr_kernelI19rocblas_complex_numIfEfPS3_EEviPT0_lS6_lT1_iilPiS6_iS5_S5_S5_,"axG",@progbits,_ZN9rocsolver6v33100L12steqr_kernelI19rocblas_complex_numIfEfPS3_EEviPT0_lS6_lT1_iilPiS6_iS5_S5_S5_,comdat
.Lfunc_end58:
	.size	_ZN9rocsolver6v33100L12steqr_kernelI19rocblas_complex_numIfEfPS3_EEviPT0_lS6_lT1_iilPiS6_iS5_S5_S5_, .Lfunc_end58-_ZN9rocsolver6v33100L12steqr_kernelI19rocblas_complex_numIfEfPS3_EEviPT0_lS6_lT1_iilPiS6_iS5_S5_S5_
                                        ; -- End function
	.set _ZN9rocsolver6v33100L12steqr_kernelI19rocblas_complex_numIfEfPS3_EEviPT0_lS6_lT1_iilPiS6_iS5_S5_S5_.num_vgpr, 66
	.set _ZN9rocsolver6v33100L12steqr_kernelI19rocblas_complex_numIfEfPS3_EEviPT0_lS6_lT1_iilPiS6_iS5_S5_S5_.num_agpr, 0
	.set _ZN9rocsolver6v33100L12steqr_kernelI19rocblas_complex_numIfEfPS3_EEviPT0_lS6_lT1_iilPiS6_iS5_S5_S5_.numbered_sgpr, 87
	.set _ZN9rocsolver6v33100L12steqr_kernelI19rocblas_complex_numIfEfPS3_EEviPT0_lS6_lT1_iilPiS6_iS5_S5_S5_.num_named_barrier, 0
	.set _ZN9rocsolver6v33100L12steqr_kernelI19rocblas_complex_numIfEfPS3_EEviPT0_lS6_lT1_iilPiS6_iS5_S5_S5_.private_seg_size, 0
	.set _ZN9rocsolver6v33100L12steqr_kernelI19rocblas_complex_numIfEfPS3_EEviPT0_lS6_lT1_iilPiS6_iS5_S5_S5_.uses_vcc, 1
	.set _ZN9rocsolver6v33100L12steqr_kernelI19rocblas_complex_numIfEfPS3_EEviPT0_lS6_lT1_iilPiS6_iS5_S5_S5_.uses_flat_scratch, 0
	.set _ZN9rocsolver6v33100L12steqr_kernelI19rocblas_complex_numIfEfPS3_EEviPT0_lS6_lT1_iilPiS6_iS5_S5_S5_.has_dyn_sized_stack, 0
	.set _ZN9rocsolver6v33100L12steqr_kernelI19rocblas_complex_numIfEfPS3_EEviPT0_lS6_lT1_iilPiS6_iS5_S5_S5_.has_recursion, 0
	.set _ZN9rocsolver6v33100L12steqr_kernelI19rocblas_complex_numIfEfPS3_EEviPT0_lS6_lT1_iilPiS6_iS5_S5_S5_.has_indirect_call, 0
	.section	.AMDGPU.csdata,"",@progbits
; Kernel info:
; codeLenInByte = 17376
; TotalNumSgprs: 89
; NumVgprs: 66
; ScratchSize: 0
; MemoryBound: 0
; FloatMode: 240
; IeeeMode: 1
; LDSByteSize: 36 bytes/workgroup (compile time only)
; SGPRBlocks: 0
; VGPRBlocks: 8
; NumSGPRsForWavesPerEU: 89
; NumVGPRsForWavesPerEU: 66
; Occupancy: 16
; WaveLimiterHint : 0
; COMPUTE_PGM_RSRC2:SCRATCH_EN: 0
; COMPUTE_PGM_RSRC2:USER_SGPR: 2
; COMPUTE_PGM_RSRC2:TRAP_HANDLER: 0
; COMPUTE_PGM_RSRC2:TGID_X_EN: 1
; COMPUTE_PGM_RSRC2:TGID_Y_EN: 1
; COMPUTE_PGM_RSRC2:TGID_Z_EN: 0
; COMPUTE_PGM_RSRC2:TIDIG_COMP_CNT: 0
	.section	.text._ZN9rocsolver6v33100L8copy_matI19rocblas_complex_numIfEfLb0EPS3_TnNSt9enable_ifIX18rocblas_is_complexIT_EEiE4typeELi0EEEvNS0_17copymat_directionEiiT2_iilPT0_13rocblas_fill_17rocblas_diagonal_,"axG",@progbits,_ZN9rocsolver6v33100L8copy_matI19rocblas_complex_numIfEfLb0EPS3_TnNSt9enable_ifIX18rocblas_is_complexIT_EEiE4typeELi0EEEvNS0_17copymat_directionEiiT2_iilPT0_13rocblas_fill_17rocblas_diagonal_,comdat
	.globl	_ZN9rocsolver6v33100L8copy_matI19rocblas_complex_numIfEfLb0EPS3_TnNSt9enable_ifIX18rocblas_is_complexIT_EEiE4typeELi0EEEvNS0_17copymat_directionEiiT2_iilPT0_13rocblas_fill_17rocblas_diagonal_ ; -- Begin function _ZN9rocsolver6v33100L8copy_matI19rocblas_complex_numIfEfLb0EPS3_TnNSt9enable_ifIX18rocblas_is_complexIT_EEiE4typeELi0EEEvNS0_17copymat_directionEiiT2_iilPT0_13rocblas_fill_17rocblas_diagonal_
	.p2align	8
	.type	_ZN9rocsolver6v33100L8copy_matI19rocblas_complex_numIfEfLb0EPS3_TnNSt9enable_ifIX18rocblas_is_complexIT_EEiE4typeELi0EEEvNS0_17copymat_directionEiiT2_iilPT0_13rocblas_fill_17rocblas_diagonal_,@function
_ZN9rocsolver6v33100L8copy_matI19rocblas_complex_numIfEfLb0EPS3_TnNSt9enable_ifIX18rocblas_is_complexIT_EEiE4typeELi0EEEvNS0_17copymat_directionEiiT2_iilPT0_13rocblas_fill_17rocblas_diagonal_: ; @_ZN9rocsolver6v33100L8copy_matI19rocblas_complex_numIfEfLb0EPS3_TnNSt9enable_ifIX18rocblas_is_complexIT_EEiE4typeELi0EEEvNS0_17copymat_directionEiiT2_iilPT0_13rocblas_fill_17rocblas_diagonal_
; %bb.0:
	s_clause 0x1
	s_load_b32 s2, s[0:1], 0x44
	s_load_b96 s[8:10], s[0:1], 0x0
	v_and_b32_e32 v1, 0x3ff, v0
	v_bfe_u32 v2, v0, 10, 10
	s_and_b32 s3, ttmp7, 0xffff
	s_wait_kmcnt 0x0
	s_lshr_b32 s4, s2, 16
	s_and_b32 s2, s2, 0xffff
	s_delay_alu instid0(SALU_CYCLE_1) | instskip(SKIP_1) | instid1(VALU_DEP_2)
	v_mad_co_u64_u32 v[0:1], null, ttmp9, s2, v[1:2]
	v_mad_co_u64_u32 v[1:2], null, s3, s4, v[2:3]
	v_cmp_gt_u32_e32 vcc_lo, s9, v0
	s_delay_alu instid0(VALU_DEP_2)
	v_cmp_gt_u32_e64 s2, s10, v1
	s_and_b32 s2, s2, vcc_lo
	s_wait_alu 0xfffe
	s_and_saveexec_b32 s3, s2
	s_cbranch_execz .LBB59_16
; %bb.1:
	s_load_b64 s[4:5], s[0:1], 0x30
	s_mov_b32 s12, s9
	s_wait_kmcnt 0x0
	s_cmp_lt_i32 s4, 0x7a
	s_cbranch_scc1 .LBB59_4
; %bb.2:
	s_cmp_gt_i32 s4, 0x7a
	s_cbranch_scc0 .LBB59_5
; %bb.3:
	s_cmp_lg_u32 s4, 0x7b
	s_mov_b32 s3, -1
	s_cselect_b32 s6, -1, 0
	s_cbranch_execz .LBB59_6
	s_branch .LBB59_7
.LBB59_4:
	s_mov_b32 s6, 0
	s_mov_b32 s3, 0
	s_cbranch_execnz .LBB59_8
	s_branch .LBB59_10
.LBB59_5:
	s_mov_b32 s3, 0
	s_mov_b32 s6, 0
.LBB59_6:
	v_cmp_gt_u32_e32 vcc_lo, v0, v1
	v_cmp_le_u32_e64 s2, v0, v1
	s_wait_alu 0xfffe
	s_and_not1_b32 s3, s3, exec_lo
	s_and_not1_b32 s6, s6, exec_lo
	s_and_b32 s7, vcc_lo, exec_lo
	s_and_b32 s2, s2, exec_lo
	s_wait_alu 0xfffe
	s_or_b32 s3, s3, s7
	s_or_b32 s6, s6, s2
.LBB59_7:
	s_branch .LBB59_10
.LBB59_8:
	s_cmp_eq_u32 s4, 0x79
	s_mov_b32 s6, -1
	s_cbranch_scc0 .LBB59_10
; %bb.9:
	v_cmp_gt_u32_e32 vcc_lo, v1, v0
	v_cmp_le_u32_e64 s2, v1, v0
	s_wait_alu 0xfffe
	s_and_not1_b32 s3, s3, exec_lo
	s_and_b32 s4, vcc_lo, exec_lo
	s_or_not1_b32 s6, s2, exec_lo
	s_wait_alu 0xfffe
	s_or_b32 s3, s3, s4
.LBB59_10:
	s_and_saveexec_b32 s2, s6
; %bb.11:
	v_cmp_eq_u32_e32 vcc_lo, v0, v1
	s_cmp_eq_u32 s5, 0x83
	s_cselect_b32 s4, -1, 0
	s_wait_alu 0xfffe
	s_and_not1_b32 s3, s3, exec_lo
	s_and_b32 s4, s4, vcc_lo
	s_wait_alu 0xfffe
	s_and_b32 s4, s4, exec_lo
	s_wait_alu 0xfffe
	s_or_b32 s3, s3, s4
; %bb.12:
	s_or_b32 exec_lo, exec_lo, s2
	s_wait_alu 0xfffe
	s_and_b32 exec_lo, exec_lo, s3
	s_cbranch_execz .LBB59_16
; %bb.13:
	s_load_b256 s[0:7], s[0:1], 0x10
	s_mov_b32 s15, 0
	s_lshr_b32 s14, ttmp7, 16
	s_ashr_i32 s13, s9, 31
	s_ashr_i32 s11, s10, 31
	s_mul_u64 s[16:17], s[12:13], s[14:15]
	s_wait_kmcnt 0x0
	v_mad_co_u64_u32 v[3:4], null, v1, s3, v[0:1]
	v_mov_b32_e32 v4, 0
	s_mul_u64 s[4:5], s[4:5], s[14:15]
	s_ashr_i32 s3, s2, 31
	s_wait_alu 0xfffe
	s_lshl_b64 s[4:5], s[4:5], 3
	s_lshl_b64 s[2:3], s[2:3], 3
	s_wait_alu 0xfffe
	s_add_nc_u64 s[0:1], s[0:1], s[4:5]
	v_lshlrev_b64_e32 v[2:3], 3, v[3:4]
	s_wait_alu 0xfffe
	s_add_nc_u64 s[0:1], s[0:1], s[2:3]
	s_mul_u64 s[4:5], s[16:17], s[10:11]
	s_wait_alu 0xfffe
	s_delay_alu instid0(VALU_DEP_1) | instskip(NEXT) | instid1(VALU_DEP_1)
	v_add_co_u32 v2, vcc_lo, s0, v2
	v_add_co_ci_u32_e64 v3, null, s1, v3, vcc_lo
	s_lshl_b64 s[0:1], s[4:5], 2
	s_cmp_lg_u32 s8, 0
	s_wait_alu 0xfffe
	s_add_nc_u64 s[0:1], s[6:7], s[0:1]
	s_cbranch_scc0 .LBB59_17
; %bb.14:
	v_mad_co_u64_u32 v[5:6], null, v1, s12, v[0:1]
	v_mov_b32_e32 v6, v4
	s_delay_alu instid0(VALU_DEP_1) | instskip(SKIP_1) | instid1(VALU_DEP_1)
	v_lshlrev_b64_e32 v[4:5], 2, v[5:6]
	s_wait_alu 0xfffe
	v_add_co_u32 v4, vcc_lo, s0, v4
	s_wait_alu 0xfffd
	s_delay_alu instid0(VALU_DEP_2)
	v_add_co_ci_u32_e64 v5, null, s1, v5, vcc_lo
	global_load_b32 v4, v[4:5], off
	s_wait_loadcnt 0x0
	global_store_b32 v[2:3], v4, off offset:4
	s_and_not1_b32 vcc_lo, exec_lo, s15
	s_wait_alu 0xfffe
	s_cbranch_vccnz .LBB59_16
.LBB59_15:
	global_load_b32 v2, v[2:3], off offset:4
	v_mad_co_u64_u32 v[0:1], null, v1, s12, v[0:1]
	v_mov_b32_e32 v1, 0
	s_delay_alu instid0(VALU_DEP_1) | instskip(SKIP_1) | instid1(VALU_DEP_1)
	v_lshlrev_b64_e32 v[0:1], 2, v[0:1]
	s_wait_alu 0xfffe
	v_add_co_u32 v0, vcc_lo, s0, v0
	s_wait_alu 0xfffd
	s_delay_alu instid0(VALU_DEP_2)
	v_add_co_ci_u32_e64 v1, null, s1, v1, vcc_lo
	s_wait_loadcnt 0x0
	global_store_b32 v[0:1], v2, off
.LBB59_16:
	s_endpgm
.LBB59_17:
	s_branch .LBB59_15
	.section	.rodata,"a",@progbits
	.p2align	6, 0x0
	.amdhsa_kernel _ZN9rocsolver6v33100L8copy_matI19rocblas_complex_numIfEfLb0EPS3_TnNSt9enable_ifIX18rocblas_is_complexIT_EEiE4typeELi0EEEvNS0_17copymat_directionEiiT2_iilPT0_13rocblas_fill_17rocblas_diagonal_
		.amdhsa_group_segment_fixed_size 0
		.amdhsa_private_segment_fixed_size 0
		.amdhsa_kernarg_size 312
		.amdhsa_user_sgpr_count 2
		.amdhsa_user_sgpr_dispatch_ptr 0
		.amdhsa_user_sgpr_queue_ptr 0
		.amdhsa_user_sgpr_kernarg_segment_ptr 1
		.amdhsa_user_sgpr_dispatch_id 0
		.amdhsa_user_sgpr_private_segment_size 0
		.amdhsa_wavefront_size32 1
		.amdhsa_uses_dynamic_stack 0
		.amdhsa_enable_private_segment 0
		.amdhsa_system_sgpr_workgroup_id_x 1
		.amdhsa_system_sgpr_workgroup_id_y 1
		.amdhsa_system_sgpr_workgroup_id_z 1
		.amdhsa_system_sgpr_workgroup_info 0
		.amdhsa_system_vgpr_workitem_id 1
		.amdhsa_next_free_vgpr 7
		.amdhsa_next_free_sgpr 18
		.amdhsa_reserve_vcc 1
		.amdhsa_float_round_mode_32 0
		.amdhsa_float_round_mode_16_64 0
		.amdhsa_float_denorm_mode_32 3
		.amdhsa_float_denorm_mode_16_64 3
		.amdhsa_fp16_overflow 0
		.amdhsa_workgroup_processor_mode 1
		.amdhsa_memory_ordered 1
		.amdhsa_forward_progress 1
		.amdhsa_inst_pref_size 6
		.amdhsa_round_robin_scheduling 0
		.amdhsa_exception_fp_ieee_invalid_op 0
		.amdhsa_exception_fp_denorm_src 0
		.amdhsa_exception_fp_ieee_div_zero 0
		.amdhsa_exception_fp_ieee_overflow 0
		.amdhsa_exception_fp_ieee_underflow 0
		.amdhsa_exception_fp_ieee_inexact 0
		.amdhsa_exception_int_div_zero 0
	.end_amdhsa_kernel
	.section	.text._ZN9rocsolver6v33100L8copy_matI19rocblas_complex_numIfEfLb0EPS3_TnNSt9enable_ifIX18rocblas_is_complexIT_EEiE4typeELi0EEEvNS0_17copymat_directionEiiT2_iilPT0_13rocblas_fill_17rocblas_diagonal_,"axG",@progbits,_ZN9rocsolver6v33100L8copy_matI19rocblas_complex_numIfEfLb0EPS3_TnNSt9enable_ifIX18rocblas_is_complexIT_EEiE4typeELi0EEEvNS0_17copymat_directionEiiT2_iilPT0_13rocblas_fill_17rocblas_diagonal_,comdat
.Lfunc_end59:
	.size	_ZN9rocsolver6v33100L8copy_matI19rocblas_complex_numIfEfLb0EPS3_TnNSt9enable_ifIX18rocblas_is_complexIT_EEiE4typeELi0EEEvNS0_17copymat_directionEiiT2_iilPT0_13rocblas_fill_17rocblas_diagonal_, .Lfunc_end59-_ZN9rocsolver6v33100L8copy_matI19rocblas_complex_numIfEfLb0EPS3_TnNSt9enable_ifIX18rocblas_is_complexIT_EEiE4typeELi0EEEvNS0_17copymat_directionEiiT2_iilPT0_13rocblas_fill_17rocblas_diagonal_
                                        ; -- End function
	.set _ZN9rocsolver6v33100L8copy_matI19rocblas_complex_numIfEfLb0EPS3_TnNSt9enable_ifIX18rocblas_is_complexIT_EEiE4typeELi0EEEvNS0_17copymat_directionEiiT2_iilPT0_13rocblas_fill_17rocblas_diagonal_.num_vgpr, 7
	.set _ZN9rocsolver6v33100L8copy_matI19rocblas_complex_numIfEfLb0EPS3_TnNSt9enable_ifIX18rocblas_is_complexIT_EEiE4typeELi0EEEvNS0_17copymat_directionEiiT2_iilPT0_13rocblas_fill_17rocblas_diagonal_.num_agpr, 0
	.set _ZN9rocsolver6v33100L8copy_matI19rocblas_complex_numIfEfLb0EPS3_TnNSt9enable_ifIX18rocblas_is_complexIT_EEiE4typeELi0EEEvNS0_17copymat_directionEiiT2_iilPT0_13rocblas_fill_17rocblas_diagonal_.numbered_sgpr, 18
	.set _ZN9rocsolver6v33100L8copy_matI19rocblas_complex_numIfEfLb0EPS3_TnNSt9enable_ifIX18rocblas_is_complexIT_EEiE4typeELi0EEEvNS0_17copymat_directionEiiT2_iilPT0_13rocblas_fill_17rocblas_diagonal_.num_named_barrier, 0
	.set _ZN9rocsolver6v33100L8copy_matI19rocblas_complex_numIfEfLb0EPS3_TnNSt9enable_ifIX18rocblas_is_complexIT_EEiE4typeELi0EEEvNS0_17copymat_directionEiiT2_iilPT0_13rocblas_fill_17rocblas_diagonal_.private_seg_size, 0
	.set _ZN9rocsolver6v33100L8copy_matI19rocblas_complex_numIfEfLb0EPS3_TnNSt9enable_ifIX18rocblas_is_complexIT_EEiE4typeELi0EEEvNS0_17copymat_directionEiiT2_iilPT0_13rocblas_fill_17rocblas_diagonal_.uses_vcc, 1
	.set _ZN9rocsolver6v33100L8copy_matI19rocblas_complex_numIfEfLb0EPS3_TnNSt9enable_ifIX18rocblas_is_complexIT_EEiE4typeELi0EEEvNS0_17copymat_directionEiiT2_iilPT0_13rocblas_fill_17rocblas_diagonal_.uses_flat_scratch, 0
	.set _ZN9rocsolver6v33100L8copy_matI19rocblas_complex_numIfEfLb0EPS3_TnNSt9enable_ifIX18rocblas_is_complexIT_EEiE4typeELi0EEEvNS0_17copymat_directionEiiT2_iilPT0_13rocblas_fill_17rocblas_diagonal_.has_dyn_sized_stack, 0
	.set _ZN9rocsolver6v33100L8copy_matI19rocblas_complex_numIfEfLb0EPS3_TnNSt9enable_ifIX18rocblas_is_complexIT_EEiE4typeELi0EEEvNS0_17copymat_directionEiiT2_iilPT0_13rocblas_fill_17rocblas_diagonal_.has_recursion, 0
	.set _ZN9rocsolver6v33100L8copy_matI19rocblas_complex_numIfEfLb0EPS3_TnNSt9enable_ifIX18rocblas_is_complexIT_EEiE4typeELi0EEEvNS0_17copymat_directionEiiT2_iilPT0_13rocblas_fill_17rocblas_diagonal_.has_indirect_call, 0
	.section	.AMDGPU.csdata,"",@progbits
; Kernel info:
; codeLenInByte = 668
; TotalNumSgprs: 20
; NumVgprs: 7
; ScratchSize: 0
; MemoryBound: 0
; FloatMode: 240
; IeeeMode: 1
; LDSByteSize: 0 bytes/workgroup (compile time only)
; SGPRBlocks: 0
; VGPRBlocks: 0
; NumSGPRsForWavesPerEU: 20
; NumVGPRsForWavesPerEU: 7
; Occupancy: 16
; WaveLimiterHint : 0
; COMPUTE_PGM_RSRC2:SCRATCH_EN: 0
; COMPUTE_PGM_RSRC2:USER_SGPR: 2
; COMPUTE_PGM_RSRC2:TRAP_HANDLER: 0
; COMPUTE_PGM_RSRC2:TGID_X_EN: 1
; COMPUTE_PGM_RSRC2:TGID_Y_EN: 1
; COMPUTE_PGM_RSRC2:TGID_Z_EN: 1
; COMPUTE_PGM_RSRC2:TIDIG_COMP_CNT: 1
	.section	.text._ZN9rocsolver6v33100L8set_zeroI19rocblas_complex_numIfEPS3_EEviiT0_iil13rocblas_fill_,"axG",@progbits,_ZN9rocsolver6v33100L8set_zeroI19rocblas_complex_numIfEPS3_EEviiT0_iil13rocblas_fill_,comdat
	.globl	_ZN9rocsolver6v33100L8set_zeroI19rocblas_complex_numIfEPS3_EEviiT0_iil13rocblas_fill_ ; -- Begin function _ZN9rocsolver6v33100L8set_zeroI19rocblas_complex_numIfEPS3_EEviiT0_iil13rocblas_fill_
	.p2align	8
	.type	_ZN9rocsolver6v33100L8set_zeroI19rocblas_complex_numIfEPS3_EEviiT0_iil13rocblas_fill_,@function
_ZN9rocsolver6v33100L8set_zeroI19rocblas_complex_numIfEPS3_EEviiT0_iil13rocblas_fill_: ; @_ZN9rocsolver6v33100L8set_zeroI19rocblas_complex_numIfEPS3_EEviiT0_iil13rocblas_fill_
; %bb.0:
	s_clause 0x1
	s_load_b32 s4, s[0:1], 0x34
	s_load_b64 s[2:3], s[0:1], 0x0
	v_and_b32_e32 v1, 0x3ff, v0
	v_bfe_u32 v2, v0, 10, 10
	s_and_b32 s5, ttmp7, 0xffff
	s_wait_kmcnt 0x0
	s_lshr_b32 s6, s4, 16
	s_and_b32 s4, s4, 0xffff
	s_delay_alu instid0(SALU_CYCLE_1) | instskip(SKIP_1) | instid1(VALU_DEP_2)
	v_mad_co_u64_u32 v[0:1], null, ttmp9, s4, v[1:2]
	v_mad_co_u64_u32 v[1:2], null, s5, s6, v[2:3]
	v_cmp_gt_u32_e32 vcc_lo, s2, v0
	s_delay_alu instid0(VALU_DEP_2)
	v_cmp_gt_u32_e64 s2, s3, v1
	s_and_b32 s2, vcc_lo, s2
	s_wait_alu 0xfffe
	s_and_saveexec_b32 s3, s2
	s_cbranch_execz .LBB60_12
; %bb.1:
	s_load_b32 s3, s[0:1], 0x20
	s_wait_kmcnt 0x0
	s_cmp_lt_i32 s3, 0x7a
	s_cbranch_scc1 .LBB60_4
; %bb.2:
	s_cmp_gt_i32 s3, 0x7a
	s_cbranch_scc0 .LBB60_5
; %bb.3:
	s_cmp_eq_u32 s3, 0x7b
	s_cselect_b32 s2, -1, 0
	s_cbranch_execz .LBB60_6
	s_branch .LBB60_7
.LBB60_4:
	s_mov_b32 s2, 0
	s_cbranch_execnz .LBB60_8
	s_branch .LBB60_10
.LBB60_5:
	s_mov_b32 s2, 0
.LBB60_6:
	v_cmp_gt_u32_e32 vcc_lo, v1, v0
	s_wait_alu 0xfffe
	s_and_not1_b32 s2, s2, exec_lo
	s_and_b32 s4, vcc_lo, exec_lo
	s_wait_alu 0xfffe
	s_or_b32 s2, s2, s4
.LBB60_7:
	s_branch .LBB60_10
.LBB60_8:
	s_cmp_eq_u32 s3, 0x79
	s_cbranch_scc0 .LBB60_10
; %bb.9:
	v_cmp_gt_u32_e32 vcc_lo, v0, v1
	s_wait_alu 0xfffe
	s_and_not1_b32 s2, s2, exec_lo
	s_and_b32 s3, vcc_lo, exec_lo
	s_wait_alu 0xfffe
	s_or_b32 s2, s2, s3
.LBB60_10:
	s_wait_alu 0xfffe
	s_and_b32 exec_lo, exec_lo, s2
	s_cbranch_execz .LBB60_12
; %bb.11:
	s_clause 0x1
	s_load_b128 s[4:7], s[0:1], 0x8
	s_load_b64 s[0:1], s[0:1], 0x18
	s_mov_b32 s3, 0
	s_lshr_b32 s2, ttmp7, 16
	s_wait_kmcnt 0x0
	v_mad_co_u64_u32 v[0:1], null, v1, s7, v[0:1]
	v_mov_b32_e32 v1, 0
	s_wait_alu 0xfffe
	s_mul_u64 s[0:1], s[0:1], s[2:3]
	s_ashr_i32 s7, s6, 31
	s_wait_alu 0xfffe
	s_lshl_b64 s[0:1], s[0:1], 3
	s_lshl_b64 s[2:3], s[6:7], 3
	s_wait_alu 0xfffe
	s_add_nc_u64 s[0:1], s[4:5], s[0:1]
	v_lshlrev_b64_e32 v[2:3], 3, v[0:1]
	s_wait_alu 0xfffe
	s_add_nc_u64 s[0:1], s[0:1], s[2:3]
	v_mov_b32_e32 v0, v1
	s_wait_alu 0xfffe
	s_delay_alu instid0(VALU_DEP_2) | instskip(NEXT) | instid1(VALU_DEP_1)
	v_add_co_u32 v2, vcc_lo, s0, v2
	v_add_co_ci_u32_e64 v3, null, s1, v3, vcc_lo
	global_store_b64 v[2:3], v[0:1], off
.LBB60_12:
	s_endpgm
	.section	.rodata,"a",@progbits
	.p2align	6, 0x0
	.amdhsa_kernel _ZN9rocsolver6v33100L8set_zeroI19rocblas_complex_numIfEPS3_EEviiT0_iil13rocblas_fill_
		.amdhsa_group_segment_fixed_size 0
		.amdhsa_private_segment_fixed_size 0
		.amdhsa_kernarg_size 296
		.amdhsa_user_sgpr_count 2
		.amdhsa_user_sgpr_dispatch_ptr 0
		.amdhsa_user_sgpr_queue_ptr 0
		.amdhsa_user_sgpr_kernarg_segment_ptr 1
		.amdhsa_user_sgpr_dispatch_id 0
		.amdhsa_user_sgpr_private_segment_size 0
		.amdhsa_wavefront_size32 1
		.amdhsa_uses_dynamic_stack 0
		.amdhsa_enable_private_segment 0
		.amdhsa_system_sgpr_workgroup_id_x 1
		.amdhsa_system_sgpr_workgroup_id_y 1
		.amdhsa_system_sgpr_workgroup_id_z 1
		.amdhsa_system_sgpr_workgroup_info 0
		.amdhsa_system_vgpr_workitem_id 1
		.amdhsa_next_free_vgpr 4
		.amdhsa_next_free_sgpr 8
		.amdhsa_reserve_vcc 1
		.amdhsa_float_round_mode_32 0
		.amdhsa_float_round_mode_16_64 0
		.amdhsa_float_denorm_mode_32 3
		.amdhsa_float_denorm_mode_16_64 3
		.amdhsa_fp16_overflow 0
		.amdhsa_workgroup_processor_mode 1
		.amdhsa_memory_ordered 1
		.amdhsa_forward_progress 1
		.amdhsa_inst_pref_size 4
		.amdhsa_round_robin_scheduling 0
		.amdhsa_exception_fp_ieee_invalid_op 0
		.amdhsa_exception_fp_denorm_src 0
		.amdhsa_exception_fp_ieee_div_zero 0
		.amdhsa_exception_fp_ieee_overflow 0
		.amdhsa_exception_fp_ieee_underflow 0
		.amdhsa_exception_fp_ieee_inexact 0
		.amdhsa_exception_int_div_zero 0
	.end_amdhsa_kernel
	.section	.text._ZN9rocsolver6v33100L8set_zeroI19rocblas_complex_numIfEPS3_EEviiT0_iil13rocblas_fill_,"axG",@progbits,_ZN9rocsolver6v33100L8set_zeroI19rocblas_complex_numIfEPS3_EEviiT0_iil13rocblas_fill_,comdat
.Lfunc_end60:
	.size	_ZN9rocsolver6v33100L8set_zeroI19rocblas_complex_numIfEPS3_EEviiT0_iil13rocblas_fill_, .Lfunc_end60-_ZN9rocsolver6v33100L8set_zeroI19rocblas_complex_numIfEPS3_EEviiT0_iil13rocblas_fill_
                                        ; -- End function
	.set _ZN9rocsolver6v33100L8set_zeroI19rocblas_complex_numIfEPS3_EEviiT0_iil13rocblas_fill_.num_vgpr, 4
	.set _ZN9rocsolver6v33100L8set_zeroI19rocblas_complex_numIfEPS3_EEviiT0_iil13rocblas_fill_.num_agpr, 0
	.set _ZN9rocsolver6v33100L8set_zeroI19rocblas_complex_numIfEPS3_EEviiT0_iil13rocblas_fill_.numbered_sgpr, 8
	.set _ZN9rocsolver6v33100L8set_zeroI19rocblas_complex_numIfEPS3_EEviiT0_iil13rocblas_fill_.num_named_barrier, 0
	.set _ZN9rocsolver6v33100L8set_zeroI19rocblas_complex_numIfEPS3_EEviiT0_iil13rocblas_fill_.private_seg_size, 0
	.set _ZN9rocsolver6v33100L8set_zeroI19rocblas_complex_numIfEPS3_EEviiT0_iil13rocblas_fill_.uses_vcc, 1
	.set _ZN9rocsolver6v33100L8set_zeroI19rocblas_complex_numIfEPS3_EEviiT0_iil13rocblas_fill_.uses_flat_scratch, 0
	.set _ZN9rocsolver6v33100L8set_zeroI19rocblas_complex_numIfEPS3_EEviiT0_iil13rocblas_fill_.has_dyn_sized_stack, 0
	.set _ZN9rocsolver6v33100L8set_zeroI19rocblas_complex_numIfEPS3_EEviiT0_iil13rocblas_fill_.has_recursion, 0
	.set _ZN9rocsolver6v33100L8set_zeroI19rocblas_complex_numIfEPS3_EEviiT0_iil13rocblas_fill_.has_indirect_call, 0
	.section	.AMDGPU.csdata,"",@progbits
; Kernel info:
; codeLenInByte = 392
; TotalNumSgprs: 10
; NumVgprs: 4
; ScratchSize: 0
; MemoryBound: 0
; FloatMode: 240
; IeeeMode: 1
; LDSByteSize: 0 bytes/workgroup (compile time only)
; SGPRBlocks: 0
; VGPRBlocks: 0
; NumSGPRsForWavesPerEU: 10
; NumVGPRsForWavesPerEU: 4
; Occupancy: 16
; WaveLimiterHint : 0
; COMPUTE_PGM_RSRC2:SCRATCH_EN: 0
; COMPUTE_PGM_RSRC2:USER_SGPR: 2
; COMPUTE_PGM_RSRC2:TRAP_HANDLER: 0
; COMPUTE_PGM_RSRC2:TGID_X_EN: 1
; COMPUTE_PGM_RSRC2:TGID_Y_EN: 1
; COMPUTE_PGM_RSRC2:TGID_Z_EN: 1
; COMPUTE_PGM_RSRC2:TIDIG_COMP_CNT: 1
	.section	.text._ZN9rocsolver6v33100L8copy_matI19rocblas_complex_numIfEfLb1EPS3_TnNSt9enable_ifIX18rocblas_is_complexIT_EEiE4typeELi0EEEvNS0_17copymat_directionEiiT2_iilPT0_13rocblas_fill_17rocblas_diagonal_,"axG",@progbits,_ZN9rocsolver6v33100L8copy_matI19rocblas_complex_numIfEfLb1EPS3_TnNSt9enable_ifIX18rocblas_is_complexIT_EEiE4typeELi0EEEvNS0_17copymat_directionEiiT2_iilPT0_13rocblas_fill_17rocblas_diagonal_,comdat
	.globl	_ZN9rocsolver6v33100L8copy_matI19rocblas_complex_numIfEfLb1EPS3_TnNSt9enable_ifIX18rocblas_is_complexIT_EEiE4typeELi0EEEvNS0_17copymat_directionEiiT2_iilPT0_13rocblas_fill_17rocblas_diagonal_ ; -- Begin function _ZN9rocsolver6v33100L8copy_matI19rocblas_complex_numIfEfLb1EPS3_TnNSt9enable_ifIX18rocblas_is_complexIT_EEiE4typeELi0EEEvNS0_17copymat_directionEiiT2_iilPT0_13rocblas_fill_17rocblas_diagonal_
	.p2align	8
	.type	_ZN9rocsolver6v33100L8copy_matI19rocblas_complex_numIfEfLb1EPS3_TnNSt9enable_ifIX18rocblas_is_complexIT_EEiE4typeELi0EEEvNS0_17copymat_directionEiiT2_iilPT0_13rocblas_fill_17rocblas_diagonal_,@function
_ZN9rocsolver6v33100L8copy_matI19rocblas_complex_numIfEfLb1EPS3_TnNSt9enable_ifIX18rocblas_is_complexIT_EEiE4typeELi0EEEvNS0_17copymat_directionEiiT2_iilPT0_13rocblas_fill_17rocblas_diagonal_: ; @_ZN9rocsolver6v33100L8copy_matI19rocblas_complex_numIfEfLb1EPS3_TnNSt9enable_ifIX18rocblas_is_complexIT_EEiE4typeELi0EEEvNS0_17copymat_directionEiiT2_iilPT0_13rocblas_fill_17rocblas_diagonal_
; %bb.0:
	s_clause 0x1
	s_load_b32 s2, s[0:1], 0x44
	s_load_b96 s[8:10], s[0:1], 0x0
	v_and_b32_e32 v1, 0x3ff, v0
	v_bfe_u32 v2, v0, 10, 10
	s_and_b32 s3, ttmp7, 0xffff
	s_wait_kmcnt 0x0
	s_lshr_b32 s4, s2, 16
	s_and_b32 s2, s2, 0xffff
	s_delay_alu instid0(SALU_CYCLE_1) | instskip(SKIP_1) | instid1(VALU_DEP_2)
	v_mad_co_u64_u32 v[0:1], null, ttmp9, s2, v[1:2]
	v_mad_co_u64_u32 v[1:2], null, s3, s4, v[2:3]
	v_cmp_gt_u32_e32 vcc_lo, s9, v0
	s_delay_alu instid0(VALU_DEP_2)
	v_cmp_gt_u32_e64 s2, s10, v1
	s_and_b32 s2, s2, vcc_lo
	s_wait_alu 0xfffe
	s_and_saveexec_b32 s3, s2
	s_cbranch_execz .LBB61_16
; %bb.1:
	s_load_b64 s[4:5], s[0:1], 0x30
	s_mov_b32 s12, s9
	s_wait_kmcnt 0x0
	s_cmp_lt_i32 s4, 0x7a
	s_cbranch_scc1 .LBB61_4
; %bb.2:
	s_cmp_gt_i32 s4, 0x7a
	s_cbranch_scc0 .LBB61_5
; %bb.3:
	s_cmp_lg_u32 s4, 0x7b
	s_mov_b32 s3, -1
	s_cselect_b32 s6, -1, 0
	s_cbranch_execz .LBB61_6
	s_branch .LBB61_7
.LBB61_4:
	s_mov_b32 s6, 0
	s_mov_b32 s3, 0
	s_cbranch_execnz .LBB61_8
	s_branch .LBB61_10
.LBB61_5:
	s_mov_b32 s3, 0
	s_mov_b32 s6, 0
.LBB61_6:
	v_cmp_gt_u32_e32 vcc_lo, v0, v1
	v_cmp_le_u32_e64 s2, v0, v1
	s_wait_alu 0xfffe
	s_and_not1_b32 s3, s3, exec_lo
	s_and_not1_b32 s6, s6, exec_lo
	s_and_b32 s7, vcc_lo, exec_lo
	s_and_b32 s2, s2, exec_lo
	s_wait_alu 0xfffe
	s_or_b32 s3, s3, s7
	s_or_b32 s6, s6, s2
.LBB61_7:
	s_branch .LBB61_10
.LBB61_8:
	s_cmp_eq_u32 s4, 0x79
	s_mov_b32 s6, -1
	s_cbranch_scc0 .LBB61_10
; %bb.9:
	v_cmp_gt_u32_e32 vcc_lo, v1, v0
	v_cmp_le_u32_e64 s2, v1, v0
	s_wait_alu 0xfffe
	s_and_not1_b32 s3, s3, exec_lo
	s_and_b32 s4, vcc_lo, exec_lo
	s_or_not1_b32 s6, s2, exec_lo
	s_wait_alu 0xfffe
	s_or_b32 s3, s3, s4
.LBB61_10:
	s_and_saveexec_b32 s2, s6
; %bb.11:
	v_cmp_eq_u32_e32 vcc_lo, v0, v1
	s_cmp_eq_u32 s5, 0x83
	s_cselect_b32 s4, -1, 0
	s_wait_alu 0xfffe
	s_and_not1_b32 s3, s3, exec_lo
	s_and_b32 s4, s4, vcc_lo
	s_wait_alu 0xfffe
	s_and_b32 s4, s4, exec_lo
	s_wait_alu 0xfffe
	s_or_b32 s3, s3, s4
; %bb.12:
	s_or_b32 exec_lo, exec_lo, s2
	s_wait_alu 0xfffe
	s_and_b32 exec_lo, exec_lo, s3
	s_cbranch_execz .LBB61_16
; %bb.13:
	s_load_b256 s[0:7], s[0:1], 0x10
	s_ashr_i32 s13, s9, 31
	s_mov_b32 s15, 0
	s_lshr_b32 s14, ttmp7, 16
	s_ashr_i32 s11, s10, 31
	s_mul_u64 s[16:17], s[12:13], s[14:15]
	s_wait_alu 0xfffe
	s_mul_u64 s[10:11], s[16:17], s[10:11]
	s_wait_alu 0xfffe
	s_lshl_b64 s[10:11], s[10:11], 2
	s_wait_kmcnt 0x0
	s_mul_u64 s[4:5], s[4:5], s[14:15]
	s_ashr_i32 s17, s2, 31
	s_mov_b32 s16, s2
	s_wait_alu 0xfffe
	s_lshl_b64 s[4:5], s[4:5], 3
	s_lshl_b64 s[16:17], s[16:17], 3
	s_wait_alu 0xfffe
	s_add_nc_u64 s[0:1], s[0:1], s[4:5]
	s_cmp_lg_u32 s8, 0
	s_wait_alu 0xfffe
	s_add_nc_u64 s[4:5], s[0:1], s[16:17]
	s_add_nc_u64 s[0:1], s[6:7], s[10:11]
	s_cbranch_scc0 .LBB61_17
; %bb.14:
	v_mad_co_u64_u32 v[2:3], null, v1, s12, v[0:1]
	v_mov_b32_e32 v3, 0
	s_delay_alu instid0(VALU_DEP_1) | instskip(SKIP_1) | instid1(VALU_DEP_1)
	v_lshlrev_b64_e32 v[4:5], 2, v[2:3]
	s_wait_alu 0xfffe
	v_add_co_u32 v4, vcc_lo, s0, v4
	s_delay_alu instid0(VALU_DEP_1) | instskip(SKIP_3) | instid1(VALU_DEP_1)
	v_add_co_ci_u32_e64 v5, null, s1, v5, vcc_lo
	global_load_b32 v6, v[4:5], off
	v_mad_co_u64_u32 v[4:5], null, v1, s3, v[0:1]
	v_mov_b32_e32 v5, v3
	v_lshlrev_b64_e32 v[2:3], 3, v[4:5]
	s_delay_alu instid0(VALU_DEP_1) | instskip(SKIP_1) | instid1(VALU_DEP_2)
	v_add_co_u32 v2, vcc_lo, s4, v2
	s_wait_alu 0xfffd
	v_add_co_ci_u32_e64 v3, null, s5, v3, vcc_lo
	s_wait_loadcnt 0x0
	global_store_b32 v[2:3], v6, off
	s_and_not1_b32 vcc_lo, exec_lo, s15
	s_wait_alu 0xfffe
	s_cbranch_vccnz .LBB61_16
.LBB61_15:
	v_mad_co_u64_u32 v[2:3], null, v1, s3, v[0:1]
	v_mov_b32_e32 v3, 0
	v_mad_co_u64_u32 v[0:1], null, v1, s12, v[0:1]
	s_delay_alu instid0(VALU_DEP_2) | instskip(NEXT) | instid1(VALU_DEP_4)
	v_mov_b32_e32 v1, v3
	v_lshlrev_b64_e32 v[4:5], 3, v[2:3]
	s_delay_alu instid0(VALU_DEP_2) | instskip(SKIP_1) | instid1(VALU_DEP_2)
	v_lshlrev_b64_e32 v[0:1], 2, v[0:1]
	s_wait_alu 0xfffe
	v_add_co_u32 v4, vcc_lo, s4, v4
	s_wait_alu 0xfffd
	s_delay_alu instid0(VALU_DEP_3) | instskip(NEXT) | instid1(VALU_DEP_3)
	v_add_co_ci_u32_e64 v5, null, s5, v5, vcc_lo
	v_add_co_u32 v0, vcc_lo, s0, v0
	s_wait_alu 0xfffd
	v_add_co_ci_u32_e64 v1, null, s1, v1, vcc_lo
	global_load_b32 v2, v[4:5], off
	s_wait_loadcnt 0x0
	global_store_b32 v[0:1], v2, off
.LBB61_16:
	s_endpgm
.LBB61_17:
	s_branch .LBB61_15
	.section	.rodata,"a",@progbits
	.p2align	6, 0x0
	.amdhsa_kernel _ZN9rocsolver6v33100L8copy_matI19rocblas_complex_numIfEfLb1EPS3_TnNSt9enable_ifIX18rocblas_is_complexIT_EEiE4typeELi0EEEvNS0_17copymat_directionEiiT2_iilPT0_13rocblas_fill_17rocblas_diagonal_
		.amdhsa_group_segment_fixed_size 0
		.amdhsa_private_segment_fixed_size 0
		.amdhsa_kernarg_size 312
		.amdhsa_user_sgpr_count 2
		.amdhsa_user_sgpr_dispatch_ptr 0
		.amdhsa_user_sgpr_queue_ptr 0
		.amdhsa_user_sgpr_kernarg_segment_ptr 1
		.amdhsa_user_sgpr_dispatch_id 0
		.amdhsa_user_sgpr_private_segment_size 0
		.amdhsa_wavefront_size32 1
		.amdhsa_uses_dynamic_stack 0
		.amdhsa_enable_private_segment 0
		.amdhsa_system_sgpr_workgroup_id_x 1
		.amdhsa_system_sgpr_workgroup_id_y 1
		.amdhsa_system_sgpr_workgroup_id_z 1
		.amdhsa_system_sgpr_workgroup_info 0
		.amdhsa_system_vgpr_workitem_id 1
		.amdhsa_next_free_vgpr 7
		.amdhsa_next_free_sgpr 18
		.amdhsa_reserve_vcc 1
		.amdhsa_float_round_mode_32 0
		.amdhsa_float_round_mode_16_64 0
		.amdhsa_float_denorm_mode_32 3
		.amdhsa_float_denorm_mode_16_64 3
		.amdhsa_fp16_overflow 0
		.amdhsa_workgroup_processor_mode 1
		.amdhsa_memory_ordered 1
		.amdhsa_forward_progress 1
		.amdhsa_inst_pref_size 6
		.amdhsa_round_robin_scheduling 0
		.amdhsa_exception_fp_ieee_invalid_op 0
		.amdhsa_exception_fp_denorm_src 0
		.amdhsa_exception_fp_ieee_div_zero 0
		.amdhsa_exception_fp_ieee_overflow 0
		.amdhsa_exception_fp_ieee_underflow 0
		.amdhsa_exception_fp_ieee_inexact 0
		.amdhsa_exception_int_div_zero 0
	.end_amdhsa_kernel
	.section	.text._ZN9rocsolver6v33100L8copy_matI19rocblas_complex_numIfEfLb1EPS3_TnNSt9enable_ifIX18rocblas_is_complexIT_EEiE4typeELi0EEEvNS0_17copymat_directionEiiT2_iilPT0_13rocblas_fill_17rocblas_diagonal_,"axG",@progbits,_ZN9rocsolver6v33100L8copy_matI19rocblas_complex_numIfEfLb1EPS3_TnNSt9enable_ifIX18rocblas_is_complexIT_EEiE4typeELi0EEEvNS0_17copymat_directionEiiT2_iilPT0_13rocblas_fill_17rocblas_diagonal_,comdat
.Lfunc_end61:
	.size	_ZN9rocsolver6v33100L8copy_matI19rocblas_complex_numIfEfLb1EPS3_TnNSt9enable_ifIX18rocblas_is_complexIT_EEiE4typeELi0EEEvNS0_17copymat_directionEiiT2_iilPT0_13rocblas_fill_17rocblas_diagonal_, .Lfunc_end61-_ZN9rocsolver6v33100L8copy_matI19rocblas_complex_numIfEfLb1EPS3_TnNSt9enable_ifIX18rocblas_is_complexIT_EEiE4typeELi0EEEvNS0_17copymat_directionEiiT2_iilPT0_13rocblas_fill_17rocblas_diagonal_
                                        ; -- End function
	.set _ZN9rocsolver6v33100L8copy_matI19rocblas_complex_numIfEfLb1EPS3_TnNSt9enable_ifIX18rocblas_is_complexIT_EEiE4typeELi0EEEvNS0_17copymat_directionEiiT2_iilPT0_13rocblas_fill_17rocblas_diagonal_.num_vgpr, 7
	.set _ZN9rocsolver6v33100L8copy_matI19rocblas_complex_numIfEfLb1EPS3_TnNSt9enable_ifIX18rocblas_is_complexIT_EEiE4typeELi0EEEvNS0_17copymat_directionEiiT2_iilPT0_13rocblas_fill_17rocblas_diagonal_.num_agpr, 0
	.set _ZN9rocsolver6v33100L8copy_matI19rocblas_complex_numIfEfLb1EPS3_TnNSt9enable_ifIX18rocblas_is_complexIT_EEiE4typeELi0EEEvNS0_17copymat_directionEiiT2_iilPT0_13rocblas_fill_17rocblas_diagonal_.numbered_sgpr, 18
	.set _ZN9rocsolver6v33100L8copy_matI19rocblas_complex_numIfEfLb1EPS3_TnNSt9enable_ifIX18rocblas_is_complexIT_EEiE4typeELi0EEEvNS0_17copymat_directionEiiT2_iilPT0_13rocblas_fill_17rocblas_diagonal_.num_named_barrier, 0
	.set _ZN9rocsolver6v33100L8copy_matI19rocblas_complex_numIfEfLb1EPS3_TnNSt9enable_ifIX18rocblas_is_complexIT_EEiE4typeELi0EEEvNS0_17copymat_directionEiiT2_iilPT0_13rocblas_fill_17rocblas_diagonal_.private_seg_size, 0
	.set _ZN9rocsolver6v33100L8copy_matI19rocblas_complex_numIfEfLb1EPS3_TnNSt9enable_ifIX18rocblas_is_complexIT_EEiE4typeELi0EEEvNS0_17copymat_directionEiiT2_iilPT0_13rocblas_fill_17rocblas_diagonal_.uses_vcc, 1
	.set _ZN9rocsolver6v33100L8copy_matI19rocblas_complex_numIfEfLb1EPS3_TnNSt9enable_ifIX18rocblas_is_complexIT_EEiE4typeELi0EEEvNS0_17copymat_directionEiiT2_iilPT0_13rocblas_fill_17rocblas_diagonal_.uses_flat_scratch, 0
	.set _ZN9rocsolver6v33100L8copy_matI19rocblas_complex_numIfEfLb1EPS3_TnNSt9enable_ifIX18rocblas_is_complexIT_EEiE4typeELi0EEEvNS0_17copymat_directionEiiT2_iilPT0_13rocblas_fill_17rocblas_diagonal_.has_dyn_sized_stack, 0
	.set _ZN9rocsolver6v33100L8copy_matI19rocblas_complex_numIfEfLb1EPS3_TnNSt9enable_ifIX18rocblas_is_complexIT_EEiE4typeELi0EEEvNS0_17copymat_directionEiiT2_iilPT0_13rocblas_fill_17rocblas_diagonal_.has_recursion, 0
	.set _ZN9rocsolver6v33100L8copy_matI19rocblas_complex_numIfEfLb1EPS3_TnNSt9enable_ifIX18rocblas_is_complexIT_EEiE4typeELi0EEEvNS0_17copymat_directionEiiT2_iilPT0_13rocblas_fill_17rocblas_diagonal_.has_indirect_call, 0
	.section	.AMDGPU.csdata,"",@progbits
; Kernel info:
; codeLenInByte = 712
; TotalNumSgprs: 20
; NumVgprs: 7
; ScratchSize: 0
; MemoryBound: 0
; FloatMode: 240
; IeeeMode: 1
; LDSByteSize: 0 bytes/workgroup (compile time only)
; SGPRBlocks: 0
; VGPRBlocks: 0
; NumSGPRsForWavesPerEU: 20
; NumVGPRsForWavesPerEU: 7
; Occupancy: 16
; WaveLimiterHint : 0
; COMPUTE_PGM_RSRC2:SCRATCH_EN: 0
; COMPUTE_PGM_RSRC2:USER_SGPR: 2
; COMPUTE_PGM_RSRC2:TRAP_HANDLER: 0
; COMPUTE_PGM_RSRC2:TGID_X_EN: 1
; COMPUTE_PGM_RSRC2:TGID_Y_EN: 1
; COMPUTE_PGM_RSRC2:TGID_Z_EN: 1
; COMPUTE_PGM_RSRC2:TIDIG_COMP_CNT: 1
	.section	.text._ZN9rocsolver6v33100L11stedc_copyCI19rocblas_complex_numIfEPS3_S4_EEviT0_iilT1_iil,"axG",@progbits,_ZN9rocsolver6v33100L11stedc_copyCI19rocblas_complex_numIfEPS3_S4_EEviT0_iilT1_iil,comdat
	.globl	_ZN9rocsolver6v33100L11stedc_copyCI19rocblas_complex_numIfEPS3_S4_EEviT0_iilT1_iil ; -- Begin function _ZN9rocsolver6v33100L11stedc_copyCI19rocblas_complex_numIfEPS3_S4_EEviT0_iilT1_iil
	.p2align	8
	.type	_ZN9rocsolver6v33100L11stedc_copyCI19rocblas_complex_numIfEPS3_S4_EEviT0_iilT1_iil,@function
_ZN9rocsolver6v33100L11stedc_copyCI19rocblas_complex_numIfEPS3_S4_EEviT0_iilT1_iil: ; @_ZN9rocsolver6v33100L11stedc_copyCI19rocblas_complex_numIfEPS3_S4_EEviT0_iilT1_iil
; %bb.0:
	s_clause 0x1
	s_load_b32 s2, s[0:1], 0x44
	s_load_b32 s22, s[0:1], 0x0
	s_wait_kmcnt 0x0
	s_and_b32 s20, s2, 0xffff
	s_add_co_i32 s4, s22, -1
	s_lshl_b32 s21, s20, 4
	s_abs_i32 s5, s4
	s_cvt_f32_u32 s2, s21
	s_sub_co_i32 s3, 0, s21
	s_ashr_i32 s4, s4, 31
	s_delay_alu instid0(SALU_CYCLE_1) | instskip(NEXT) | instid1(TRANS32_DEP_1)
	v_rcp_iflag_f32_e32 v1, s2
	v_readfirstlane_b32 s2, v1
	s_mul_f32 s2, s2, 0x4f7ffffe
	s_wait_alu 0xfffe
	s_delay_alu instid0(SALU_CYCLE_2) | instskip(SKIP_1) | instid1(SALU_CYCLE_2)
	s_cvt_u32_f32 s2, s2
	s_wait_alu 0xfffe
	s_mul_i32 s3, s3, s2
	s_wait_alu 0xfffe
	s_mul_hi_u32 s3, s2, s3
	s_wait_alu 0xfffe
	s_add_co_i32 s2, s2, s3
	s_wait_alu 0xfffe
	s_mul_hi_u32 s2, s5, s2
	s_wait_alu 0xfffe
	s_mul_i32 s3, s2, s21
	s_wait_alu 0xfffe
	s_sub_co_i32 s3, s5, s3
	s_add_co_i32 s5, s2, 1
	s_wait_alu 0xfffe
	s_sub_co_i32 s6, s3, s21
	s_cmp_ge_u32 s3, s21
	s_cselect_b32 s2, s5, s2
	s_cselect_b32 s3, s6, s3
	s_wait_alu 0xfffe
	s_add_co_i32 s5, s2, 1
	s_cmp_ge_u32 s3, s21
	s_cselect_b32 s2, s5, s2
	s_wait_alu 0xfffe
	s_xor_b32 s2, s2, s4
	s_wait_alu 0xfffe
	s_sub_co_i32 s2, s2, s4
	s_wait_alu 0xfffe
	s_cmp_lt_i32 s2, 0
	s_cbranch_scc1 .LBB62_67
; %bb.1:
	s_clause 0x1
	s_load_b256 s[4:11], s[0:1], 0x8
	s_load_b128 s[12:15], s[0:1], 0x28
	s_mov_b32 s16, ttmp7
	s_ashr_i32 s17, ttmp7, 31
	s_add_co_i32 s23, s2, 1
	s_lshl_b32 s24, s20, 1
	s_mul_i32 s25, s20, 3
	s_lshl_b32 s26, s20, 2
	s_mul_i32 s27, s20, 5
	s_mul_i32 s28, s20, 6
	;; [unrolled: 1-line block ×3, first 2 shown]
	s_lshl_b32 s30, s20, 3
	s_mul_i32 s31, s20, 9
	s_mul_i32 s33, s20, 10
	;; [unrolled: 1-line block ×7, first 2 shown]
                                        ; implicit-def: $vgpr2_vgpr3
                                        ; implicit-def: $vgpr4_vgpr5
                                        ; implicit-def: $vgpr6_vgpr7
                                        ; implicit-def: $vgpr8_vgpr9
                                        ; implicit-def: $vgpr10_vgpr11
                                        ; implicit-def: $vgpr12_vgpr13
                                        ; implicit-def: $vgpr14_vgpr15
                                        ; implicit-def: $vgpr16_vgpr17
                                        ; implicit-def: $vgpr18_vgpr19
                                        ; implicit-def: $vgpr20_vgpr21
                                        ; implicit-def: $vgpr22_vgpr23
                                        ; implicit-def: $vgpr24_vgpr25
                                        ; implicit-def: $vgpr26_vgpr27
                                        ; implicit-def: $vgpr28_vgpr29
                                        ; implicit-def: $vgpr30_vgpr31
                                        ; implicit-def: $vgpr32_vgpr33
	s_wait_kmcnt 0x0
	s_mul_u64 s[2:3], s[8:9], s[16:17]
	s_mul_u64 s[14:15], s[14:15], s[16:17]
	s_ashr_i32 s1, s6, 31
	s_mov_b32 s0, s6
	s_ashr_i32 s9, s12, 31
	s_mov_b32 s8, s12
	s_mul_i32 s6, s7, ttmp9
	s_mul_i32 s12, s13, ttmp9
	s_wait_alu 0xfffe
	s_lshl_b64 s[2:3], s[2:3], 3
	s_lshl_b64 s[14:15], s[14:15], 3
	;; [unrolled: 1-line block ×4, first 2 shown]
	s_ashr_i32 s7, s6, 31
	s_ashr_i32 s13, s12, 31
	s_wait_alu 0xfffe
	s_add_nc_u64 s[2:3], s[4:5], s[2:3]
	s_add_nc_u64 s[4:5], s[10:11], s[14:15]
	s_lshl_b64 s[6:7], s[6:7], 3
	s_lshl_b64 s[10:11], s[12:13], 3
	s_wait_alu 0xfffe
	s_add_nc_u64 s[0:1], s[2:3], s[0:1]
	s_add_nc_u64 s[2:3], s[4:5], s[8:9]
	;; [unrolled: 1-line block ×3, first 2 shown]
	s_wait_alu 0xfffe
	s_add_nc_u64 s[18:19], s[2:3], s[10:11]
	s_branch .LBB62_3
.LBB62_2:                               ;   in Loop: Header=BB62_3 Depth=1
	s_wait_alu 0xfffe
	s_or_b32 exec_lo, exec_lo, s0
	v_add_nc_u32_e32 v0, s21, v0
	s_add_co_i32 s23, s23, -1
	s_wait_alu 0xfffe
	s_cmp_eq_u32 s23, 0
	s_cbranch_scc1 .LBB62_67
.LBB62_3:                               ; =>This Inner Loop Header: Depth=1
	v_cmp_gt_i32_e32 vcc_lo, s22, v0
	v_ashrrev_i32_e32 v1, 31, v0
	s_and_saveexec_b32 s1, vcc_lo
	s_cbranch_execz .LBB62_5
; %bb.4:                                ;   in Loop: Header=BB62_3 Depth=1
	s_wait_loadcnt 0x0
	s_delay_alu instid0(VALU_DEP_1) | instskip(NEXT) | instid1(VALU_DEP_1)
	v_lshlrev_b64_e32 v[32:33], 3, v[0:1]
	v_add_co_u32 v32, s0, s16, v32
	s_wait_alu 0xf1ff
	s_delay_alu instid0(VALU_DEP_2)
	v_add_co_ci_u32_e64 v33, null, s17, v33, s0
	global_load_b64 v[32:33], v[32:33], off
.LBB62_5:                               ;   in Loop: Header=BB62_3 Depth=1
	s_wait_alu 0xfffe
	s_or_b32 exec_lo, exec_lo, s1
	v_add_nc_u32_e32 v34, s20, v0
	s_delay_alu instid0(VALU_DEP_1)
	v_cmp_gt_i32_e64 s0, s22, v34
	v_ashrrev_i32_e32 v35, 31, v34
	s_and_saveexec_b32 s2, s0
	s_cbranch_execz .LBB62_7
; %bb.6:                                ;   in Loop: Header=BB62_3 Depth=1
	s_wait_loadcnt 0x0
	s_delay_alu instid0(VALU_DEP_1) | instskip(NEXT) | instid1(VALU_DEP_1)
	v_lshlrev_b64_e32 v[30:31], 3, v[34:35]
	v_add_co_u32 v30, s1, s16, v30
	s_wait_alu 0xf1ff
	s_delay_alu instid0(VALU_DEP_2)
	v_add_co_ci_u32_e64 v31, null, s17, v31, s1
	global_load_b64 v[30:31], v[30:31], off
.LBB62_7:                               ;   in Loop: Header=BB62_3 Depth=1
	s_wait_alu 0xfffe
	s_or_b32 exec_lo, exec_lo, s2
	v_add_nc_u32_e32 v38, s20, v34
	v_add_nc_u32_e32 v36, s24, v0
	s_delay_alu instid0(VALU_DEP_2) | instskip(NEXT) | instid1(VALU_DEP_2)
	v_cmp_gt_i32_e64 s1, s22, v38
	v_ashrrev_i32_e32 v37, 31, v36
	s_and_saveexec_b32 s3, s1
	s_cbranch_execz .LBB62_9
; %bb.8:                                ;   in Loop: Header=BB62_3 Depth=1
	s_wait_loadcnt 0x0
	s_delay_alu instid0(VALU_DEP_1) | instskip(NEXT) | instid1(VALU_DEP_1)
	v_lshlrev_b64_e32 v[28:29], 3, v[36:37]
	v_add_co_u32 v28, s2, s16, v28
	s_wait_alu 0xf1ff
	s_delay_alu instid0(VALU_DEP_2)
	v_add_co_ci_u32_e64 v29, null, s17, v29, s2
	global_load_b64 v[28:29], v[28:29], off
.LBB62_9:                               ;   in Loop: Header=BB62_3 Depth=1
	s_wait_alu 0xfffe
	s_or_b32 exec_lo, exec_lo, s3
	v_add_nc_u32_e32 v40, s20, v38
	v_add_nc_u32_e32 v38, s25, v0
	s_delay_alu instid0(VALU_DEP_2) | instskip(NEXT) | instid1(VALU_DEP_2)
	v_cmp_gt_i32_e64 s2, s22, v40
	v_ashrrev_i32_e32 v39, 31, v38
	s_and_saveexec_b32 s4, s2
	s_cbranch_execz .LBB62_11
; %bb.10:                               ;   in Loop: Header=BB62_3 Depth=1
	s_wait_loadcnt 0x0
	s_delay_alu instid0(VALU_DEP_1) | instskip(NEXT) | instid1(VALU_DEP_1)
	v_lshlrev_b64_e32 v[26:27], 3, v[38:39]
	v_add_co_u32 v26, s3, s16, v26
	s_wait_alu 0xf1ff
	s_delay_alu instid0(VALU_DEP_2)
	v_add_co_ci_u32_e64 v27, null, s17, v27, s3
	global_load_b64 v[26:27], v[26:27], off
.LBB62_11:                              ;   in Loop: Header=BB62_3 Depth=1
	s_wait_alu 0xfffe
	s_or_b32 exec_lo, exec_lo, s4
	v_add_nc_u32_e32 v42, s20, v40
	v_add_nc_u32_e32 v40, s26, v0
	s_delay_alu instid0(VALU_DEP_2) | instskip(NEXT) | instid1(VALU_DEP_2)
	v_cmp_gt_i32_e64 s3, s22, v42
	v_ashrrev_i32_e32 v41, 31, v40
	s_and_saveexec_b32 s5, s3
	s_cbranch_execz .LBB62_13
; %bb.12:                               ;   in Loop: Header=BB62_3 Depth=1
	s_wait_loadcnt 0x0
	s_delay_alu instid0(VALU_DEP_1) | instskip(NEXT) | instid1(VALU_DEP_1)
	v_lshlrev_b64_e32 v[24:25], 3, v[40:41]
	v_add_co_u32 v24, s4, s16, v24
	s_wait_alu 0xf1ff
	s_delay_alu instid0(VALU_DEP_2)
	v_add_co_ci_u32_e64 v25, null, s17, v25, s4
	global_load_b64 v[24:25], v[24:25], off
.LBB62_13:                              ;   in Loop: Header=BB62_3 Depth=1
	;; [unrolled: 19-line block ×12, first 2 shown]
	s_wait_alu 0xfffe
	s_or_b32 exec_lo, exec_lo, s15
	v_add_nc_u32_e32 v63, s20, v62
	v_add_nc_u32_e32 v62, s38, v0
	s_delay_alu instid0(VALU_DEP_2) | instskip(NEXT) | instid1(VALU_DEP_2)
	v_cmp_gt_i32_e64 s14, s22, v63
	v_ashrrev_i32_e32 v63, 31, v62
	s_and_saveexec_b32 s39, s14
	s_cbranch_execnz .LBB62_50
; %bb.34:                               ;   in Loop: Header=BB62_3 Depth=1
	s_wait_alu 0xfffe
	s_or_b32 exec_lo, exec_lo, s39
	s_and_saveexec_b32 s15, vcc_lo
	s_cbranch_execnz .LBB62_51
.LBB62_35:                              ;   in Loop: Header=BB62_3 Depth=1
	s_wait_alu 0xfffe
	s_or_b32 exec_lo, exec_lo, s15
	s_and_saveexec_b32 s15, s0
	s_cbranch_execnz .LBB62_52
.LBB62_36:                              ;   in Loop: Header=BB62_3 Depth=1
	s_wait_alu 0xfffe
	s_or_b32 exec_lo, exec_lo, s15
	s_and_saveexec_b32 s0, s1
	s_cbranch_execnz .LBB62_53
.LBB62_37:                              ;   in Loop: Header=BB62_3 Depth=1
	s_wait_alu 0xfffe
	s_or_b32 exec_lo, exec_lo, s0
	s_and_saveexec_b32 s0, s2
	s_cbranch_execnz .LBB62_54
.LBB62_38:                              ;   in Loop: Header=BB62_3 Depth=1
	s_wait_alu 0xfffe
	s_or_b32 exec_lo, exec_lo, s0
	s_and_saveexec_b32 s0, s3
	s_cbranch_execnz .LBB62_55
.LBB62_39:                              ;   in Loop: Header=BB62_3 Depth=1
	s_wait_alu 0xfffe
	s_or_b32 exec_lo, exec_lo, s0
	s_and_saveexec_b32 s0, s4
	s_cbranch_execnz .LBB62_56
.LBB62_40:                              ;   in Loop: Header=BB62_3 Depth=1
	s_wait_alu 0xfffe
	s_or_b32 exec_lo, exec_lo, s0
	s_and_saveexec_b32 s0, s5
	s_cbranch_execnz .LBB62_57
.LBB62_41:                              ;   in Loop: Header=BB62_3 Depth=1
	s_wait_alu 0xfffe
	s_or_b32 exec_lo, exec_lo, s0
	s_and_saveexec_b32 s0, s6
	s_cbranch_execnz .LBB62_58
.LBB62_42:                              ;   in Loop: Header=BB62_3 Depth=1
	s_wait_alu 0xfffe
	s_or_b32 exec_lo, exec_lo, s0
	s_and_saveexec_b32 s0, s7
	s_cbranch_execnz .LBB62_59
.LBB62_43:                              ;   in Loop: Header=BB62_3 Depth=1
	s_wait_alu 0xfffe
	s_or_b32 exec_lo, exec_lo, s0
	s_and_saveexec_b32 s0, s8
	s_cbranch_execnz .LBB62_60
.LBB62_44:                              ;   in Loop: Header=BB62_3 Depth=1
	s_wait_alu 0xfffe
	s_or_b32 exec_lo, exec_lo, s0
	s_and_saveexec_b32 s0, s9
	s_cbranch_execnz .LBB62_61
.LBB62_45:                              ;   in Loop: Header=BB62_3 Depth=1
	s_wait_alu 0xfffe
	s_or_b32 exec_lo, exec_lo, s0
	s_and_saveexec_b32 s0, s10
	s_cbranch_execnz .LBB62_62
.LBB62_46:                              ;   in Loop: Header=BB62_3 Depth=1
	s_wait_alu 0xfffe
	s_or_b32 exec_lo, exec_lo, s0
	s_and_saveexec_b32 s0, s11
	s_cbranch_execnz .LBB62_63
.LBB62_47:                              ;   in Loop: Header=BB62_3 Depth=1
	s_wait_alu 0xfffe
	s_or_b32 exec_lo, exec_lo, s0
	s_and_saveexec_b32 s0, s12
	s_cbranch_execnz .LBB62_64
.LBB62_48:                              ;   in Loop: Header=BB62_3 Depth=1
	s_wait_alu 0xfffe
	s_or_b32 exec_lo, exec_lo, s0
	s_and_saveexec_b32 s0, s13
	s_cbranch_execnz .LBB62_65
.LBB62_49:                              ;   in Loop: Header=BB62_3 Depth=1
	s_wait_alu 0xfffe
	s_or_b32 exec_lo, exec_lo, s0
	s_and_saveexec_b32 s0, s14
	s_cbranch_execz .LBB62_2
	s_branch .LBB62_66
.LBB62_50:                              ;   in Loop: Header=BB62_3 Depth=1
	s_wait_loadcnt 0x0
	s_delay_alu instid0(VALU_DEP_1) | instskip(NEXT) | instid1(VALU_DEP_1)
	v_lshlrev_b64_e32 v[2:3], 3, v[62:63]
	v_add_co_u32 v2, s15, s16, v2
	s_wait_alu 0xf1ff
	s_delay_alu instid0(VALU_DEP_2)
	v_add_co_ci_u32_e64 v3, null, s17, v3, s15
	global_load_b64 v[2:3], v[2:3], off
	s_wait_alu 0xfffe
	s_or_b32 exec_lo, exec_lo, s39
	s_and_saveexec_b32 s15, vcc_lo
	s_cbranch_execz .LBB62_35
.LBB62_51:                              ;   in Loop: Header=BB62_3 Depth=1
	v_lshlrev_b64_e32 v[64:65], 3, v[0:1]
	s_delay_alu instid0(VALU_DEP_1) | instskip(SKIP_1) | instid1(VALU_DEP_2)
	v_add_co_u32 v64, vcc_lo, s18, v64
	s_wait_alu 0xfffd
	v_add_co_ci_u32_e64 v65, null, s19, v65, vcc_lo
	s_wait_loadcnt 0x0
	global_store_b64 v[64:65], v[32:33], off
	s_wait_alu 0xfffe
	s_or_b32 exec_lo, exec_lo, s15
	s_and_saveexec_b32 s15, s0
	s_cbranch_execz .LBB62_36
.LBB62_52:                              ;   in Loop: Header=BB62_3 Depth=1
	v_lshlrev_b64_e32 v[34:35], 3, v[34:35]
	s_delay_alu instid0(VALU_DEP_1) | instskip(SKIP_1) | instid1(VALU_DEP_2)
	v_add_co_u32 v34, vcc_lo, s18, v34
	s_wait_alu 0xfffd
	v_add_co_ci_u32_e64 v35, null, s19, v35, vcc_lo
	s_wait_loadcnt 0x0
	global_store_b64 v[34:35], v[30:31], off
	s_wait_alu 0xfffe
	s_or_b32 exec_lo, exec_lo, s15
	s_and_saveexec_b32 s0, s1
	s_cbranch_execz .LBB62_37
.LBB62_53:                              ;   in Loop: Header=BB62_3 Depth=1
	v_lshlrev_b64_e32 v[34:35], 3, v[36:37]
	s_delay_alu instid0(VALU_DEP_1) | instskip(SKIP_1) | instid1(VALU_DEP_2)
	v_add_co_u32 v34, vcc_lo, s18, v34
	s_wait_alu 0xfffd
	v_add_co_ci_u32_e64 v35, null, s19, v35, vcc_lo
	s_wait_loadcnt 0x0
	global_store_b64 v[34:35], v[28:29], off
	s_wait_alu 0xfffe
	s_or_b32 exec_lo, exec_lo, s0
	s_and_saveexec_b32 s0, s2
	s_cbranch_execz .LBB62_38
.LBB62_54:                              ;   in Loop: Header=BB62_3 Depth=1
	v_lshlrev_b64_e32 v[34:35], 3, v[38:39]
	s_delay_alu instid0(VALU_DEP_1) | instskip(SKIP_1) | instid1(VALU_DEP_2)
	v_add_co_u32 v34, vcc_lo, s18, v34
	s_wait_alu 0xfffd
	v_add_co_ci_u32_e64 v35, null, s19, v35, vcc_lo
	s_wait_loadcnt 0x0
	global_store_b64 v[34:35], v[26:27], off
	s_wait_alu 0xfffe
	s_or_b32 exec_lo, exec_lo, s0
	s_and_saveexec_b32 s0, s3
	s_cbranch_execz .LBB62_39
.LBB62_55:                              ;   in Loop: Header=BB62_3 Depth=1
	v_lshlrev_b64_e32 v[34:35], 3, v[40:41]
	s_delay_alu instid0(VALU_DEP_1) | instskip(SKIP_1) | instid1(VALU_DEP_2)
	v_add_co_u32 v34, vcc_lo, s18, v34
	s_wait_alu 0xfffd
	v_add_co_ci_u32_e64 v35, null, s19, v35, vcc_lo
	s_wait_loadcnt 0x0
	global_store_b64 v[34:35], v[24:25], off
	s_wait_alu 0xfffe
	s_or_b32 exec_lo, exec_lo, s0
	s_and_saveexec_b32 s0, s4
	s_cbranch_execz .LBB62_40
.LBB62_56:                              ;   in Loop: Header=BB62_3 Depth=1
	v_lshlrev_b64_e32 v[34:35], 3, v[42:43]
	s_delay_alu instid0(VALU_DEP_1) | instskip(SKIP_1) | instid1(VALU_DEP_2)
	v_add_co_u32 v34, vcc_lo, s18, v34
	s_wait_alu 0xfffd
	v_add_co_ci_u32_e64 v35, null, s19, v35, vcc_lo
	s_wait_loadcnt 0x0
	global_store_b64 v[34:35], v[22:23], off
	s_wait_alu 0xfffe
	s_or_b32 exec_lo, exec_lo, s0
	s_and_saveexec_b32 s0, s5
	s_cbranch_execz .LBB62_41
.LBB62_57:                              ;   in Loop: Header=BB62_3 Depth=1
	v_lshlrev_b64_e32 v[34:35], 3, v[44:45]
	s_delay_alu instid0(VALU_DEP_1) | instskip(SKIP_1) | instid1(VALU_DEP_2)
	v_add_co_u32 v34, vcc_lo, s18, v34
	s_wait_alu 0xfffd
	v_add_co_ci_u32_e64 v35, null, s19, v35, vcc_lo
	s_wait_loadcnt 0x0
	global_store_b64 v[34:35], v[20:21], off
	s_wait_alu 0xfffe
	s_or_b32 exec_lo, exec_lo, s0
	s_and_saveexec_b32 s0, s6
	s_cbranch_execz .LBB62_42
.LBB62_58:                              ;   in Loop: Header=BB62_3 Depth=1
	v_lshlrev_b64_e32 v[34:35], 3, v[46:47]
	s_delay_alu instid0(VALU_DEP_1) | instskip(SKIP_1) | instid1(VALU_DEP_2)
	v_add_co_u32 v34, vcc_lo, s18, v34
	s_wait_alu 0xfffd
	v_add_co_ci_u32_e64 v35, null, s19, v35, vcc_lo
	s_wait_loadcnt 0x0
	global_store_b64 v[34:35], v[18:19], off
	s_wait_alu 0xfffe
	s_or_b32 exec_lo, exec_lo, s0
	s_and_saveexec_b32 s0, s7
	s_cbranch_execz .LBB62_43
.LBB62_59:                              ;   in Loop: Header=BB62_3 Depth=1
	v_lshlrev_b64_e32 v[34:35], 3, v[48:49]
	s_delay_alu instid0(VALU_DEP_1) | instskip(SKIP_1) | instid1(VALU_DEP_2)
	v_add_co_u32 v34, vcc_lo, s18, v34
	s_wait_alu 0xfffd
	v_add_co_ci_u32_e64 v35, null, s19, v35, vcc_lo
	s_wait_loadcnt 0x0
	global_store_b64 v[34:35], v[16:17], off
	s_wait_alu 0xfffe
	s_or_b32 exec_lo, exec_lo, s0
	s_and_saveexec_b32 s0, s8
	s_cbranch_execz .LBB62_44
.LBB62_60:                              ;   in Loop: Header=BB62_3 Depth=1
	v_lshlrev_b64_e32 v[34:35], 3, v[50:51]
	s_delay_alu instid0(VALU_DEP_1) | instskip(SKIP_1) | instid1(VALU_DEP_2)
	v_add_co_u32 v34, vcc_lo, s18, v34
	s_wait_alu 0xfffd
	v_add_co_ci_u32_e64 v35, null, s19, v35, vcc_lo
	s_wait_loadcnt 0x0
	global_store_b64 v[34:35], v[14:15], off
	s_wait_alu 0xfffe
	s_or_b32 exec_lo, exec_lo, s0
	s_and_saveexec_b32 s0, s9
	s_cbranch_execz .LBB62_45
.LBB62_61:                              ;   in Loop: Header=BB62_3 Depth=1
	v_lshlrev_b64_e32 v[34:35], 3, v[52:53]
	s_delay_alu instid0(VALU_DEP_1) | instskip(SKIP_1) | instid1(VALU_DEP_2)
	v_add_co_u32 v34, vcc_lo, s18, v34
	s_wait_alu 0xfffd
	v_add_co_ci_u32_e64 v35, null, s19, v35, vcc_lo
	s_wait_loadcnt 0x0
	global_store_b64 v[34:35], v[12:13], off
	s_wait_alu 0xfffe
	s_or_b32 exec_lo, exec_lo, s0
	s_and_saveexec_b32 s0, s10
	s_cbranch_execz .LBB62_46
.LBB62_62:                              ;   in Loop: Header=BB62_3 Depth=1
	v_lshlrev_b64_e32 v[34:35], 3, v[54:55]
	s_delay_alu instid0(VALU_DEP_1) | instskip(SKIP_1) | instid1(VALU_DEP_2)
	v_add_co_u32 v34, vcc_lo, s18, v34
	s_wait_alu 0xfffd
	v_add_co_ci_u32_e64 v35, null, s19, v35, vcc_lo
	s_wait_loadcnt 0x0
	global_store_b64 v[34:35], v[10:11], off
	s_wait_alu 0xfffe
	s_or_b32 exec_lo, exec_lo, s0
	s_and_saveexec_b32 s0, s11
	s_cbranch_execz .LBB62_47
.LBB62_63:                              ;   in Loop: Header=BB62_3 Depth=1
	v_lshlrev_b64_e32 v[34:35], 3, v[56:57]
	s_delay_alu instid0(VALU_DEP_1) | instskip(SKIP_1) | instid1(VALU_DEP_2)
	v_add_co_u32 v34, vcc_lo, s18, v34
	s_wait_alu 0xfffd
	v_add_co_ci_u32_e64 v35, null, s19, v35, vcc_lo
	s_wait_loadcnt 0x0
	global_store_b64 v[34:35], v[8:9], off
	s_wait_alu 0xfffe
	s_or_b32 exec_lo, exec_lo, s0
	s_and_saveexec_b32 s0, s12
	s_cbranch_execz .LBB62_48
.LBB62_64:                              ;   in Loop: Header=BB62_3 Depth=1
	v_lshlrev_b64_e32 v[34:35], 3, v[58:59]
	s_delay_alu instid0(VALU_DEP_1) | instskip(SKIP_1) | instid1(VALU_DEP_2)
	v_add_co_u32 v34, vcc_lo, s18, v34
	s_wait_alu 0xfffd
	v_add_co_ci_u32_e64 v35, null, s19, v35, vcc_lo
	s_wait_loadcnt 0x0
	global_store_b64 v[34:35], v[6:7], off
	s_wait_alu 0xfffe
	s_or_b32 exec_lo, exec_lo, s0
	s_and_saveexec_b32 s0, s13
	s_cbranch_execz .LBB62_49
.LBB62_65:                              ;   in Loop: Header=BB62_3 Depth=1
	v_lshlrev_b64_e32 v[34:35], 3, v[60:61]
	s_delay_alu instid0(VALU_DEP_1) | instskip(SKIP_1) | instid1(VALU_DEP_2)
	v_add_co_u32 v34, vcc_lo, s18, v34
	s_wait_alu 0xfffd
	v_add_co_ci_u32_e64 v35, null, s19, v35, vcc_lo
	s_wait_loadcnt 0x0
	global_store_b64 v[34:35], v[4:5], off
	s_wait_alu 0xfffe
	s_or_b32 exec_lo, exec_lo, s0
	s_and_saveexec_b32 s0, s14
	s_cbranch_execz .LBB62_2
.LBB62_66:                              ;   in Loop: Header=BB62_3 Depth=1
	v_lshlrev_b64_e32 v[34:35], 3, v[62:63]
	s_delay_alu instid0(VALU_DEP_1) | instskip(SKIP_1) | instid1(VALU_DEP_2)
	v_add_co_u32 v34, vcc_lo, s18, v34
	s_wait_alu 0xfffd
	v_add_co_ci_u32_e64 v35, null, s19, v35, vcc_lo
	s_wait_loadcnt 0x0
	global_store_b64 v[34:35], v[2:3], off
	s_branch .LBB62_2
.LBB62_67:
	s_endpgm
	.section	.rodata,"a",@progbits
	.p2align	6, 0x0
	.amdhsa_kernel _ZN9rocsolver6v33100L11stedc_copyCI19rocblas_complex_numIfEPS3_S4_EEviT0_iilT1_iil
		.amdhsa_group_segment_fixed_size 0
		.amdhsa_private_segment_fixed_size 0
		.amdhsa_kernarg_size 312
		.amdhsa_user_sgpr_count 2
		.amdhsa_user_sgpr_dispatch_ptr 0
		.amdhsa_user_sgpr_queue_ptr 0
		.amdhsa_user_sgpr_kernarg_segment_ptr 1
		.amdhsa_user_sgpr_dispatch_id 0
		.amdhsa_user_sgpr_private_segment_size 0
		.amdhsa_wavefront_size32 1
		.amdhsa_uses_dynamic_stack 0
		.amdhsa_enable_private_segment 0
		.amdhsa_system_sgpr_workgroup_id_x 1
		.amdhsa_system_sgpr_workgroup_id_y 1
		.amdhsa_system_sgpr_workgroup_id_z 0
		.amdhsa_system_sgpr_workgroup_info 0
		.amdhsa_system_vgpr_workitem_id 0
		.amdhsa_next_free_vgpr 66
		.amdhsa_next_free_sgpr 40
		.amdhsa_reserve_vcc 1
		.amdhsa_float_round_mode_32 0
		.amdhsa_float_round_mode_16_64 0
		.amdhsa_float_denorm_mode_32 3
		.amdhsa_float_denorm_mode_16_64 3
		.amdhsa_fp16_overflow 0
		.amdhsa_workgroup_processor_mode 1
		.amdhsa_memory_ordered 1
		.amdhsa_forward_progress 1
		.amdhsa_inst_pref_size 24
		.amdhsa_round_robin_scheduling 0
		.amdhsa_exception_fp_ieee_invalid_op 0
		.amdhsa_exception_fp_denorm_src 0
		.amdhsa_exception_fp_ieee_div_zero 0
		.amdhsa_exception_fp_ieee_overflow 0
		.amdhsa_exception_fp_ieee_underflow 0
		.amdhsa_exception_fp_ieee_inexact 0
		.amdhsa_exception_int_div_zero 0
	.end_amdhsa_kernel
	.section	.text._ZN9rocsolver6v33100L11stedc_copyCI19rocblas_complex_numIfEPS3_S4_EEviT0_iilT1_iil,"axG",@progbits,_ZN9rocsolver6v33100L11stedc_copyCI19rocblas_complex_numIfEPS3_S4_EEviT0_iilT1_iil,comdat
.Lfunc_end62:
	.size	_ZN9rocsolver6v33100L11stedc_copyCI19rocblas_complex_numIfEPS3_S4_EEviT0_iilT1_iil, .Lfunc_end62-_ZN9rocsolver6v33100L11stedc_copyCI19rocblas_complex_numIfEPS3_S4_EEviT0_iilT1_iil
                                        ; -- End function
	.set _ZN9rocsolver6v33100L11stedc_copyCI19rocblas_complex_numIfEPS3_S4_EEviT0_iilT1_iil.num_vgpr, 66
	.set _ZN9rocsolver6v33100L11stedc_copyCI19rocblas_complex_numIfEPS3_S4_EEviT0_iilT1_iil.num_agpr, 0
	.set _ZN9rocsolver6v33100L11stedc_copyCI19rocblas_complex_numIfEPS3_S4_EEviT0_iilT1_iil.numbered_sgpr, 40
	.set _ZN9rocsolver6v33100L11stedc_copyCI19rocblas_complex_numIfEPS3_S4_EEviT0_iilT1_iil.num_named_barrier, 0
	.set _ZN9rocsolver6v33100L11stedc_copyCI19rocblas_complex_numIfEPS3_S4_EEviT0_iilT1_iil.private_seg_size, 0
	.set _ZN9rocsolver6v33100L11stedc_copyCI19rocblas_complex_numIfEPS3_S4_EEviT0_iilT1_iil.uses_vcc, 1
	.set _ZN9rocsolver6v33100L11stedc_copyCI19rocblas_complex_numIfEPS3_S4_EEviT0_iilT1_iil.uses_flat_scratch, 0
	.set _ZN9rocsolver6v33100L11stedc_copyCI19rocblas_complex_numIfEPS3_S4_EEviT0_iilT1_iil.has_dyn_sized_stack, 0
	.set _ZN9rocsolver6v33100L11stedc_copyCI19rocblas_complex_numIfEPS3_S4_EEviT0_iilT1_iil.has_recursion, 0
	.set _ZN9rocsolver6v33100L11stedc_copyCI19rocblas_complex_numIfEPS3_S4_EEviT0_iilT1_iil.has_indirect_call, 0
	.section	.AMDGPU.csdata,"",@progbits
; Kernel info:
; codeLenInByte = 3040
; TotalNumSgprs: 42
; NumVgprs: 66
; ScratchSize: 0
; MemoryBound: 0
; FloatMode: 240
; IeeeMode: 1
; LDSByteSize: 0 bytes/workgroup (compile time only)
; SGPRBlocks: 0
; VGPRBlocks: 8
; NumSGPRsForWavesPerEU: 42
; NumVGPRsForWavesPerEU: 66
; Occupancy: 16
; WaveLimiterHint : 0
; COMPUTE_PGM_RSRC2:SCRATCH_EN: 0
; COMPUTE_PGM_RSRC2:USER_SGPR: 2
; COMPUTE_PGM_RSRC2:TRAP_HANDLER: 0
; COMPUTE_PGM_RSRC2:TGID_X_EN: 1
; COMPUTE_PGM_RSRC2:TGID_Y_EN: 1
; COMPUTE_PGM_RSRC2:TGID_Z_EN: 0
; COMPUTE_PGM_RSRC2:TIDIG_COMP_CNT: 0
	.section	.text._ZN9rocsolver6v33100L10stedc_sortI19rocblas_complex_numIfEfPS3_S4_EEviPT0_lS6_lT1_iilT2_iil,"axG",@progbits,_ZN9rocsolver6v33100L10stedc_sortI19rocblas_complex_numIfEfPS3_S4_EEviPT0_lS6_lT1_iilT2_iil,comdat
	.globl	_ZN9rocsolver6v33100L10stedc_sortI19rocblas_complex_numIfEfPS3_S4_EEviPT0_lS6_lT1_iilT2_iil ; -- Begin function _ZN9rocsolver6v33100L10stedc_sortI19rocblas_complex_numIfEfPS3_S4_EEviPT0_lS6_lT1_iilT2_iil
	.p2align	8
	.type	_ZN9rocsolver6v33100L10stedc_sortI19rocblas_complex_numIfEfPS3_S4_EEviPT0_lS6_lT1_iilT2_iil,@function
_ZN9rocsolver6v33100L10stedc_sortI19rocblas_complex_numIfEfPS3_S4_EEviPT0_lS6_lT1_iilT2_iil: ; @_ZN9rocsolver6v33100L10stedc_sortI19rocblas_complex_numIfEfPS3_S4_EEviPT0_lS6_lT1_iilT2_iil
; %bb.0:
	s_clause 0x3
	s_load_b32 s2, s[0:1], 0x64
	s_load_b64 s[28:29], s[0:1], 0x28
	s_load_b256 s[16:23], s[0:1], 0x8
	s_load_b32 s37, s[0:1], 0x0
	s_mov_b32 s24, ttmp7
	s_ashr_i32 s25, ttmp7, 31
	s_mov_b32 s26, ttmp9
	s_ashr_i32 s27, ttmp9, 31
	s_delay_alu instid0(SALU_CYCLE_1)
	s_lshl_b64 s[30:31], s[26:27], 2
	s_wait_kmcnt 0x0
	s_and_b32 s33, s2, 0xffff
	s_mul_u64 s[4:5], s[18:19], s[24:25]
	s_lshl_b32 s36, s33, 4
	s_add_co_i32 s6, s37, -1
	s_cvt_f32_u32 s2, s36
	s_sub_co_i32 s8, 0, s36
	s_lshl_b64 s[4:5], s[4:5], 2
	s_ashr_i32 s7, s6, 31
	v_rcp_iflag_f32_e32 v1, s2
	s_abs_i32 s6, s6
	s_add_nc_u64 s[34:35], s[16:17], s[4:5]
	s_mov_b32 s2, -1
	s_add_nc_u64 s[4:5], s[34:35], s[30:31]
	s_mul_i32 s27, s33, 3
	s_load_b32 s49, s[4:5], 0x0
	s_mul_i32 s38, s33, 5
	s_mul_i32 s39, s33, 6
	;; [unrolled: 1-line block ×3, first 2 shown]
	v_readfirstlane_b32 s3, v1
	s_mul_i32 s41, s33, 9
	s_mul_i32 s42, s33, 10
	;; [unrolled: 1-line block ×4, first 2 shown]
	s_mul_f32 s3, s3, 0x4f7ffffe
	s_mul_i32 s45, s33, 13
	s_mul_i32 s46, s33, 14
	;; [unrolled: 1-line block ×3, first 2 shown]
	s_wait_alu 0xfffe
	s_cvt_u32_f32 s3, s3
	s_wait_alu 0xfffe
	s_delay_alu instid0(SALU_CYCLE_2) | instskip(NEXT) | instid1(SALU_CYCLE_1)
	s_mul_i32 s8, s8, s3
	s_mul_hi_u32 s8, s3, s8
	s_delay_alu instid0(SALU_CYCLE_1)
	s_add_co_i32 s3, s3, s8
	s_wait_alu 0xfffe
	s_mul_hi_u32 s3, s6, s3
	s_wait_alu 0xfffe
	s_mul_i32 s8, s3, s36
	s_add_co_i32 s5, s3, 1
	s_sub_co_i32 s4, s6, s8
	s_delay_alu instid0(SALU_CYCLE_1)
	s_sub_co_i32 s6, s4, s36
	s_cmp_ge_u32 s4, s36
	s_cselect_b32 s3, s5, s3
	s_cselect_b32 s4, s6, s4
	s_wait_alu 0xfffe
	s_add_co_i32 s5, s3, 1
	s_cmp_ge_u32 s4, s36
	s_cselect_b32 s3, s5, s3
	s_wait_alu 0xfffe
	s_xor_b32 s3, s3, s7
	s_wait_alu 0xfffe
	s_sub_co_i32 s19, s3, s7
	s_delay_alu instid0(SALU_CYCLE_1)
	s_cmp_gt_i32 s19, -1
	s_cselect_b32 s48, -1, 0
	s_cmp_lt_i32 s19, 0
	s_cbranch_scc1 .LBB63_67
; %bb.1:
	v_dual_mov_b32 v48, 0 :: v_dual_mov_b32 v1, v0
	v_dual_mov_b32 v49, 0 :: v_dual_mov_b32 v50, 0
	s_add_co_i32 s50, s19, 1
	s_lshl_b32 s51, s33, 1
	s_lshl_b32 s52, s33, 2
	;; [unrolled: 1-line block ×3, first 2 shown]
                                        ; implicit-def: $vgpr17
                                        ; implicit-def: $vgpr15
                                        ; implicit-def: $vgpr13
                                        ; implicit-def: $vgpr11
                                        ; implicit-def: $vgpr9
                                        ; implicit-def: $vgpr7
                                        ; implicit-def: $vgpr5
                                        ; implicit-def: $vgpr3
	s_branch .LBB63_3
.LBB63_2:                               ;   in Loop: Header=BB63_3 Depth=1
	s_wait_alu 0xfffe
	s_or_b32 exec_lo, exec_lo, s4
	v_add_nc_u32_e32 v1, s36, v1
	s_add_co_i32 s50, s50, -1
	s_wait_alu 0xfffe
	s_cmp_eq_u32 s50, 0
	s_cbranch_scc1 .LBB63_68
.LBB63_3:                               ; =>This Inner Loop Header: Depth=1
	v_cmp_gt_i32_e64 s16, s37, v1
	s_and_saveexec_b32 s2, s16
	s_cbranch_execz .LBB63_5
; %bb.4:                                ;   in Loop: Header=BB63_3 Depth=1
	s_wait_loadcnt 0x0
	v_ashrrev_i32_e32 v2, 31, v1
	s_delay_alu instid0(VALU_DEP_1) | instskip(NEXT) | instid1(VALU_DEP_1)
	v_lshlrev_b64_e32 v[18:19], 2, v[1:2]
	v_add_co_u32 v18, vcc_lo, s34, v18
	s_wait_alu 0xfffd
	s_delay_alu instid0(VALU_DEP_2)
	v_add_co_ci_u32_e64 v19, null, s35, v19, vcc_lo
	global_load_b32 v2, v[18:19], off
.LBB63_5:                               ;   in Loop: Header=BB63_3 Depth=1
	s_wait_alu 0xfffe
	s_or_b32 exec_lo, exec_lo, s2
	v_add_nc_u32_e32 v46, s33, v1
	s_delay_alu instid0(VALU_DEP_1)
	v_cmp_gt_i32_e64 s15, s37, v46
	s_and_saveexec_b32 s2, s15
	s_cbranch_execz .LBB63_7
; %bb.6:                                ;   in Loop: Header=BB63_3 Depth=1
	v_ashrrev_i32_e32 v47, 31, v46
	s_delay_alu instid0(VALU_DEP_1) | instskip(NEXT) | instid1(VALU_DEP_1)
	v_lshlrev_b64_e32 v[18:19], 2, v[46:47]
	v_add_co_u32 v18, vcc_lo, s34, v18
	s_wait_alu 0xfffd
	s_delay_alu instid0(VALU_DEP_2)
	v_add_co_ci_u32_e64 v19, null, s35, v19, vcc_lo
	s_wait_loadcnt 0x0
	global_load_b32 v3, v[18:19], off
.LBB63_7:                               ;   in Loop: Header=BB63_3 Depth=1
	s_wait_alu 0xfffe
	s_or_b32 exec_lo, exec_lo, s2
	v_add_nc_u32_e32 v44, s51, v1
	s_delay_alu instid0(VALU_DEP_1)
	v_cmp_gt_i32_e64 s14, s37, v44
	s_and_saveexec_b32 s2, s14
	s_cbranch_execz .LBB63_9
; %bb.8:                                ;   in Loop: Header=BB63_3 Depth=1
	v_ashrrev_i32_e32 v45, 31, v44
	s_delay_alu instid0(VALU_DEP_1) | instskip(NEXT) | instid1(VALU_DEP_1)
	v_lshlrev_b64_e32 v[18:19], 2, v[44:45]
	v_add_co_u32 v18, vcc_lo, s34, v18
	s_wait_alu 0xfffd
	s_delay_alu instid0(VALU_DEP_2)
	v_add_co_ci_u32_e64 v19, null, s35, v19, vcc_lo
	s_wait_loadcnt 0x0
	global_load_b32 v4, v[18:19], off
.LBB63_9:                               ;   in Loop: Header=BB63_3 Depth=1
	s_wait_alu 0xfffe
	s_or_b32 exec_lo, exec_lo, s2
	v_add_nc_u32_e32 v42, s27, v1
	s_delay_alu instid0(VALU_DEP_1)
	v_cmp_gt_i32_e64 s13, s37, v42
	s_and_saveexec_b32 s2, s13
	s_cbranch_execz .LBB63_11
; %bb.10:                               ;   in Loop: Header=BB63_3 Depth=1
	v_ashrrev_i32_e32 v43, 31, v42
	s_delay_alu instid0(VALU_DEP_1) | instskip(NEXT) | instid1(VALU_DEP_1)
	v_lshlrev_b64_e32 v[18:19], 2, v[42:43]
	v_add_co_u32 v18, vcc_lo, s34, v18
	s_wait_alu 0xfffd
	s_delay_alu instid0(VALU_DEP_2)
	v_add_co_ci_u32_e64 v19, null, s35, v19, vcc_lo
	s_wait_loadcnt 0x0
	global_load_b32 v5, v[18:19], off
.LBB63_11:                              ;   in Loop: Header=BB63_3 Depth=1
	s_wait_alu 0xfffe
	s_or_b32 exec_lo, exec_lo, s2
	v_add_nc_u32_e32 v40, s52, v1
	s_delay_alu instid0(VALU_DEP_1)
	v_cmp_gt_i32_e64 s12, s37, v40
	s_and_saveexec_b32 s2, s12
	s_cbranch_execz .LBB63_13
; %bb.12:                               ;   in Loop: Header=BB63_3 Depth=1
	v_ashrrev_i32_e32 v41, 31, v40
	s_delay_alu instid0(VALU_DEP_1) | instskip(NEXT) | instid1(VALU_DEP_1)
	v_lshlrev_b64_e32 v[18:19], 2, v[40:41]
	v_add_co_u32 v18, vcc_lo, s34, v18
	s_wait_alu 0xfffd
	s_delay_alu instid0(VALU_DEP_2)
	v_add_co_ci_u32_e64 v19, null, s35, v19, vcc_lo
	s_wait_loadcnt 0x0
	global_load_b32 v6, v[18:19], off
.LBB63_13:                              ;   in Loop: Header=BB63_3 Depth=1
	;; [unrolled: 18-line block ×12, first 2 shown]
	s_wait_alu 0xfffe
	s_or_b32 exec_lo, exec_lo, s17
	v_add_nc_u32_e32 v18, s47, v1
	s_delay_alu instid0(VALU_DEP_1)
	v_cmp_gt_i32_e32 vcc_lo, s37, v18
	s_and_saveexec_b32 s18, vcc_lo
	s_cbranch_execnz .LBB63_50
; %bb.34:                               ;   in Loop: Header=BB63_3 Depth=1
	s_wait_alu 0xfffe
	s_or_b32 exec_lo, exec_lo, s18
	s_and_saveexec_b32 s54, s16
	s_cbranch_execnz .LBB63_51
.LBB63_35:                              ;   in Loop: Header=BB63_3 Depth=1
	s_or_b32 exec_lo, exec_lo, s54
	s_and_saveexec_b32 s18, s15
	s_cbranch_execnz .LBB63_52
.LBB63_36:                              ;   in Loop: Header=BB63_3 Depth=1
	s_wait_alu 0xfffe
	s_or_b32 exec_lo, exec_lo, s18
	s_and_saveexec_b32 s17, s14
	s_cbranch_execnz .LBB63_53
.LBB63_37:                              ;   in Loop: Header=BB63_3 Depth=1
	s_wait_alu 0xfffe
	s_or_b32 exec_lo, exec_lo, s17
	s_and_saveexec_b32 s16, s13
	s_cbranch_execnz .LBB63_54
.LBB63_38:                              ;   in Loop: Header=BB63_3 Depth=1
	s_wait_alu 0xfffe
	s_or_b32 exec_lo, exec_lo, s16
	s_and_saveexec_b32 s15, s12
	s_cbranch_execnz .LBB63_55
.LBB63_39:                              ;   in Loop: Header=BB63_3 Depth=1
	s_wait_alu 0xfffe
	s_or_b32 exec_lo, exec_lo, s15
	s_and_saveexec_b32 s14, s11
	s_cbranch_execnz .LBB63_56
.LBB63_40:                              ;   in Loop: Header=BB63_3 Depth=1
	s_wait_alu 0xfffe
	s_or_b32 exec_lo, exec_lo, s14
	s_and_saveexec_b32 s13, s10
	s_cbranch_execnz .LBB63_57
.LBB63_41:                              ;   in Loop: Header=BB63_3 Depth=1
	s_wait_alu 0xfffe
	s_or_b32 exec_lo, exec_lo, s13
	s_and_saveexec_b32 s12, s9
	s_cbranch_execnz .LBB63_58
.LBB63_42:                              ;   in Loop: Header=BB63_3 Depth=1
	s_wait_alu 0xfffe
	s_or_b32 exec_lo, exec_lo, s12
	s_and_saveexec_b32 s11, s8
	s_cbranch_execnz .LBB63_59
.LBB63_43:                              ;   in Loop: Header=BB63_3 Depth=1
	s_wait_alu 0xfffe
	s_or_b32 exec_lo, exec_lo, s11
	s_and_saveexec_b32 s10, s7
	s_cbranch_execnz .LBB63_60
.LBB63_44:                              ;   in Loop: Header=BB63_3 Depth=1
	s_wait_alu 0xfffe
	s_or_b32 exec_lo, exec_lo, s10
	s_and_saveexec_b32 s9, s6
	s_cbranch_execnz .LBB63_61
.LBB63_45:                              ;   in Loop: Header=BB63_3 Depth=1
	s_wait_alu 0xfffe
	s_or_b32 exec_lo, exec_lo, s9
	s_and_saveexec_b32 s8, s5
	s_cbranch_execnz .LBB63_62
.LBB63_46:                              ;   in Loop: Header=BB63_3 Depth=1
	s_wait_alu 0xfffe
	s_or_b32 exec_lo, exec_lo, s8
	s_and_saveexec_b32 s7, s4
	s_cbranch_execnz .LBB63_63
.LBB63_47:                              ;   in Loop: Header=BB63_3 Depth=1
	s_wait_alu 0xfffe
	s_or_b32 exec_lo, exec_lo, s7
	s_and_saveexec_b32 s6, s3
	s_cbranch_execnz .LBB63_64
.LBB63_48:                              ;   in Loop: Header=BB63_3 Depth=1
	s_wait_alu 0xfffe
	s_or_b32 exec_lo, exec_lo, s6
	s_and_saveexec_b32 s5, s2
	s_cbranch_execnz .LBB63_65
.LBB63_49:                              ;   in Loop: Header=BB63_3 Depth=1
	s_wait_alu 0xfffe
	s_or_b32 exec_lo, exec_lo, s5
	s_and_saveexec_b32 s4, vcc_lo
	s_cbranch_execz .LBB63_2
	s_branch .LBB63_66
.LBB63_50:                              ;   in Loop: Header=BB63_3 Depth=1
	v_ashrrev_i32_e32 v19, 31, v18
	s_delay_alu instid0(VALU_DEP_1) | instskip(NEXT) | instid1(VALU_DEP_1)
	v_lshlrev_b64_e32 v[51:52], 2, v[18:19]
	v_add_co_u32 v51, s17, s34, v51
	s_wait_alu 0xf1ff
	s_delay_alu instid0(VALU_DEP_2)
	v_add_co_ci_u32_e64 v52, null, s35, v52, s17
	s_wait_loadcnt 0x0
	global_load_b32 v17, v[51:52], off
	s_wait_alu 0xfffe
	s_or_b32 exec_lo, exec_lo, s18
	s_and_saveexec_b32 s54, s16
	s_cbranch_execz .LBB63_35
.LBB63_51:                              ;   in Loop: Header=BB63_3 Depth=1
	s_wait_loadcnt 0x0
	v_cmp_u_f32_e64 s18, v2, v2
	s_wait_kmcnt 0x0
	v_cmp_eq_f32_e64 s16, s49, v2
	v_cmp_gt_i32_e64 s17, s26, v1
	s_wait_alu 0xf1ff
	v_add_co_ci_u32_e64 v48, null, 0, v48, s18
	v_cmp_gt_f32_e64 s18, s49, v2
	s_and_b32 s16, s17, s16
	s_wait_alu 0xfffe
	v_add_co_ci_u32_e64 v50, null, 0, v50, s16
	v_add_co_ci_u32_e64 v49, null, 0, v49, s18
	s_or_b32 exec_lo, exec_lo, s54
	s_and_saveexec_b32 s18, s15
	s_cbranch_execz .LBB63_36
.LBB63_52:                              ;   in Loop: Header=BB63_3 Depth=1
	s_wait_loadcnt 0x0
	v_cmp_u_f32_e64 s17, v3, v3
	s_wait_kmcnt 0x0
	v_cmp_eq_f32_e64 s15, s49, v3
	v_cmp_gt_i32_e64 s16, s26, v46
	s_wait_alu 0xf1ff
	v_add_co_ci_u32_e64 v48, null, 0, v48, s17
	v_cmp_gt_f32_e64 s17, s49, v3
	s_and_b32 s15, s16, s15
	s_wait_alu 0xfffe
	v_add_co_ci_u32_e64 v50, null, 0, v50, s15
	v_add_co_ci_u32_e64 v49, null, 0, v49, s17
	s_or_b32 exec_lo, exec_lo, s18
	s_and_saveexec_b32 s17, s14
	s_cbranch_execz .LBB63_37
.LBB63_53:                              ;   in Loop: Header=BB63_3 Depth=1
	s_wait_loadcnt 0x0
	v_cmp_u_f32_e64 s16, v4, v4
	s_wait_kmcnt 0x0
	v_cmp_eq_f32_e64 s14, s49, v4
	v_cmp_gt_i32_e64 s15, s26, v44
	s_wait_alu 0xf1ff
	v_add_co_ci_u32_e64 v48, null, 0, v48, s16
	v_cmp_gt_f32_e64 s16, s49, v4
	s_and_b32 s14, s15, s14
	s_wait_alu 0xfffe
	v_add_co_ci_u32_e64 v50, null, 0, v50, s14
	v_add_co_ci_u32_e64 v49, null, 0, v49, s16
	s_or_b32 exec_lo, exec_lo, s17
	s_and_saveexec_b32 s16, s13
	s_cbranch_execz .LBB63_38
.LBB63_54:                              ;   in Loop: Header=BB63_3 Depth=1
	s_wait_loadcnt 0x0
	v_cmp_u_f32_e64 s15, v5, v5
	s_wait_kmcnt 0x0
	v_cmp_eq_f32_e64 s13, s49, v5
	v_cmp_gt_i32_e64 s14, s26, v42
	s_wait_alu 0xf1ff
	v_add_co_ci_u32_e64 v48, null, 0, v48, s15
	v_cmp_gt_f32_e64 s15, s49, v5
	s_and_b32 s13, s14, s13
	s_wait_alu 0xfffe
	v_add_co_ci_u32_e64 v50, null, 0, v50, s13
	v_add_co_ci_u32_e64 v49, null, 0, v49, s15
	s_or_b32 exec_lo, exec_lo, s16
	s_and_saveexec_b32 s15, s12
	s_cbranch_execz .LBB63_39
.LBB63_55:                              ;   in Loop: Header=BB63_3 Depth=1
	s_wait_loadcnt 0x0
	v_cmp_u_f32_e64 s14, v6, v6
	s_wait_kmcnt 0x0
	v_cmp_eq_f32_e64 s12, s49, v6
	v_cmp_gt_i32_e64 s13, s26, v40
	s_wait_alu 0xf1ff
	v_add_co_ci_u32_e64 v48, null, 0, v48, s14
	v_cmp_gt_f32_e64 s14, s49, v6
	s_and_b32 s12, s13, s12
	s_wait_alu 0xfffe
	v_add_co_ci_u32_e64 v50, null, 0, v50, s12
	v_add_co_ci_u32_e64 v49, null, 0, v49, s14
	s_or_b32 exec_lo, exec_lo, s15
	s_and_saveexec_b32 s14, s11
	s_cbranch_execz .LBB63_40
.LBB63_56:                              ;   in Loop: Header=BB63_3 Depth=1
	s_wait_loadcnt 0x0
	v_cmp_u_f32_e64 s13, v7, v7
	s_wait_kmcnt 0x0
	v_cmp_eq_f32_e64 s11, s49, v7
	v_cmp_gt_i32_e64 s12, s26, v38
	s_wait_alu 0xf1ff
	v_add_co_ci_u32_e64 v48, null, 0, v48, s13
	v_cmp_gt_f32_e64 s13, s49, v7
	s_and_b32 s11, s12, s11
	s_wait_alu 0xfffe
	v_add_co_ci_u32_e64 v50, null, 0, v50, s11
	v_add_co_ci_u32_e64 v49, null, 0, v49, s13
	s_or_b32 exec_lo, exec_lo, s14
	s_and_saveexec_b32 s13, s10
	s_cbranch_execz .LBB63_41
.LBB63_57:                              ;   in Loop: Header=BB63_3 Depth=1
	s_wait_loadcnt 0x0
	v_cmp_u_f32_e64 s12, v8, v8
	s_wait_kmcnt 0x0
	v_cmp_eq_f32_e64 s10, s49, v8
	v_cmp_gt_i32_e64 s11, s26, v36
	s_wait_alu 0xf1ff
	v_add_co_ci_u32_e64 v48, null, 0, v48, s12
	v_cmp_gt_f32_e64 s12, s49, v8
	s_and_b32 s10, s11, s10
	s_wait_alu 0xfffe
	v_add_co_ci_u32_e64 v50, null, 0, v50, s10
	v_add_co_ci_u32_e64 v49, null, 0, v49, s12
	s_or_b32 exec_lo, exec_lo, s13
	s_and_saveexec_b32 s12, s9
	s_cbranch_execz .LBB63_42
.LBB63_58:                              ;   in Loop: Header=BB63_3 Depth=1
	s_wait_loadcnt 0x0
	v_cmp_u_f32_e64 s11, v9, v9
	s_wait_kmcnt 0x0
	v_cmp_eq_f32_e64 s9, s49, v9
	v_cmp_gt_i32_e64 s10, s26, v34
	s_wait_alu 0xf1ff
	v_add_co_ci_u32_e64 v48, null, 0, v48, s11
	v_cmp_gt_f32_e64 s11, s49, v9
	s_and_b32 s9, s10, s9
	s_wait_alu 0xfffe
	v_add_co_ci_u32_e64 v50, null, 0, v50, s9
	v_add_co_ci_u32_e64 v49, null, 0, v49, s11
	s_or_b32 exec_lo, exec_lo, s12
	s_and_saveexec_b32 s11, s8
	s_cbranch_execz .LBB63_43
.LBB63_59:                              ;   in Loop: Header=BB63_3 Depth=1
	s_wait_loadcnt 0x0
	v_cmp_u_f32_e64 s10, v10, v10
	s_wait_kmcnt 0x0
	v_cmp_eq_f32_e64 s8, s49, v10
	v_cmp_gt_i32_e64 s9, s26, v32
	s_wait_alu 0xf1ff
	v_add_co_ci_u32_e64 v48, null, 0, v48, s10
	v_cmp_gt_f32_e64 s10, s49, v10
	s_and_b32 s8, s9, s8
	s_wait_alu 0xfffe
	v_add_co_ci_u32_e64 v50, null, 0, v50, s8
	v_add_co_ci_u32_e64 v49, null, 0, v49, s10
	s_or_b32 exec_lo, exec_lo, s11
	s_and_saveexec_b32 s10, s7
	s_cbranch_execz .LBB63_44
.LBB63_60:                              ;   in Loop: Header=BB63_3 Depth=1
	s_wait_loadcnt 0x0
	v_cmp_u_f32_e64 s9, v11, v11
	s_wait_kmcnt 0x0
	v_cmp_eq_f32_e64 s7, s49, v11
	v_cmp_gt_i32_e64 s8, s26, v30
	s_wait_alu 0xf1ff
	v_add_co_ci_u32_e64 v48, null, 0, v48, s9
	v_cmp_gt_f32_e64 s9, s49, v11
	s_and_b32 s7, s8, s7
	s_wait_alu 0xfffe
	v_add_co_ci_u32_e64 v50, null, 0, v50, s7
	v_add_co_ci_u32_e64 v49, null, 0, v49, s9
	s_or_b32 exec_lo, exec_lo, s10
	s_and_saveexec_b32 s9, s6
	s_cbranch_execz .LBB63_45
.LBB63_61:                              ;   in Loop: Header=BB63_3 Depth=1
	s_wait_loadcnt 0x0
	v_cmp_u_f32_e64 s8, v12, v12
	s_wait_kmcnt 0x0
	v_cmp_eq_f32_e64 s6, s49, v12
	v_cmp_gt_i32_e64 s7, s26, v28
	s_wait_alu 0xf1ff
	v_add_co_ci_u32_e64 v48, null, 0, v48, s8
	v_cmp_gt_f32_e64 s8, s49, v12
	s_and_b32 s6, s7, s6
	s_wait_alu 0xfffe
	v_add_co_ci_u32_e64 v50, null, 0, v50, s6
	v_add_co_ci_u32_e64 v49, null, 0, v49, s8
	s_or_b32 exec_lo, exec_lo, s9
	s_and_saveexec_b32 s8, s5
	s_cbranch_execz .LBB63_46
.LBB63_62:                              ;   in Loop: Header=BB63_3 Depth=1
	s_wait_loadcnt 0x0
	v_cmp_u_f32_e64 s7, v13, v13
	s_wait_kmcnt 0x0
	v_cmp_eq_f32_e64 s5, s49, v13
	v_cmp_gt_i32_e64 s6, s26, v26
	s_wait_alu 0xf1ff
	v_add_co_ci_u32_e64 v48, null, 0, v48, s7
	v_cmp_gt_f32_e64 s7, s49, v13
	s_and_b32 s5, s6, s5
	s_wait_alu 0xfffe
	v_add_co_ci_u32_e64 v50, null, 0, v50, s5
	v_add_co_ci_u32_e64 v49, null, 0, v49, s7
	s_or_b32 exec_lo, exec_lo, s8
	s_and_saveexec_b32 s7, s4
	s_cbranch_execz .LBB63_47
.LBB63_63:                              ;   in Loop: Header=BB63_3 Depth=1
	s_wait_loadcnt 0x0
	v_cmp_u_f32_e64 s6, v14, v14
	s_wait_kmcnt 0x0
	v_cmp_eq_f32_e64 s4, s49, v14
	v_cmp_gt_i32_e64 s5, s26, v24
	s_wait_alu 0xf1ff
	v_add_co_ci_u32_e64 v48, null, 0, v48, s6
	v_cmp_gt_f32_e64 s6, s49, v14
	s_and_b32 s4, s5, s4
	s_wait_alu 0xfffe
	v_add_co_ci_u32_e64 v50, null, 0, v50, s4
	v_add_co_ci_u32_e64 v49, null, 0, v49, s6
	s_or_b32 exec_lo, exec_lo, s7
	s_and_saveexec_b32 s6, s3
	s_cbranch_execz .LBB63_48
.LBB63_64:                              ;   in Loop: Header=BB63_3 Depth=1
	s_wait_loadcnt 0x0
	v_cmp_u_f32_e64 s5, v15, v15
	s_wait_kmcnt 0x0
	v_cmp_eq_f32_e64 s3, s49, v15
	v_cmp_gt_i32_e64 s4, s26, v22
	s_wait_alu 0xf1ff
	v_add_co_ci_u32_e64 v48, null, 0, v48, s5
	v_cmp_gt_f32_e64 s5, s49, v15
	s_and_b32 s3, s4, s3
	s_wait_alu 0xfffe
	v_add_co_ci_u32_e64 v50, null, 0, v50, s3
	v_add_co_ci_u32_e64 v49, null, 0, v49, s5
	s_or_b32 exec_lo, exec_lo, s6
	s_and_saveexec_b32 s5, s2
	s_cbranch_execz .LBB63_49
.LBB63_65:                              ;   in Loop: Header=BB63_3 Depth=1
	s_wait_loadcnt 0x0
	v_cmp_u_f32_e64 s4, v16, v16
	s_wait_kmcnt 0x0
	v_cmp_eq_f32_e64 s2, s49, v16
	v_cmp_gt_i32_e64 s3, s26, v20
	s_wait_alu 0xf1ff
	v_add_co_ci_u32_e64 v48, null, 0, v48, s4
	v_cmp_gt_f32_e64 s4, s49, v16
	s_and_b32 s2, s3, s2
	s_wait_alu 0xfffe
	v_add_co_ci_u32_e64 v50, null, 0, v50, s2
	v_add_co_ci_u32_e64 v49, null, 0, v49, s4
	s_or_b32 exec_lo, exec_lo, s5
	s_and_saveexec_b32 s4, vcc_lo
	s_cbranch_execz .LBB63_2
.LBB63_66:                              ;   in Loop: Header=BB63_3 Depth=1
	s_wait_loadcnt 0x0
	v_cmp_u_f32_e64 s3, v17, v17
	s_wait_kmcnt 0x0
	v_cmp_eq_f32_e32 vcc_lo, s49, v17
	v_cmp_gt_i32_e64 s2, s26, v18
	s_wait_alu 0xf1ff
	v_add_co_ci_u32_e64 v48, null, 0, v48, s3
	v_cmp_gt_f32_e64 s3, s49, v17
	s_and_b32 vcc_lo, s2, vcc_lo
	s_wait_alu 0xfffe
	v_add_co_ci_u32_e64 v50, null, 0, v50, vcc_lo
	v_add_co_ci_u32_e64 v49, null, 0, v49, s3
	s_branch .LBB63_2
.LBB63_67:
	v_mov_b32_e32 v1, 0
                                        ; implicit-def: $vgpr2
                                        ; implicit-def: $vgpr4
                                        ; implicit-def: $vgpr6
                                        ; implicit-def: $vgpr8
                                        ; implicit-def: $vgpr10
                                        ; implicit-def: $vgpr12
                                        ; implicit-def: $vgpr14
                                        ; implicit-def: $vgpr16
	v_lshlrev_b32_e32 v18, 2, v0
	s_cmp_lt_u32 s33, 2
	ds_store_b32 v18, v1
	s_cbranch_scc0 .LBB63_69
	s_branch .LBB63_73
.LBB63_68:
	v_add_nc_u32_e32 v1, v49, v50
	v_cmp_eq_u32_e64 s2, 0, v48
	v_lshlrev_b32_e32 v18, 2, v0
	s_cmp_lt_u32 s33, 2
	ds_store_b32 v18, v1
	s_cbranch_scc1 .LBB63_73
.LBB63_69:
	s_mov_b32 s3, s33
	s_branch .LBB63_71
.LBB63_70:                              ;   in Loop: Header=BB63_71 Depth=1
	s_or_b32 exec_lo, exec_lo, s5
	s_cmp_lt_u32 s3, 4
	s_mov_b32 s3, s4
	s_cbranch_scc1 .LBB63_73
.LBB63_71:                              ; =>This Inner Loop Header: Depth=1
	s_wait_alu 0xfffe
	s_lshr_b32 s4, s3, 1
	s_mov_b32 s5, exec_lo
	s_wait_loadcnt_dscnt 0x0
	s_barrier_signal -1
	s_barrier_wait -1
	global_inv scope:SCOPE_SE
	s_wait_alu 0xfffe
	v_cmpx_gt_u32_e64 s4, v0
	s_cbranch_execz .LBB63_70
; %bb.72:                               ;   in Loop: Header=BB63_71 Depth=1
	v_lshl_add_u32 v19, s4, 2, v18
	ds_load_b32 v19, v19
	s_wait_dscnt 0x0
	v_add_nc_u32_e32 v1, v19, v1
	ds_store_b32 v18, v1
	s_branch .LBB63_70
.LBB63_73:
	v_mov_b32_e32 v1, 0
	s_wait_loadcnt_dscnt 0x0
	s_barrier_signal -1
	s_barrier_wait -1
	global_inv scope:SCOPE_SE
	ds_load_b32 v18, v1
	s_mul_u64 s[4:5], s[22:23], s[24:25]
	s_wait_alu 0xfffe
	s_lshl_b64 s[6:7], s[4:5], 2
	s_xor_b32 s4, s2, -1
	s_wait_alu 0xfffe
	s_add_nc_u64 s[2:3], s[20:21], s[6:7]
	s_mov_b32 s5, exec_lo
	s_wait_dscnt 0x0
	v_readfirstlane_b32 s8, v18
	v_cmpx_eq_u32_e32 0, v0
	s_cbranch_execnz .LBB63_76
; %bb.74:
	s_wait_alu 0xfffe
	s_or_b32 exec_lo, exec_lo, s5
	s_and_saveexec_b32 s5, s4
	s_cbranch_execnz .LBB63_77
.LBB63_75:
	s_wait_alu 0xfffe
	s_or_b32 exec_lo, exec_lo, s5
	s_delay_alu instid0(SALU_CYCLE_1)
	s_and_not1_b32 vcc_lo, exec_lo, s48
	s_wait_alu 0xfffe
	s_cbranch_vccz .LBB63_78
	s_branch .LBB63_144
.LBB63_76:
	s_ashr_i32 s9, s8, 31
	s_wait_kmcnt 0x0
	v_mov_b32_e32 v18, s49
	s_wait_alu 0xfffe
	s_lshl_b64 s[6:7], s[8:9], 2
	s_wait_alu 0xfffe
	s_add_nc_u64 s[6:7], s[2:3], s[6:7]
	global_store_b32 v1, v18, s[6:7]
	s_or_b32 exec_lo, exec_lo, s5
	s_and_saveexec_b32 s5, s4
	s_cbranch_execz .LBB63_75
.LBB63_77:
	v_dual_mov_b32 v1, 0 :: v_dual_mov_b32 v18, 0x7fc00000
	s_add_nc_u64 s[2:3], s[2:3], s[30:31]
	global_store_b32 v1, v18, s[2:3]
	s_wait_alu 0xfffe
	s_or_b32 exec_lo, exec_lo, s5
	s_delay_alu instid0(SALU_CYCLE_1)
	s_and_not1_b32 vcc_lo, exec_lo, s48
	s_wait_alu 0xfffe
	s_cbranch_vccnz .LBB63_144
.LBB63_78:
	s_clause 0x1
	s_load_b64 s[10:11], s[0:1], 0x30
	s_load_b256 s[0:7], s[0:1], 0x38
	s_add_co_i32 s20, s19, 1
	s_lshl_b32 s21, s33, 1
	s_lshl_b32 s22, s33, 2
	;; [unrolled: 1-line block ×3, first 2 shown]
                                        ; implicit-def: $vgpr18_vgpr19
                                        ; implicit-def: $vgpr20_vgpr21
                                        ; implicit-def: $vgpr22_vgpr23
                                        ; implicit-def: $vgpr24_vgpr25
                                        ; implicit-def: $vgpr26_vgpr27
                                        ; implicit-def: $vgpr28_vgpr29
                                        ; implicit-def: $vgpr30_vgpr31
                                        ; implicit-def: $vgpr32_vgpr33
	s_wait_kmcnt 0x0
	s_ashr_i32 s13, s10, 31
	s_mul_u64 s[0:1], s[0:1], s[24:25]
	s_mul_u64 s[6:7], s[6:7], s[24:25]
	s_mov_b32 s12, s10
	s_ashr_i32 s15, s4, 31
	s_mov_b32 s14, s4
	s_mul_i32 s4, s11, s26
	s_mul_i32 s8, s8, s5
	s_lshl_b64 s[0:1], s[0:1], 3
	s_wait_alu 0xfffe
	s_lshl_b64 s[6:7], s[6:7], 3
	s_lshl_b64 s[10:11], s[12:13], 3
	;; [unrolled: 1-line block ×3, first 2 shown]
	s_ashr_i32 s5, s4, 31
	s_ashr_i32 s9, s8, 31
	s_add_nc_u64 s[0:1], s[28:29], s[0:1]
	s_wait_alu 0xfffe
	s_add_nc_u64 s[2:3], s[2:3], s[6:7]
	s_lshl_b64 s[4:5], s[4:5], 3
	s_lshl_b64 s[6:7], s[8:9], 3
	s_add_nc_u64 s[0:1], s[0:1], s[10:11]
	s_wait_alu 0xfffe
	s_add_nc_u64 s[2:3], s[2:3], s[12:13]
	s_add_nc_u64 s[16:17], s[0:1], s[4:5]
	s_wait_alu 0xfffe
	s_add_nc_u64 s[18:19], s[2:3], s[6:7]
	s_branch .LBB63_80
.LBB63_79:                              ;   in Loop: Header=BB63_80 Depth=1
	s_wait_alu 0xfffe
	s_or_b32 exec_lo, exec_lo, s0
	v_add_nc_u32_e32 v0, s36, v0
	s_add_co_i32 s20, s20, -1
	s_wait_alu 0xfffe
	s_cmp_eq_u32 s20, 0
	s_cbranch_scc1 .LBB63_144
.LBB63_80:                              ; =>This Inner Loop Header: Depth=1
	v_cmp_gt_i32_e32 vcc_lo, s37, v0
	v_ashrrev_i32_e32 v1, 31, v0
	s_and_saveexec_b32 s1, vcc_lo
	s_cbranch_execz .LBB63_82
; %bb.81:                               ;   in Loop: Header=BB63_80 Depth=1
	s_wait_loadcnt 0x0
	s_delay_alu instid0(VALU_DEP_1) | instskip(NEXT) | instid1(VALU_DEP_1)
	v_lshlrev_b64_e32 v[2:3], 3, v[0:1]
	v_add_co_u32 v2, s0, s16, v2
	s_wait_alu 0xf1ff
	s_delay_alu instid0(VALU_DEP_2)
	v_add_co_ci_u32_e64 v3, null, s17, v3, s0
	global_load_b64 v[2:3], v[2:3], off
.LBB63_82:                              ;   in Loop: Header=BB63_80 Depth=1
	s_wait_alu 0xfffe
	s_or_b32 exec_lo, exec_lo, s1
	v_add_nc_u32_e32 v34, s33, v0
	s_delay_alu instid0(VALU_DEP_1)
	v_cmp_gt_i32_e64 s0, s37, v34
	v_ashrrev_i32_e32 v35, 31, v34
	s_and_saveexec_b32 s2, s0
	s_cbranch_execz .LBB63_84
; %bb.83:                               ;   in Loop: Header=BB63_80 Depth=1
	s_wait_loadcnt 0x0
	s_delay_alu instid0(VALU_DEP_1) | instskip(NEXT) | instid1(VALU_DEP_1)
	v_lshlrev_b64_e32 v[4:5], 3, v[34:35]
	v_add_co_u32 v4, s1, s16, v4
	s_wait_alu 0xf1ff
	s_delay_alu instid0(VALU_DEP_2)
	v_add_co_ci_u32_e64 v5, null, s17, v5, s1
	global_load_b64 v[4:5], v[4:5], off
.LBB63_84:                              ;   in Loop: Header=BB63_80 Depth=1
	s_wait_alu 0xfffe
	s_or_b32 exec_lo, exec_lo, s2
	v_add_nc_u32_e32 v38, s33, v34
	v_add_nc_u32_e32 v36, s21, v0
	s_delay_alu instid0(VALU_DEP_2) | instskip(NEXT) | instid1(VALU_DEP_2)
	v_cmp_gt_i32_e64 s1, s37, v38
	v_ashrrev_i32_e32 v37, 31, v36
	s_and_saveexec_b32 s3, s1
	s_cbranch_execz .LBB63_86
; %bb.85:                               ;   in Loop: Header=BB63_80 Depth=1
	s_wait_loadcnt 0x0
	s_delay_alu instid0(VALU_DEP_1) | instskip(NEXT) | instid1(VALU_DEP_1)
	v_lshlrev_b64_e32 v[6:7], 3, v[36:37]
	v_add_co_u32 v6, s2, s16, v6
	s_wait_alu 0xf1ff
	s_delay_alu instid0(VALU_DEP_2)
	v_add_co_ci_u32_e64 v7, null, s17, v7, s2
	global_load_b64 v[6:7], v[6:7], off
.LBB63_86:                              ;   in Loop: Header=BB63_80 Depth=1
	s_wait_alu 0xfffe
	s_or_b32 exec_lo, exec_lo, s3
	v_add_nc_u32_e32 v40, s33, v38
	v_add_nc_u32_e32 v38, s27, v0
	s_delay_alu instid0(VALU_DEP_2) | instskip(NEXT) | instid1(VALU_DEP_2)
	;; [unrolled: 19-line block ×8, first 2 shown]
	v_cmp_gt_i32_e64 s8, s37, v52
	v_ashrrev_i32_e32 v51, 31, v50
	s_and_saveexec_b32 s10, s8
	s_cbranch_execz .LBB63_100
; %bb.99:                               ;   in Loop: Header=BB63_80 Depth=1
	s_wait_loadcnt 0x0
	s_delay_alu instid0(VALU_DEP_1) | instskip(NEXT) | instid1(VALU_DEP_1)
	v_lshlrev_b64_e32 v[30:31], 3, v[50:51]
	v_add_co_u32 v30, s9, s16, v30
	s_wait_alu 0xf1ff
	s_delay_alu instid0(VALU_DEP_2)
	v_add_co_ci_u32_e64 v31, null, s17, v31, s9
	global_load_b64 v[30:31], v[30:31], off
.LBB63_100:                             ;   in Loop: Header=BB63_80 Depth=1
	s_wait_alu 0xfffe
	s_or_b32 exec_lo, exec_lo, s10
	v_add_nc_u32_e32 v54, s33, v52
	v_add_nc_u32_e32 v52, s42, v0
	s_delay_alu instid0(VALU_DEP_2) | instskip(NEXT) | instid1(VALU_DEP_2)
	v_cmp_gt_i32_e64 s9, s37, v54
	v_ashrrev_i32_e32 v53, 31, v52
	s_and_saveexec_b32 s11, s9
	s_cbranch_execz .LBB63_102
; %bb.101:                              ;   in Loop: Header=BB63_80 Depth=1
	s_wait_loadcnt 0x0
	s_delay_alu instid0(VALU_DEP_1) | instskip(NEXT) | instid1(VALU_DEP_1)
	v_lshlrev_b64_e32 v[28:29], 3, v[52:53]
	v_add_co_u32 v28, s10, s16, v28
	s_wait_alu 0xf1ff
	s_delay_alu instid0(VALU_DEP_2)
	v_add_co_ci_u32_e64 v29, null, s17, v29, s10
	global_load_b64 v[28:29], v[28:29], off
.LBB63_102:                             ;   in Loop: Header=BB63_80 Depth=1
	s_wait_alu 0xfffe
	s_or_b32 exec_lo, exec_lo, s11
	v_add_nc_u32_e32 v56, s33, v54
	v_add_nc_u32_e32 v54, s43, v0
	s_delay_alu instid0(VALU_DEP_2) | instskip(NEXT) | instid1(VALU_DEP_2)
	v_cmp_gt_i32_e64 s10, s37, v56
	v_ashrrev_i32_e32 v55, 31, v54
	s_and_saveexec_b32 s12, s10
	s_cbranch_execz .LBB63_104
; %bb.103:                              ;   in Loop: Header=BB63_80 Depth=1
	s_wait_loadcnt 0x0
	s_delay_alu instid0(VALU_DEP_1) | instskip(NEXT) | instid1(VALU_DEP_1)
	v_lshlrev_b64_e32 v[26:27], 3, v[54:55]
	v_add_co_u32 v26, s11, s16, v26
	s_wait_alu 0xf1ff
	s_delay_alu instid0(VALU_DEP_2)
	v_add_co_ci_u32_e64 v27, null, s17, v27, s11
	global_load_b64 v[26:27], v[26:27], off
.LBB63_104:                             ;   in Loop: Header=BB63_80 Depth=1
	;; [unrolled: 19-line block ×5, first 2 shown]
	s_wait_alu 0xfffe
	s_or_b32 exec_lo, exec_lo, s15
	v_add_nc_u32_e32 v63, s33, v62
	v_add_nc_u32_e32 v62, s47, v0
	s_delay_alu instid0(VALU_DEP_2) | instskip(NEXT) | instid1(VALU_DEP_2)
	v_cmp_gt_i32_e64 s14, s37, v63
	v_ashrrev_i32_e32 v63, 31, v62
	s_and_saveexec_b32 s24, s14
	s_cbranch_execnz .LBB63_127
; %bb.111:                              ;   in Loop: Header=BB63_80 Depth=1
	s_or_b32 exec_lo, exec_lo, s24
	s_and_saveexec_b32 s15, vcc_lo
	s_cbranch_execnz .LBB63_128
.LBB63_112:                             ;   in Loop: Header=BB63_80 Depth=1
	s_wait_alu 0xfffe
	s_or_b32 exec_lo, exec_lo, s15
	s_and_saveexec_b32 s15, s0
	s_cbranch_execnz .LBB63_129
.LBB63_113:                             ;   in Loop: Header=BB63_80 Depth=1
	s_wait_alu 0xfffe
	s_or_b32 exec_lo, exec_lo, s15
	s_and_saveexec_b32 s0, s1
	s_cbranch_execnz .LBB63_130
.LBB63_114:                             ;   in Loop: Header=BB63_80 Depth=1
	s_wait_alu 0xfffe
	s_or_b32 exec_lo, exec_lo, s0
	s_and_saveexec_b32 s0, s2
	s_cbranch_execnz .LBB63_131
.LBB63_115:                             ;   in Loop: Header=BB63_80 Depth=1
	s_wait_alu 0xfffe
	s_or_b32 exec_lo, exec_lo, s0
	s_and_saveexec_b32 s0, s3
	s_cbranch_execnz .LBB63_132
.LBB63_116:                             ;   in Loop: Header=BB63_80 Depth=1
	s_wait_alu 0xfffe
	s_or_b32 exec_lo, exec_lo, s0
	s_and_saveexec_b32 s0, s4
	s_cbranch_execnz .LBB63_133
.LBB63_117:                             ;   in Loop: Header=BB63_80 Depth=1
	s_wait_alu 0xfffe
	s_or_b32 exec_lo, exec_lo, s0
	s_and_saveexec_b32 s0, s5
	s_cbranch_execnz .LBB63_134
.LBB63_118:                             ;   in Loop: Header=BB63_80 Depth=1
	s_wait_alu 0xfffe
	s_or_b32 exec_lo, exec_lo, s0
	s_and_saveexec_b32 s0, s6
	s_cbranch_execnz .LBB63_135
.LBB63_119:                             ;   in Loop: Header=BB63_80 Depth=1
	s_wait_alu 0xfffe
	s_or_b32 exec_lo, exec_lo, s0
	s_and_saveexec_b32 s0, s7
	s_cbranch_execnz .LBB63_136
.LBB63_120:                             ;   in Loop: Header=BB63_80 Depth=1
	s_wait_alu 0xfffe
	s_or_b32 exec_lo, exec_lo, s0
	s_and_saveexec_b32 s0, s8
	s_cbranch_execnz .LBB63_137
.LBB63_121:                             ;   in Loop: Header=BB63_80 Depth=1
	s_wait_alu 0xfffe
	s_or_b32 exec_lo, exec_lo, s0
	s_and_saveexec_b32 s0, s9
	s_cbranch_execnz .LBB63_138
.LBB63_122:                             ;   in Loop: Header=BB63_80 Depth=1
	s_wait_alu 0xfffe
	s_or_b32 exec_lo, exec_lo, s0
	s_and_saveexec_b32 s0, s10
	s_cbranch_execnz .LBB63_139
.LBB63_123:                             ;   in Loop: Header=BB63_80 Depth=1
	s_wait_alu 0xfffe
	s_or_b32 exec_lo, exec_lo, s0
	s_and_saveexec_b32 s0, s11
	s_cbranch_execnz .LBB63_140
.LBB63_124:                             ;   in Loop: Header=BB63_80 Depth=1
	s_wait_alu 0xfffe
	s_or_b32 exec_lo, exec_lo, s0
	s_and_saveexec_b32 s0, s12
	s_cbranch_execnz .LBB63_141
.LBB63_125:                             ;   in Loop: Header=BB63_80 Depth=1
	s_wait_alu 0xfffe
	s_or_b32 exec_lo, exec_lo, s0
	s_and_saveexec_b32 s0, s13
	s_cbranch_execnz .LBB63_142
.LBB63_126:                             ;   in Loop: Header=BB63_80 Depth=1
	s_wait_alu 0xfffe
	s_or_b32 exec_lo, exec_lo, s0
	s_and_saveexec_b32 s0, s14
	s_cbranch_execz .LBB63_79
	s_branch .LBB63_143
.LBB63_127:                             ;   in Loop: Header=BB63_80 Depth=1
	s_wait_loadcnt 0x0
	s_delay_alu instid0(VALU_DEP_1) | instskip(NEXT) | instid1(VALU_DEP_1)
	v_lshlrev_b64_e32 v[18:19], 3, v[62:63]
	v_add_co_u32 v18, s15, s16, v18
	s_wait_alu 0xf1ff
	s_delay_alu instid0(VALU_DEP_2)
	v_add_co_ci_u32_e64 v19, null, s17, v19, s15
	global_load_b64 v[18:19], v[18:19], off
	s_or_b32 exec_lo, exec_lo, s24
	s_and_saveexec_b32 s15, vcc_lo
	s_cbranch_execz .LBB63_112
.LBB63_128:                             ;   in Loop: Header=BB63_80 Depth=1
	v_lshlrev_b64_e32 v[64:65], 3, v[0:1]
	s_delay_alu instid0(VALU_DEP_1) | instskip(SKIP_1) | instid1(VALU_DEP_2)
	v_add_co_u32 v64, vcc_lo, s18, v64
	s_wait_alu 0xfffd
	v_add_co_ci_u32_e64 v65, null, s19, v65, vcc_lo
	s_wait_loadcnt 0x0
	global_store_b64 v[64:65], v[2:3], off
	s_wait_alu 0xfffe
	s_or_b32 exec_lo, exec_lo, s15
	s_and_saveexec_b32 s15, s0
	s_cbranch_execz .LBB63_113
.LBB63_129:                             ;   in Loop: Header=BB63_80 Depth=1
	v_lshlrev_b64_e32 v[34:35], 3, v[34:35]
	s_delay_alu instid0(VALU_DEP_1) | instskip(SKIP_1) | instid1(VALU_DEP_2)
	v_add_co_u32 v34, vcc_lo, s18, v34
	s_wait_alu 0xfffd
	v_add_co_ci_u32_e64 v35, null, s19, v35, vcc_lo
	s_wait_loadcnt 0x0
	global_store_b64 v[34:35], v[4:5], off
	s_wait_alu 0xfffe
	s_or_b32 exec_lo, exec_lo, s15
	s_and_saveexec_b32 s0, s1
	s_cbranch_execz .LBB63_114
.LBB63_130:                             ;   in Loop: Header=BB63_80 Depth=1
	v_lshlrev_b64_e32 v[34:35], 3, v[36:37]
	s_delay_alu instid0(VALU_DEP_1) | instskip(SKIP_1) | instid1(VALU_DEP_2)
	v_add_co_u32 v34, vcc_lo, s18, v34
	s_wait_alu 0xfffd
	v_add_co_ci_u32_e64 v35, null, s19, v35, vcc_lo
	s_wait_loadcnt 0x0
	global_store_b64 v[34:35], v[6:7], off
	s_wait_alu 0xfffe
	s_or_b32 exec_lo, exec_lo, s0
	s_and_saveexec_b32 s0, s2
	s_cbranch_execz .LBB63_115
.LBB63_131:                             ;   in Loop: Header=BB63_80 Depth=1
	v_lshlrev_b64_e32 v[34:35], 3, v[38:39]
	s_delay_alu instid0(VALU_DEP_1) | instskip(SKIP_1) | instid1(VALU_DEP_2)
	v_add_co_u32 v34, vcc_lo, s18, v34
	s_wait_alu 0xfffd
	v_add_co_ci_u32_e64 v35, null, s19, v35, vcc_lo
	s_wait_loadcnt 0x0
	global_store_b64 v[34:35], v[8:9], off
	s_wait_alu 0xfffe
	s_or_b32 exec_lo, exec_lo, s0
	s_and_saveexec_b32 s0, s3
	s_cbranch_execz .LBB63_116
.LBB63_132:                             ;   in Loop: Header=BB63_80 Depth=1
	v_lshlrev_b64_e32 v[34:35], 3, v[40:41]
	s_delay_alu instid0(VALU_DEP_1) | instskip(SKIP_1) | instid1(VALU_DEP_2)
	v_add_co_u32 v34, vcc_lo, s18, v34
	s_wait_alu 0xfffd
	v_add_co_ci_u32_e64 v35, null, s19, v35, vcc_lo
	s_wait_loadcnt 0x0
	global_store_b64 v[34:35], v[10:11], off
	s_wait_alu 0xfffe
	s_or_b32 exec_lo, exec_lo, s0
	s_and_saveexec_b32 s0, s4
	s_cbranch_execz .LBB63_117
.LBB63_133:                             ;   in Loop: Header=BB63_80 Depth=1
	v_lshlrev_b64_e32 v[34:35], 3, v[42:43]
	s_delay_alu instid0(VALU_DEP_1) | instskip(SKIP_1) | instid1(VALU_DEP_2)
	v_add_co_u32 v34, vcc_lo, s18, v34
	s_wait_alu 0xfffd
	v_add_co_ci_u32_e64 v35, null, s19, v35, vcc_lo
	s_wait_loadcnt 0x0
	global_store_b64 v[34:35], v[12:13], off
	s_wait_alu 0xfffe
	s_or_b32 exec_lo, exec_lo, s0
	s_and_saveexec_b32 s0, s5
	s_cbranch_execz .LBB63_118
.LBB63_134:                             ;   in Loop: Header=BB63_80 Depth=1
	v_lshlrev_b64_e32 v[34:35], 3, v[44:45]
	s_delay_alu instid0(VALU_DEP_1) | instskip(SKIP_1) | instid1(VALU_DEP_2)
	v_add_co_u32 v34, vcc_lo, s18, v34
	s_wait_alu 0xfffd
	v_add_co_ci_u32_e64 v35, null, s19, v35, vcc_lo
	s_wait_loadcnt 0x0
	global_store_b64 v[34:35], v[14:15], off
	s_wait_alu 0xfffe
	s_or_b32 exec_lo, exec_lo, s0
	s_and_saveexec_b32 s0, s6
	s_cbranch_execz .LBB63_119
.LBB63_135:                             ;   in Loop: Header=BB63_80 Depth=1
	v_lshlrev_b64_e32 v[34:35], 3, v[46:47]
	s_delay_alu instid0(VALU_DEP_1) | instskip(SKIP_1) | instid1(VALU_DEP_2)
	v_add_co_u32 v34, vcc_lo, s18, v34
	s_wait_alu 0xfffd
	v_add_co_ci_u32_e64 v35, null, s19, v35, vcc_lo
	s_wait_loadcnt 0x0
	global_store_b64 v[34:35], v[16:17], off
	s_wait_alu 0xfffe
	s_or_b32 exec_lo, exec_lo, s0
	s_and_saveexec_b32 s0, s7
	s_cbranch_execz .LBB63_120
.LBB63_136:                             ;   in Loop: Header=BB63_80 Depth=1
	v_lshlrev_b64_e32 v[34:35], 3, v[48:49]
	s_delay_alu instid0(VALU_DEP_1) | instskip(SKIP_1) | instid1(VALU_DEP_2)
	v_add_co_u32 v34, vcc_lo, s18, v34
	s_wait_alu 0xfffd
	v_add_co_ci_u32_e64 v35, null, s19, v35, vcc_lo
	s_wait_loadcnt 0x0
	global_store_b64 v[34:35], v[32:33], off
	s_wait_alu 0xfffe
	s_or_b32 exec_lo, exec_lo, s0
	s_and_saveexec_b32 s0, s8
	s_cbranch_execz .LBB63_121
.LBB63_137:                             ;   in Loop: Header=BB63_80 Depth=1
	v_lshlrev_b64_e32 v[34:35], 3, v[50:51]
	s_delay_alu instid0(VALU_DEP_1) | instskip(SKIP_1) | instid1(VALU_DEP_2)
	v_add_co_u32 v34, vcc_lo, s18, v34
	s_wait_alu 0xfffd
	v_add_co_ci_u32_e64 v35, null, s19, v35, vcc_lo
	s_wait_loadcnt 0x0
	global_store_b64 v[34:35], v[30:31], off
	s_wait_alu 0xfffe
	s_or_b32 exec_lo, exec_lo, s0
	s_and_saveexec_b32 s0, s9
	s_cbranch_execz .LBB63_122
.LBB63_138:                             ;   in Loop: Header=BB63_80 Depth=1
	v_lshlrev_b64_e32 v[34:35], 3, v[52:53]
	s_delay_alu instid0(VALU_DEP_1) | instskip(SKIP_1) | instid1(VALU_DEP_2)
	v_add_co_u32 v34, vcc_lo, s18, v34
	s_wait_alu 0xfffd
	v_add_co_ci_u32_e64 v35, null, s19, v35, vcc_lo
	s_wait_loadcnt 0x0
	global_store_b64 v[34:35], v[28:29], off
	s_wait_alu 0xfffe
	s_or_b32 exec_lo, exec_lo, s0
	s_and_saveexec_b32 s0, s10
	s_cbranch_execz .LBB63_123
.LBB63_139:                             ;   in Loop: Header=BB63_80 Depth=1
	v_lshlrev_b64_e32 v[34:35], 3, v[54:55]
	s_delay_alu instid0(VALU_DEP_1) | instskip(SKIP_1) | instid1(VALU_DEP_2)
	v_add_co_u32 v34, vcc_lo, s18, v34
	s_wait_alu 0xfffd
	v_add_co_ci_u32_e64 v35, null, s19, v35, vcc_lo
	s_wait_loadcnt 0x0
	global_store_b64 v[34:35], v[26:27], off
	s_wait_alu 0xfffe
	s_or_b32 exec_lo, exec_lo, s0
	s_and_saveexec_b32 s0, s11
	s_cbranch_execz .LBB63_124
.LBB63_140:                             ;   in Loop: Header=BB63_80 Depth=1
	v_lshlrev_b64_e32 v[34:35], 3, v[56:57]
	s_delay_alu instid0(VALU_DEP_1) | instskip(SKIP_1) | instid1(VALU_DEP_2)
	v_add_co_u32 v34, vcc_lo, s18, v34
	s_wait_alu 0xfffd
	v_add_co_ci_u32_e64 v35, null, s19, v35, vcc_lo
	s_wait_loadcnt 0x0
	global_store_b64 v[34:35], v[24:25], off
	s_wait_alu 0xfffe
	s_or_b32 exec_lo, exec_lo, s0
	s_and_saveexec_b32 s0, s12
	s_cbranch_execz .LBB63_125
.LBB63_141:                             ;   in Loop: Header=BB63_80 Depth=1
	v_lshlrev_b64_e32 v[34:35], 3, v[58:59]
	s_delay_alu instid0(VALU_DEP_1) | instskip(SKIP_1) | instid1(VALU_DEP_2)
	v_add_co_u32 v34, vcc_lo, s18, v34
	s_wait_alu 0xfffd
	v_add_co_ci_u32_e64 v35, null, s19, v35, vcc_lo
	s_wait_loadcnt 0x0
	global_store_b64 v[34:35], v[22:23], off
	s_wait_alu 0xfffe
	s_or_b32 exec_lo, exec_lo, s0
	s_and_saveexec_b32 s0, s13
	s_cbranch_execz .LBB63_126
.LBB63_142:                             ;   in Loop: Header=BB63_80 Depth=1
	v_lshlrev_b64_e32 v[34:35], 3, v[60:61]
	s_delay_alu instid0(VALU_DEP_1) | instskip(SKIP_1) | instid1(VALU_DEP_2)
	v_add_co_u32 v34, vcc_lo, s18, v34
	s_wait_alu 0xfffd
	v_add_co_ci_u32_e64 v35, null, s19, v35, vcc_lo
	s_wait_loadcnt 0x0
	global_store_b64 v[34:35], v[20:21], off
	s_wait_alu 0xfffe
	s_or_b32 exec_lo, exec_lo, s0
	s_and_saveexec_b32 s0, s14
	s_cbranch_execz .LBB63_79
.LBB63_143:                             ;   in Loop: Header=BB63_80 Depth=1
	v_lshlrev_b64_e32 v[34:35], 3, v[62:63]
	s_delay_alu instid0(VALU_DEP_1) | instskip(SKIP_1) | instid1(VALU_DEP_2)
	v_add_co_u32 v34, vcc_lo, s18, v34
	s_wait_alu 0xfffd
	v_add_co_ci_u32_e64 v35, null, s19, v35, vcc_lo
	s_wait_loadcnt 0x0
	global_store_b64 v[34:35], v[18:19], off
	s_branch .LBB63_79
.LBB63_144:
	s_endpgm
	.section	.rodata,"a",@progbits
	.p2align	6, 0x0
	.amdhsa_kernel _ZN9rocsolver6v33100L10stedc_sortI19rocblas_complex_numIfEfPS3_S4_EEviPT0_lS6_lT1_iilT2_iil
		.amdhsa_group_segment_fixed_size 2048
		.amdhsa_private_segment_fixed_size 0
		.amdhsa_kernarg_size 344
		.amdhsa_user_sgpr_count 2
		.amdhsa_user_sgpr_dispatch_ptr 0
		.amdhsa_user_sgpr_queue_ptr 0
		.amdhsa_user_sgpr_kernarg_segment_ptr 1
		.amdhsa_user_sgpr_dispatch_id 0
		.amdhsa_user_sgpr_private_segment_size 0
		.amdhsa_wavefront_size32 1
		.amdhsa_uses_dynamic_stack 0
		.amdhsa_enable_private_segment 0
		.amdhsa_system_sgpr_workgroup_id_x 1
		.amdhsa_system_sgpr_workgroup_id_y 1
		.amdhsa_system_sgpr_workgroup_id_z 0
		.amdhsa_system_sgpr_workgroup_info 0
		.amdhsa_system_vgpr_workitem_id 0
		.amdhsa_next_free_vgpr 66
		.amdhsa_next_free_sgpr 55
		.amdhsa_reserve_vcc 1
		.amdhsa_float_round_mode_32 0
		.amdhsa_float_round_mode_16_64 0
		.amdhsa_float_denorm_mode_32 3
		.amdhsa_float_denorm_mode_16_64 3
		.amdhsa_fp16_overflow 0
		.amdhsa_workgroup_processor_mode 1
		.amdhsa_memory_ordered 1
		.amdhsa_forward_progress 1
		.amdhsa_inst_pref_size 52
		.amdhsa_round_robin_scheduling 0
		.amdhsa_exception_fp_ieee_invalid_op 0
		.amdhsa_exception_fp_denorm_src 0
		.amdhsa_exception_fp_ieee_div_zero 0
		.amdhsa_exception_fp_ieee_overflow 0
		.amdhsa_exception_fp_ieee_underflow 0
		.amdhsa_exception_fp_ieee_inexact 0
		.amdhsa_exception_int_div_zero 0
	.end_amdhsa_kernel
	.section	.text._ZN9rocsolver6v33100L10stedc_sortI19rocblas_complex_numIfEfPS3_S4_EEviPT0_lS6_lT1_iilT2_iil,"axG",@progbits,_ZN9rocsolver6v33100L10stedc_sortI19rocblas_complex_numIfEfPS3_S4_EEviPT0_lS6_lT1_iilT2_iil,comdat
.Lfunc_end63:
	.size	_ZN9rocsolver6v33100L10stedc_sortI19rocblas_complex_numIfEfPS3_S4_EEviPT0_lS6_lT1_iilT2_iil, .Lfunc_end63-_ZN9rocsolver6v33100L10stedc_sortI19rocblas_complex_numIfEfPS3_S4_EEviPT0_lS6_lT1_iilT2_iil
                                        ; -- End function
	.set _ZN9rocsolver6v33100L10stedc_sortI19rocblas_complex_numIfEfPS3_S4_EEviPT0_lS6_lT1_iilT2_iil.num_vgpr, 66
	.set _ZN9rocsolver6v33100L10stedc_sortI19rocblas_complex_numIfEfPS3_S4_EEviPT0_lS6_lT1_iilT2_iil.num_agpr, 0
	.set _ZN9rocsolver6v33100L10stedc_sortI19rocblas_complex_numIfEfPS3_S4_EEviPT0_lS6_lT1_iilT2_iil.numbered_sgpr, 55
	.set _ZN9rocsolver6v33100L10stedc_sortI19rocblas_complex_numIfEfPS3_S4_EEviPT0_lS6_lT1_iilT2_iil.num_named_barrier, 0
	.set _ZN9rocsolver6v33100L10stedc_sortI19rocblas_complex_numIfEfPS3_S4_EEviPT0_lS6_lT1_iilT2_iil.private_seg_size, 0
	.set _ZN9rocsolver6v33100L10stedc_sortI19rocblas_complex_numIfEfPS3_S4_EEviPT0_lS6_lT1_iilT2_iil.uses_vcc, 1
	.set _ZN9rocsolver6v33100L10stedc_sortI19rocblas_complex_numIfEfPS3_S4_EEviPT0_lS6_lT1_iilT2_iil.uses_flat_scratch, 0
	.set _ZN9rocsolver6v33100L10stedc_sortI19rocblas_complex_numIfEfPS3_S4_EEviPT0_lS6_lT1_iilT2_iil.has_dyn_sized_stack, 0
	.set _ZN9rocsolver6v33100L10stedc_sortI19rocblas_complex_numIfEfPS3_S4_EEviPT0_lS6_lT1_iilT2_iil.has_recursion, 0
	.set _ZN9rocsolver6v33100L10stedc_sortI19rocblas_complex_numIfEfPS3_S4_EEviPT0_lS6_lT1_iilT2_iil.has_indirect_call, 0
	.section	.AMDGPU.csdata,"",@progbits
; Kernel info:
; codeLenInByte = 6544
; TotalNumSgprs: 57
; NumVgprs: 66
; ScratchSize: 0
; MemoryBound: 0
; FloatMode: 240
; IeeeMode: 1
; LDSByteSize: 2048 bytes/workgroup (compile time only)
; SGPRBlocks: 0
; VGPRBlocks: 8
; NumSGPRsForWavesPerEU: 57
; NumVGPRsForWavesPerEU: 66
; Occupancy: 16
; WaveLimiterHint : 0
; COMPUTE_PGM_RSRC2:SCRATCH_EN: 0
; COMPUTE_PGM_RSRC2:USER_SGPR: 2
; COMPUTE_PGM_RSRC2:TRAP_HANDLER: 0
; COMPUTE_PGM_RSRC2:TGID_X_EN: 1
; COMPUTE_PGM_RSRC2:TGID_Y_EN: 1
; COMPUTE_PGM_RSRC2:TGID_Z_EN: 0
; COMPUTE_PGM_RSRC2:TIDIG_COMP_CNT: 0
	.section	.text._ZN9rocsolver6v33100L16reset_batch_infoI19rocblas_complex_numIdEiiPS3_EEvT2_lT0_T1_,"axG",@progbits,_ZN9rocsolver6v33100L16reset_batch_infoI19rocblas_complex_numIdEiiPS3_EEvT2_lT0_T1_,comdat
	.globl	_ZN9rocsolver6v33100L16reset_batch_infoI19rocblas_complex_numIdEiiPS3_EEvT2_lT0_T1_ ; -- Begin function _ZN9rocsolver6v33100L16reset_batch_infoI19rocblas_complex_numIdEiiPS3_EEvT2_lT0_T1_
	.p2align	8
	.type	_ZN9rocsolver6v33100L16reset_batch_infoI19rocblas_complex_numIdEiiPS3_EEvT2_lT0_T1_,@function
_ZN9rocsolver6v33100L16reset_batch_infoI19rocblas_complex_numIdEiiPS3_EEvT2_lT0_T1_: ; @_ZN9rocsolver6v33100L16reset_batch_infoI19rocblas_complex_numIdEiiPS3_EEvT2_lT0_T1_
; %bb.0:
	s_clause 0x1
	s_load_b32 s4, s[0:1], 0x24
	s_load_b64 s[2:3], s[0:1], 0x10
	s_wait_kmcnt 0x0
	s_and_b32 s4, s4, 0xffff
	s_delay_alu instid0(SALU_CYCLE_1) | instskip(NEXT) | instid1(VALU_DEP_1)
	v_mad_co_u64_u32 v[0:1], null, ttmp9, s4, v[0:1]
	v_cmp_gt_i32_e32 vcc_lo, s2, v0
	s_and_saveexec_b32 s2, vcc_lo
	s_cbranch_execz .LBB64_2
; %bb.1:
	v_cvt_f64_i32_e32 v[2:3], s3
	s_load_b128 s[0:3], s[0:1], 0x0
	v_ashrrev_i32_e32 v1, 31, v0
	s_mov_b32 s4, ttmp7
	s_ashr_i32 s5, ttmp7, 31
	v_mov_b32_e32 v4, 0
	s_delay_alu instid0(VALU_DEP_2) | instskip(NEXT) | instid1(VALU_DEP_2)
	v_lshlrev_b64_e32 v[0:1], 4, v[0:1]
	v_mov_b32_e32 v5, v4
	s_wait_kmcnt 0x0
	s_wait_alu 0xfffe
	s_mul_u64 s[2:3], s[2:3], s[4:5]
	s_wait_alu 0xfffe
	s_lshl_b64 s[2:3], s[2:3], 4
	s_wait_alu 0xfffe
	s_add_nc_u64 s[0:1], s[0:1], s[2:3]
	s_wait_alu 0xfffe
	v_add_co_u32 v0, vcc_lo, s0, v0
	s_delay_alu instid0(VALU_DEP_1)
	v_add_co_ci_u32_e64 v1, null, s1, v1, vcc_lo
	global_store_b128 v[0:1], v[2:5], off
.LBB64_2:
	s_endpgm
	.section	.rodata,"a",@progbits
	.p2align	6, 0x0
	.amdhsa_kernel _ZN9rocsolver6v33100L16reset_batch_infoI19rocblas_complex_numIdEiiPS3_EEvT2_lT0_T1_
		.amdhsa_group_segment_fixed_size 0
		.amdhsa_private_segment_fixed_size 0
		.amdhsa_kernarg_size 280
		.amdhsa_user_sgpr_count 2
		.amdhsa_user_sgpr_dispatch_ptr 0
		.amdhsa_user_sgpr_queue_ptr 0
		.amdhsa_user_sgpr_kernarg_segment_ptr 1
		.amdhsa_user_sgpr_dispatch_id 0
		.amdhsa_user_sgpr_private_segment_size 0
		.amdhsa_wavefront_size32 1
		.amdhsa_uses_dynamic_stack 0
		.amdhsa_enable_private_segment 0
		.amdhsa_system_sgpr_workgroup_id_x 1
		.amdhsa_system_sgpr_workgroup_id_y 1
		.amdhsa_system_sgpr_workgroup_id_z 0
		.amdhsa_system_sgpr_workgroup_info 0
		.amdhsa_system_vgpr_workitem_id 0
		.amdhsa_next_free_vgpr 6
		.amdhsa_next_free_sgpr 6
		.amdhsa_reserve_vcc 1
		.amdhsa_float_round_mode_32 0
		.amdhsa_float_round_mode_16_64 0
		.amdhsa_float_denorm_mode_32 3
		.amdhsa_float_denorm_mode_16_64 3
		.amdhsa_fp16_overflow 0
		.amdhsa_workgroup_processor_mode 1
		.amdhsa_memory_ordered 1
		.amdhsa_forward_progress 1
		.amdhsa_inst_pref_size 2
		.amdhsa_round_robin_scheduling 0
		.amdhsa_exception_fp_ieee_invalid_op 0
		.amdhsa_exception_fp_denorm_src 0
		.amdhsa_exception_fp_ieee_div_zero 0
		.amdhsa_exception_fp_ieee_overflow 0
		.amdhsa_exception_fp_ieee_underflow 0
		.amdhsa_exception_fp_ieee_inexact 0
		.amdhsa_exception_int_div_zero 0
	.end_amdhsa_kernel
	.section	.text._ZN9rocsolver6v33100L16reset_batch_infoI19rocblas_complex_numIdEiiPS3_EEvT2_lT0_T1_,"axG",@progbits,_ZN9rocsolver6v33100L16reset_batch_infoI19rocblas_complex_numIdEiiPS3_EEvT2_lT0_T1_,comdat
.Lfunc_end64:
	.size	_ZN9rocsolver6v33100L16reset_batch_infoI19rocblas_complex_numIdEiiPS3_EEvT2_lT0_T1_, .Lfunc_end64-_ZN9rocsolver6v33100L16reset_batch_infoI19rocblas_complex_numIdEiiPS3_EEvT2_lT0_T1_
                                        ; -- End function
	.set _ZN9rocsolver6v33100L16reset_batch_infoI19rocblas_complex_numIdEiiPS3_EEvT2_lT0_T1_.num_vgpr, 6
	.set _ZN9rocsolver6v33100L16reset_batch_infoI19rocblas_complex_numIdEiiPS3_EEvT2_lT0_T1_.num_agpr, 0
	.set _ZN9rocsolver6v33100L16reset_batch_infoI19rocblas_complex_numIdEiiPS3_EEvT2_lT0_T1_.numbered_sgpr, 6
	.set _ZN9rocsolver6v33100L16reset_batch_infoI19rocblas_complex_numIdEiiPS3_EEvT2_lT0_T1_.num_named_barrier, 0
	.set _ZN9rocsolver6v33100L16reset_batch_infoI19rocblas_complex_numIdEiiPS3_EEvT2_lT0_T1_.private_seg_size, 0
	.set _ZN9rocsolver6v33100L16reset_batch_infoI19rocblas_complex_numIdEiiPS3_EEvT2_lT0_T1_.uses_vcc, 1
	.set _ZN9rocsolver6v33100L16reset_batch_infoI19rocblas_complex_numIdEiiPS3_EEvT2_lT0_T1_.uses_flat_scratch, 0
	.set _ZN9rocsolver6v33100L16reset_batch_infoI19rocblas_complex_numIdEiiPS3_EEvT2_lT0_T1_.has_dyn_sized_stack, 0
	.set _ZN9rocsolver6v33100L16reset_batch_infoI19rocblas_complex_numIdEiiPS3_EEvT2_lT0_T1_.has_recursion, 0
	.set _ZN9rocsolver6v33100L16reset_batch_infoI19rocblas_complex_numIdEiiPS3_EEvT2_lT0_T1_.has_indirect_call, 0
	.section	.AMDGPU.csdata,"",@progbits
; Kernel info:
; codeLenInByte = 164
; TotalNumSgprs: 8
; NumVgprs: 6
; ScratchSize: 0
; MemoryBound: 0
; FloatMode: 240
; IeeeMode: 1
; LDSByteSize: 0 bytes/workgroup (compile time only)
; SGPRBlocks: 0
; VGPRBlocks: 0
; NumSGPRsForWavesPerEU: 8
; NumVGPRsForWavesPerEU: 6
; Occupancy: 16
; WaveLimiterHint : 0
; COMPUTE_PGM_RSRC2:SCRATCH_EN: 0
; COMPUTE_PGM_RSRC2:USER_SGPR: 2
; COMPUTE_PGM_RSRC2:TRAP_HANDLER: 0
; COMPUTE_PGM_RSRC2:TGID_X_EN: 1
; COMPUTE_PGM_RSRC2:TGID_Y_EN: 1
; COMPUTE_PGM_RSRC2:TGID_Z_EN: 0
; COMPUTE_PGM_RSRC2:TIDIG_COMP_CNT: 0
	.section	.text._ZN9rocsolver6v33100L10init_identI19rocblas_complex_numIdEPS3_EEviiT0_iil,"axG",@progbits,_ZN9rocsolver6v33100L10init_identI19rocblas_complex_numIdEPS3_EEviiT0_iil,comdat
	.globl	_ZN9rocsolver6v33100L10init_identI19rocblas_complex_numIdEPS3_EEviiT0_iil ; -- Begin function _ZN9rocsolver6v33100L10init_identI19rocblas_complex_numIdEPS3_EEviiT0_iil
	.p2align	8
	.type	_ZN9rocsolver6v33100L10init_identI19rocblas_complex_numIdEPS3_EEviiT0_iil,@function
_ZN9rocsolver6v33100L10init_identI19rocblas_complex_numIdEPS3_EEviiT0_iil: ; @_ZN9rocsolver6v33100L10init_identI19rocblas_complex_numIdEPS3_EEviiT0_iil
; %bb.0:
	s_clause 0x1
	s_load_b32 s4, s[0:1], 0x2c
	s_load_b64 s[2:3], s[0:1], 0x0
	v_and_b32_e32 v1, 0x3ff, v0
	v_bfe_u32 v0, v0, 10, 10
	s_and_b32 s5, ttmp7, 0xffff
	s_wait_kmcnt 0x0
	s_lshr_b32 s6, s4, 16
	s_and_b32 s4, s4, 0xffff
	s_delay_alu instid0(SALU_CYCLE_1) | instskip(SKIP_1) | instid1(VALU_DEP_2)
	v_mad_co_u64_u32 v[3:4], null, ttmp9, s4, v[1:2]
	v_mad_co_u64_u32 v[0:1], null, s5, s6, v[0:1]
	v_cmp_gt_u32_e32 vcc_lo, s2, v3
	s_delay_alu instid0(VALU_DEP_2)
	v_cmp_gt_u32_e64 s2, s3, v0
	s_and_b32 s2, vcc_lo, s2
	s_wait_alu 0xfffe
	s_and_saveexec_b32 s3, s2
	s_cbranch_execz .LBB65_6
; %bb.1:
	s_load_b64 s[2:3], s[0:1], 0x10
	s_mov_b32 s4, exec_lo
                                        ; implicit-def: $vgpr2
	v_cmpx_ne_u32_e64 v3, v0
	s_wait_alu 0xfffe
	s_xor_b32 s4, exec_lo, s4
	s_cbranch_execz .LBB65_3
; %bb.2:
	s_wait_kmcnt 0x0
	v_mad_co_u64_u32 v[2:3], null, v0, s3, v[3:4]
                                        ; implicit-def: $vgpr3_vgpr4
.LBB65_3:
	s_wait_alu 0xfffe
	s_or_saveexec_b32 s4, s4
	v_mov_b32_e32 v0, 0
	v_mov_b32_e32 v1, 0
	s_wait_alu 0xfffe
	s_xor_b32 exec_lo, exec_lo, s4
	s_cbranch_execz .LBB65_5
; %bb.4:
	s_wait_kmcnt 0x0
	v_mad_co_u64_u32 v[2:3], null, v3, s3, v[3:4]
	v_mov_b32_e32 v0, 0
	v_mov_b32_e32 v1, 0x3ff00000
.LBB65_5:
	s_or_b32 exec_lo, exec_lo, s4
	s_clause 0x1
	s_load_b64 s[4:5], s[0:1], 0x18
	s_load_b64 s[0:1], s[0:1], 0x8
	v_mov_b32_e32 v3, 0
	s_mov_b32 s7, 0
	s_lshr_b32 s6, ttmp7, 16
	s_wait_kmcnt 0x0
	s_ashr_i32 s3, s2, 31
	v_lshlrev_b64_e32 v[4:5], 4, v[2:3]
	s_wait_alu 0xfffe
	s_lshl_b64 s[2:3], s[2:3], 4
	v_mov_b32_e32 v2, v3
	s_mul_u64 s[4:5], s[4:5], s[6:7]
	s_wait_alu 0xfffe
	s_lshl_b64 s[4:5], s[4:5], 4
	s_wait_alu 0xfffe
	s_add_nc_u64 s[0:1], s[0:1], s[4:5]
	s_wait_alu 0xfffe
	s_add_nc_u64 s[0:1], s[0:1], s[2:3]
	s_wait_alu 0xfffe
	v_add_co_u32 v4, vcc_lo, s0, v4
	s_delay_alu instid0(VALU_DEP_1)
	v_add_co_ci_u32_e64 v5, null, s1, v5, vcc_lo
	global_store_b128 v[4:5], v[0:3], off
.LBB65_6:
	s_endpgm
	.section	.rodata,"a",@progbits
	.p2align	6, 0x0
	.amdhsa_kernel _ZN9rocsolver6v33100L10init_identI19rocblas_complex_numIdEPS3_EEviiT0_iil
		.amdhsa_group_segment_fixed_size 0
		.amdhsa_private_segment_fixed_size 0
		.amdhsa_kernarg_size 288
		.amdhsa_user_sgpr_count 2
		.amdhsa_user_sgpr_dispatch_ptr 0
		.amdhsa_user_sgpr_queue_ptr 0
		.amdhsa_user_sgpr_kernarg_segment_ptr 1
		.amdhsa_user_sgpr_dispatch_id 0
		.amdhsa_user_sgpr_private_segment_size 0
		.amdhsa_wavefront_size32 1
		.amdhsa_uses_dynamic_stack 0
		.amdhsa_enable_private_segment 0
		.amdhsa_system_sgpr_workgroup_id_x 1
		.amdhsa_system_sgpr_workgroup_id_y 1
		.amdhsa_system_sgpr_workgroup_id_z 1
		.amdhsa_system_sgpr_workgroup_info 0
		.amdhsa_system_vgpr_workitem_id 1
		.amdhsa_next_free_vgpr 6
		.amdhsa_next_free_sgpr 8
		.amdhsa_reserve_vcc 1
		.amdhsa_float_round_mode_32 0
		.amdhsa_float_round_mode_16_64 0
		.amdhsa_float_denorm_mode_32 3
		.amdhsa_float_denorm_mode_16_64 3
		.amdhsa_fp16_overflow 0
		.amdhsa_workgroup_processor_mode 1
		.amdhsa_memory_ordered 1
		.amdhsa_forward_progress 1
		.amdhsa_inst_pref_size 3
		.amdhsa_round_robin_scheduling 0
		.amdhsa_exception_fp_ieee_invalid_op 0
		.amdhsa_exception_fp_denorm_src 0
		.amdhsa_exception_fp_ieee_div_zero 0
		.amdhsa_exception_fp_ieee_overflow 0
		.amdhsa_exception_fp_ieee_underflow 0
		.amdhsa_exception_fp_ieee_inexact 0
		.amdhsa_exception_int_div_zero 0
	.end_amdhsa_kernel
	.section	.text._ZN9rocsolver6v33100L10init_identI19rocblas_complex_numIdEPS3_EEviiT0_iil,"axG",@progbits,_ZN9rocsolver6v33100L10init_identI19rocblas_complex_numIdEPS3_EEviiT0_iil,comdat
.Lfunc_end65:
	.size	_ZN9rocsolver6v33100L10init_identI19rocblas_complex_numIdEPS3_EEviiT0_iil, .Lfunc_end65-_ZN9rocsolver6v33100L10init_identI19rocblas_complex_numIdEPS3_EEviiT0_iil
                                        ; -- End function
	.set _ZN9rocsolver6v33100L10init_identI19rocblas_complex_numIdEPS3_EEviiT0_iil.num_vgpr, 6
	.set _ZN9rocsolver6v33100L10init_identI19rocblas_complex_numIdEPS3_EEviiT0_iil.num_agpr, 0
	.set _ZN9rocsolver6v33100L10init_identI19rocblas_complex_numIdEPS3_EEviiT0_iil.numbered_sgpr, 8
	.set _ZN9rocsolver6v33100L10init_identI19rocblas_complex_numIdEPS3_EEviiT0_iil.num_named_barrier, 0
	.set _ZN9rocsolver6v33100L10init_identI19rocblas_complex_numIdEPS3_EEviiT0_iil.private_seg_size, 0
	.set _ZN9rocsolver6v33100L10init_identI19rocblas_complex_numIdEPS3_EEviiT0_iil.uses_vcc, 1
	.set _ZN9rocsolver6v33100L10init_identI19rocblas_complex_numIdEPS3_EEviiT0_iil.uses_flat_scratch, 0
	.set _ZN9rocsolver6v33100L10init_identI19rocblas_complex_numIdEPS3_EEviiT0_iil.has_dyn_sized_stack, 0
	.set _ZN9rocsolver6v33100L10init_identI19rocblas_complex_numIdEPS3_EEviiT0_iil.has_recursion, 0
	.set _ZN9rocsolver6v33100L10init_identI19rocblas_complex_numIdEPS3_EEviiT0_iil.has_indirect_call, 0
	.section	.AMDGPU.csdata,"",@progbits
; Kernel info:
; codeLenInByte = 336
; TotalNumSgprs: 10
; NumVgprs: 6
; ScratchSize: 0
; MemoryBound: 0
; FloatMode: 240
; IeeeMode: 1
; LDSByteSize: 0 bytes/workgroup (compile time only)
; SGPRBlocks: 0
; VGPRBlocks: 0
; NumSGPRsForWavesPerEU: 10
; NumVGPRsForWavesPerEU: 6
; Occupancy: 16
; WaveLimiterHint : 0
; COMPUTE_PGM_RSRC2:SCRATCH_EN: 0
; COMPUTE_PGM_RSRC2:USER_SGPR: 2
; COMPUTE_PGM_RSRC2:TRAP_HANDLER: 0
; COMPUTE_PGM_RSRC2:TGID_X_EN: 1
; COMPUTE_PGM_RSRC2:TGID_Y_EN: 1
; COMPUTE_PGM_RSRC2:TGID_Z_EN: 1
; COMPUTE_PGM_RSRC2:TIDIG_COMP_CNT: 1
	.section	.text._ZN9rocsolver6v33100L11lasr_kernelI19rocblas_complex_numIdEdPS3_iEEv13rocblas_side_14rocblas_pivot_15rocblas_direct_T2_S8_PT0_lSA_lT1_lS8_lS8_,"axG",@progbits,_ZN9rocsolver6v33100L11lasr_kernelI19rocblas_complex_numIdEdPS3_iEEv13rocblas_side_14rocblas_pivot_15rocblas_direct_T2_S8_PT0_lSA_lT1_lS8_lS8_,comdat
	.globl	_ZN9rocsolver6v33100L11lasr_kernelI19rocblas_complex_numIdEdPS3_iEEv13rocblas_side_14rocblas_pivot_15rocblas_direct_T2_S8_PT0_lSA_lT1_lS8_lS8_ ; -- Begin function _ZN9rocsolver6v33100L11lasr_kernelI19rocblas_complex_numIdEdPS3_iEEv13rocblas_side_14rocblas_pivot_15rocblas_direct_T2_S8_PT0_lSA_lT1_lS8_lS8_
	.p2align	8
	.type	_ZN9rocsolver6v33100L11lasr_kernelI19rocblas_complex_numIdEdPS3_iEEv13rocblas_side_14rocblas_pivot_15rocblas_direct_T2_S8_PT0_lSA_lT1_lS8_lS8_,@function
_ZN9rocsolver6v33100L11lasr_kernelI19rocblas_complex_numIdEdPS3_iEEv13rocblas_side_14rocblas_pivot_15rocblas_direct_T2_S8_PT0_lSA_lT1_lS8_lS8_: ; @_ZN9rocsolver6v33100L11lasr_kernelI19rocblas_complex_numIdEdPS3_iEEv13rocblas_side_14rocblas_pivot_15rocblas_direct_T2_S8_PT0_lSA_lT1_lS8_lS8_
; %bb.0:
	s_load_b32 s33, s[0:1], 0x58
	s_lshr_b32 s20, ttmp7, 16
	s_wait_kmcnt 0x0
	s_cmp_ge_u32 s20, s33
	s_cbranch_scc1 .LBB66_108
; %bb.1:
	s_clause 0x6
	s_load_b32 s22, s[0:1], 0x48
	s_load_b64 s[24:25], s[0:1], 0x68
	s_load_b128 s[16:19], s[0:1], 0x38
	s_load_b128 s[12:15], s[0:1], 0x0
	s_load_b32 s21, s[0:1], 0x60
	s_load_b32 s76, s[0:1], 0x10
	s_load_b256 s[4:11], s[0:1], 0x18
	v_mov_b32_e32 v38, 0
	s_wait_kmcnt 0x0
	s_ashr_i32 s23, s22, 31
	s_and_b32 s25, s25, 0xffff
	s_lshl_b64 s[2:3], s[18:19], 4
	s_cmp_eq_u32 s12, 0x8d
	v_mad_co_u64_u32 v[4:5], null, ttmp9, s25, v[0:1]
	s_cselect_b32 s28, -1, 0
	s_cmp_eq_u32 s12, 0x8e
	s_load_b64 s[18:19], s[0:1], 0x50
	s_cselect_b32 s29, -1, 0
	s_cmp_eq_u32 s13, 0x119
	s_mul_i32 s12, s21, s25
	s_cselect_b32 s30, -1, 0
	s_cmp_eq_u32 s13, 0x11b
	v_ashrrev_i32_e32 v5, 31, v4
	s_cselect_b32 s0, -1, 0
	s_cmp_eq_u32 s13, 0x11a
	s_add_nc_u64 s[26:27], s[16:17], s[2:3]
	s_cselect_b32 s1, -1, 0
	s_cmp_eq_u32 s14, 0xab
	v_lshlrev_b64_e32 v[0:1], 4, v[4:5]
	s_cselect_b32 s13, -1, 0
	s_cmp_eq_u32 s14, 0xac
	s_cselect_b32 s21, -1, 0
	s_and_b32 s14, s28, s30
	s_wait_alu 0xfffe
	s_and_b32 s25, s28, s1
	s_and_b32 s28, s28, s0
	;; [unrolled: 1-line block ×5, first 2 shown]
	v_cmp_gt_i32_e64 s0, s15, v4
	s_and_b32 s31, s14, s13
	s_and_b32 s37, s28, s13
	;; [unrolled: 1-line block ×4, first 2 shown]
	s_xor_b32 s14, s31, -1
	s_and_b32 s31, s30, s13
	s_xor_b32 s80, s28, -1
	s_and_b32 s28, s30, s21
	s_wait_alu 0xfffe
	s_and_b32 s30, s1, s13
	s_and_b32 s1, s1, s21
	;; [unrolled: 1-line block ×4, first 2 shown]
	s_xor_b32 s82, s28, -1
	s_and_b32 s13, s29, s13
	s_wait_alu 0xfffe
	s_xor_b32 s84, s1, -1
	s_and_b32 s1, s21, s0
	s_add_co_i32 s28, s76, -1
	s_xor_b32 s25, s34, -1
	s_xor_b32 s77, s35, -1
	;; [unrolled: 1-line block ×7, first 2 shown]
	s_wait_alu 0xfffe
	s_and_b32 s86, s29, s1
	s_ashr_i32 s29, s28, 31
	s_add_co_i32 s36, s76, -2
	s_mov_b32 s21, 0
	s_cmp_gt_i32 s76, 1
	s_mov_b32 s37, s21
	s_cselect_b32 s87, -1, 0
	s_ashr_i32 s35, s15, 31
	s_add_co_i32 s50, s15, -2
	s_cmp_gt_i32 s15, 1
	s_mul_u64 s[40:41], s[22:23], s[36:37]
	s_cselect_b32 s88, -1, 0
	s_lshl_b64 s[40:41], s[40:41], 4
	s_mul_u64 s[30:31], s[22:23], s[28:29]
	s_add_nc_u64 s[40:41], s[40:41], s[2:3]
	s_mov_b32 s29, s21
	s_add_nc_u64 s[40:41], s[16:17], s[40:41]
	s_mul_u64 s[48:49], s[22:23], s[28:29]
	v_add_co_u32 v16, vcc_lo, s40, v0
	s_delay_alu instid0(VALU_DEP_1)
	v_add_co_ci_u32_e64 v17, null, s41, v1, vcc_lo
	s_lshl_b64 s[48:49], s[48:49], 4
	v_add_co_u32 v18, vcc_lo, v16, 8
	s_wait_alu 0xfffd
	v_add_co_ci_u32_e64 v19, null, 0, v17, vcc_lo
	v_add_co_u32 v2, vcc_lo, s26, v0
	s_wait_alu 0xfffd
	v_add_co_ci_u32_e64 v3, null, s27, v1, vcc_lo
	s_add_nc_u64 s[48:49], s[48:49], s[2:3]
	s_lshl_b64 s[44:45], s[22:23], 4
	v_add_co_u32 v20, vcc_lo, v2, 8
	s_add_nc_u64 s[48:49], s[16:17], s[48:49]
	s_wait_alu 0xfffd
	v_add_co_ci_u32_e64 v21, null, 0, v3, vcc_lo
	s_add_nc_u64 s[52:53], s[2:3], s[44:45]
	v_add_co_u32 v2, vcc_lo, s48, v0
	s_wait_alu 0xfffd
	v_add_co_ci_u32_e64 v3, null, s49, v1, vcc_lo
	s_add_nc_u64 s[48:49], s[16:17], s[52:53]
	s_mov_b32 s51, s21
	s_wait_alu 0xfffe
	v_add_co_u32 v5, vcc_lo, s48, v0
	s_wait_alu 0xfffd
	v_add_co_ci_u32_e64 v6, null, s49, v1, vcc_lo
	v_mad_co_i64_i32 v[0:1], null, s22, v4, 0
	v_add_co_u32 v22, vcc_lo, v2, 8
	s_wait_alu 0xfffd
	v_add_co_ci_u32_e64 v23, null, 0, v3, vcc_lo
	v_add_co_u32 v24, vcc_lo, v5, 8
	s_delay_alu instid0(VALU_DEP_4)
	v_lshlrev_b64_e32 v[0:1], 4, v[0:1]
	s_wait_alu 0xfffd
	v_add_co_ci_u32_e64 v25, null, 0, v6, vcc_lo
	s_lshl_b64 s[52:53], s[50:51], 3
	s_lshl_b64 s[50:51], s[50:51], 4
	s_add_co_i32 s48, s15, -1
	v_add_co_u32 v0, vcc_lo, v0, s2
	s_wait_alu 0xfffd
	v_add_co_ci_u32_e64 v1, null, s3, v1, vcc_lo
	s_add_nc_u64 s[2:3], s[16:17], s[50:51]
	s_mov_b32 s49, s21
	s_wait_alu 0xfffe
	v_add_co_u32 v26, vcc_lo, s2, v0
	s_wait_alu 0xfffd
	v_add_co_ci_u32_e64 v27, null, s3, v1, vcc_lo
	s_lshl_b64 s[54:55], s[48:49], 4
	v_add_co_u32 v28, vcc_lo, v26, 8
	s_wait_alu 0xfffd
	v_add_co_ci_u32_e64 v29, null, 0, v27, vcc_lo
	v_add_co_u32 v2, vcc_lo, s16, v0
	s_wait_alu 0xfffd
	v_add_co_ci_u32_e64 v3, null, s17, v1, vcc_lo
	s_add_nc_u64 s[16:17], s[16:17], s[54:55]
	s_ashr_i32 s13, s12, 31
	s_wait_alu 0xfffe
	v_add_co_u32 v0, vcc_lo, s16, v0
	s_wait_alu 0xfffd
	v_add_co_ci_u32_e64 v1, null, s17, v1, vcc_lo
	v_add_co_u32 v30, vcc_lo, v2, 8
	s_wait_alu 0xfffd
	v_add_co_ci_u32_e64 v31, null, 0, v3, vcc_lo
	;; [unrolled: 3-line block ×4, first 2 shown]
	v_add_co_u32 v36, vcc_lo, v2, 24
	v_cmp_gt_i32_e64 s1, s76, v4
	s_wait_alu 0xfffd
	v_add_co_ci_u32_e64 v37, null, 0, v3, vcc_lo
	s_lshl_b64 s[38:39], s[36:37], 3
	s_mul_u64 s[2:3], s[22:23], s[12:13]
	s_mov_b32 s34, s15
	s_add_nc_u64 s[36:37], s[4:5], s[38:39]
	s_lshl_b64 s[6:7], s[6:7], 3
	s_add_nc_u64 s[38:39], s[8:9], s[38:39]
	s_lshl_b64 s[10:11], s[10:11], 3
	s_wait_kmcnt 0x0
	s_lshl_b64 s[40:41], s[18:19], 4
	s_lshl_b64 s[42:43], s[12:13], 4
	s_sub_nc_u64 s[46:47], 0, s[44:45]
	s_add_co_i32 s29, s76, 1
	s_add_nc_u64 s[50:51], s[4:5], s[52:53]
	s_add_nc_u64 s[16:17], s[8:9], s[52:53]
	s_wait_alu 0xfffe
	s_lshl_b64 s[52:53], s[2:3], 4
	s_add_co_i32 s13, s15, 1
	s_branch .LBB66_4
.LBB66_2:                               ;   in Loop: Header=BB66_4 Depth=1
	s_wait_alu 0xfffe
	s_or_b32 exec_lo, exec_lo, s23
.LBB66_3:                               ;   in Loop: Header=BB66_4 Depth=1
	s_add_co_i32 s20, s20, s24
	s_delay_alu instid0(SALU_CYCLE_1)
	s_cmp_ge_u32 s20, s33
	s_cbranch_scc1 .LBB66_108
.LBB66_4:                               ; =>This Loop Header: Depth=1
                                        ;     Child Loop BB66_19 Depth 2
                                        ;       Child Loop BB66_20 Depth 3
                                        ;     Child Loop BB66_26 Depth 2
                                        ;       Child Loop BB66_27 Depth 3
	;; [unrolled: 2-line block ×12, first 2 shown]
	s_mul_u64 s[58:59], s[18:19], s[20:21]
	s_mul_u64 s[2:3], s[10:11], s[20:21]
	;; [unrolled: 1-line block ×3, first 2 shown]
	s_wait_alu 0xfffe
	s_lshl_b64 s[58:59], s[58:59], 4
	s_add_nc_u64 s[54:55], s[8:9], s[2:3]
	s_add_nc_u64 s[56:57], s[4:5], s[66:67]
	s_mul_u64 s[60:61], s[40:41], s[20:21]
	s_wait_alu 0xfffe
	s_add_nc_u64 s[58:59], s[26:27], s[58:59]
	s_and_b32 vcc_lo, exec_lo, s14
	s_mov_b32 s23, -1
	s_wait_alu 0xfffe
	s_cbranch_vccnz .LBB66_6
; %bb.5:                                ;   in Loop: Header=BB66_4 Depth=1
	s_and_not1_b32 vcc_lo, exec_lo, s23
	s_wait_alu 0xfffe
	s_cbranch_vccnz .LBB66_3
	s_branch .LBB66_103
.LBB66_6:                               ;   in Loop: Header=BB66_4 Depth=1
	s_add_nc_u64 s[62:63], s[50:51], s[66:67]
	s_add_nc_u64 s[64:65], s[16:17], s[2:3]
	s_and_b32 vcc_lo, exec_lo, s25
	s_wait_alu 0xfffe
	s_cbranch_vccz .LBB66_95
; %bb.7:                                ;   in Loop: Header=BB66_4 Depth=1
	s_and_b32 vcc_lo, exec_lo, s77
	s_wait_alu 0xfffe
	s_cbranch_vccz .LBB66_87
; %bb.8:                                ;   in Loop: Header=BB66_4 Depth=1
	;; [unrolled: 4-line block ×3, first 2 shown]
	s_and_b32 vcc_lo, exec_lo, s79
	s_wait_alu 0xfffe
	s_cbranch_vccz .LBB66_71
; %bb.10:                               ;   in Loop: Header=BB66_4 Depth=1
	s_and_b32 vcc_lo, exec_lo, s80
	s_wait_alu 0xfffe
	s_cbranch_vccz .LBB66_63
; %bb.11:                               ;   in Loop: Header=BB66_4 Depth=1
	v_add_co_u32 v5, vcc_lo, v20, s60
	s_wait_alu 0xfffd
	v_add_co_ci_u32_e64 v6, null, s61, v21, vcc_lo
	s_and_b32 vcc_lo, exec_lo, s81
	s_wait_alu 0xfffe
	s_cbranch_vccz .LBB66_55
; %bb.12:                               ;   in Loop: Header=BB66_4 Depth=1
	v_add_co_u32 v7, vcc_lo, v22, s60
	s_wait_alu 0xfffd
	v_add_co_ci_u32_e64 v8, null, s61, v23, vcc_lo
	s_add_nc_u64 s[66:67], s[36:37], s[66:67]
	s_add_nc_u64 s[68:69], s[38:39], s[2:3]
	s_and_b32 vcc_lo, exec_lo, s82
	s_mov_b32 s2, -1
	s_wait_alu 0xfffe
	s_cbranch_vccz .LBB66_46
; %bb.13:                               ;   in Loop: Header=BB66_4 Depth=1
	s_and_b32 vcc_lo, exec_lo, s83
	s_wait_alu 0xfffe
	s_cbranch_vccz .LBB66_38
; %bb.14:                               ;   in Loop: Header=BB66_4 Depth=1
	s_and_b32 vcc_lo, exec_lo, s84
	;; [unrolled: 4-line block ×3, first 2 shown]
	s_wait_alu 0xfffe
	s_cbranch_vccz .LBB66_22
; %bb.16:                               ;   in Loop: Header=BB66_4 Depth=1
	s_and_saveexec_b32 s23, s86
	s_cbranch_execz .LBB66_21
; %bb.17:                               ;   in Loop: Header=BB66_4 Depth=1
	v_add_co_u32 v9, vcc_lo, v18, s60
	s_wait_alu 0xfffd
	v_add_co_ci_u32_e64 v10, null, s61, v19, vcc_lo
	v_mov_b32_e32 v11, v4
	s_lshl_b64 s[2:3], s[30:31], 4
	s_mov_b32 s49, 0
	s_wait_alu 0xfffe
	s_add_nc_u64 s[70:71], s[58:59], s[2:3]
	s_branch .LBB66_19
.LBB66_18:                              ;   in Loop: Header=BB66_19 Depth=2
	v_add_nc_u32_e32 v11, s12, v11
	v_add_co_u32 v9, s2, v9, s42
	s_wait_alu 0xf1fe
	v_add_co_ci_u32_e64 v10, null, s43, v10, s2
	s_delay_alu instid0(VALU_DEP_3)
	v_cmp_le_i32_e32 vcc_lo, s15, v11
	s_wait_loadcnt 0x0
	global_store_b128 v[12:13], v[0:3], off
	s_or_b32 s49, vcc_lo, s49
	s_wait_alu 0xfffe
	s_and_not1_b32 exec_lo, exec_lo, s49
	s_cbranch_execz .LBB66_21
.LBB66_19:                              ;   Parent Loop BB66_4 Depth=1
                                        ; =>  This Loop Header: Depth=2
                                        ;       Child Loop BB66_20 Depth 3
	v_ashrrev_i32_e32 v12, 31, v11
	v_dual_mov_b32 v15, v10 :: v_dual_mov_b32 v14, v9
	s_mov_b64 s[2:3], s[68:69]
	s_mov_b64 s[72:73], s[66:67]
	s_delay_alu instid0(VALU_DEP_2) | instskip(SKIP_2) | instid1(VALU_DEP_1)
	v_lshlrev_b64_e32 v[0:1], 4, v[11:12]
	s_mov_b32 s74, s28
	s_wait_alu 0xfffe
	v_add_co_u32 v12, vcc_lo, s70, v0
	s_wait_alu 0xfffd
	s_delay_alu instid0(VALU_DEP_2)
	v_add_co_ci_u32_e64 v13, null, s71, v1, vcc_lo
	s_and_not1_b32 vcc_lo, exec_lo, s87
	global_load_b128 v[0:3], v[12:13], off
	s_wait_alu 0xfffe
	s_cbranch_vccnz .LBB66_18
.LBB66_20:                              ;   Parent Loop BB66_4 Depth=1
                                        ;     Parent Loop BB66_19 Depth=2
                                        ; =>    This Inner Loop Header: Depth=3
	global_load_b128 v[39:42], v[14:15], off offset:-8
	s_clause 0x1
	global_load_b64 v[43:44], v38, s[72:73]
	global_load_b64 v[45:46], v38, s[2:3]
	s_add_co_i32 s74, s74, -1
	s_add_nc_u64 s[72:73], s[72:73], -8
	s_cmp_eq_u32 s74, 0
	s_wait_alu 0xfffe
	s_add_nc_u64 s[2:3], s[2:3], -8
	s_wait_loadcnt 0x1
	v_mul_f64_e32 v[47:48], v[43:44], v[39:40]
	v_mul_f64_e32 v[49:50], v[43:44], v[41:42]
	s_wait_loadcnt 0x0
	v_mul_f64_e32 v[51:52], v[45:46], v[39:40]
	v_mul_f64_e32 v[53:54], v[45:46], v[41:42]
	s_delay_alu instid0(VALU_DEP_4) | instskip(NEXT) | instid1(VALU_DEP_4)
	v_fma_f64 v[39:40], v[0:1], v[45:46], v[47:48]
	v_fma_f64 v[41:42], v[2:3], v[45:46], v[49:50]
	s_delay_alu instid0(VALU_DEP_4) | instskip(NEXT) | instid1(VALU_DEP_4)
	v_fma_f64 v[0:1], v[0:1], v[43:44], -v[51:52]
	v_fma_f64 v[2:3], v[2:3], v[43:44], -v[53:54]
	global_store_b128 v[14:15], v[39:42], off offset:-8
	v_add_co_u32 v14, vcc_lo, v14, s46
	s_wait_alu 0xfffd
	v_add_co_ci_u32_e64 v15, null, s47, v15, vcc_lo
	s_cbranch_scc0 .LBB66_20
	s_branch .LBB66_18
.LBB66_21:                              ;   in Loop: Header=BB66_4 Depth=1
	s_wait_alu 0xfffe
	s_or_b32 exec_lo, exec_lo, s23
	s_mov_b32 s2, 0
.LBB66_22:                              ;   in Loop: Header=BB66_4 Depth=1
	s_wait_alu 0xfffe
	s_and_not1_b32 vcc_lo, exec_lo, s2
	s_wait_alu 0xfffe
	s_cbranch_vccnz .LBB66_29
; %bb.23:                               ;   in Loop: Header=BB66_4 Depth=1
	s_and_saveexec_b32 s23, s0
	s_cbranch_execz .LBB66_28
; %bb.24:                               ;   in Loop: Header=BB66_4 Depth=1
	v_dual_mov_b32 v10, v6 :: v_dual_mov_b32 v9, v5
	v_mov_b32_e32 v11, v4
	s_lshl_b64 s[2:3], s[30:31], 4
	s_mov_b32 s49, 0
	s_wait_alu 0xfffe
	s_add_nc_u64 s[70:71], s[58:59], s[2:3]
	s_branch .LBB66_26
.LBB66_25:                              ;   in Loop: Header=BB66_26 Depth=2
	v_add_nc_u32_e32 v11, s12, v11
	v_add_co_u32 v9, s2, v9, s42
	s_wait_alu 0xf1fe
	v_add_co_ci_u32_e64 v10, null, s43, v10, s2
	s_delay_alu instid0(VALU_DEP_3)
	v_cmp_le_i32_e32 vcc_lo, s15, v11
	s_wait_loadcnt 0x0
	global_store_b128 v[12:13], v[0:3], off
	s_or_b32 s49, vcc_lo, s49
	s_wait_alu 0xfffe
	s_and_not1_b32 exec_lo, exec_lo, s49
	s_cbranch_execz .LBB66_28
.LBB66_26:                              ;   Parent Loop BB66_4 Depth=1
                                        ; =>  This Loop Header: Depth=2
                                        ;       Child Loop BB66_27 Depth 3
	v_ashrrev_i32_e32 v12, 31, v11
	v_dual_mov_b32 v15, v10 :: v_dual_mov_b32 v14, v9
	s_mov_b64 s[2:3], s[54:55]
	s_mov_b64 s[72:73], s[56:57]
	s_delay_alu instid0(VALU_DEP_2) | instskip(SKIP_2) | instid1(VALU_DEP_1)
	v_lshlrev_b64_e32 v[0:1], 4, v[11:12]
	s_mov_b32 s74, s28
	s_wait_alu 0xfffe
	v_add_co_u32 v12, vcc_lo, s70, v0
	s_wait_alu 0xfffd
	s_delay_alu instid0(VALU_DEP_2)
	v_add_co_ci_u32_e64 v13, null, s71, v1, vcc_lo
	s_and_not1_b32 vcc_lo, exec_lo, s87
	global_load_b128 v[0:3], v[12:13], off
	s_wait_alu 0xfffe
	s_cbranch_vccnz .LBB66_25
.LBB66_27:                              ;   Parent Loop BB66_4 Depth=1
                                        ;     Parent Loop BB66_26 Depth=2
                                        ; =>    This Inner Loop Header: Depth=3
	global_load_b128 v[39:42], v[14:15], off offset:-8
	s_clause 0x1
	global_load_b64 v[43:44], v38, s[72:73]
	global_load_b64 v[45:46], v38, s[2:3]
	s_add_co_i32 s74, s74, -1
	s_add_nc_u64 s[72:73], s[72:73], 8
	s_cmp_eq_u32 s74, 0
	s_wait_alu 0xfffe
	s_add_nc_u64 s[2:3], s[2:3], 8
	s_wait_loadcnt 0x1
	v_mul_f64_e32 v[47:48], v[43:44], v[39:40]
	v_mul_f64_e32 v[49:50], v[43:44], v[41:42]
	s_wait_loadcnt 0x0
	v_mul_f64_e32 v[51:52], v[45:46], v[39:40]
	v_mul_f64_e32 v[53:54], v[45:46], v[41:42]
	s_delay_alu instid0(VALU_DEP_4) | instskip(NEXT) | instid1(VALU_DEP_4)
	v_fma_f64 v[39:40], v[0:1], v[45:46], v[47:48]
	v_fma_f64 v[41:42], v[2:3], v[45:46], v[49:50]
	s_delay_alu instid0(VALU_DEP_4) | instskip(NEXT) | instid1(VALU_DEP_4)
	v_fma_f64 v[0:1], v[0:1], v[43:44], -v[51:52]
	v_fma_f64 v[2:3], v[2:3], v[43:44], -v[53:54]
	global_store_b128 v[14:15], v[39:42], off offset:-8
	v_add_co_u32 v14, vcc_lo, v14, s44
	s_wait_alu 0xfffd
	v_add_co_ci_u32_e64 v15, null, s45, v15, vcc_lo
	s_cbranch_scc0 .LBB66_27
	s_branch .LBB66_25
.LBB66_28:                              ;   in Loop: Header=BB66_4 Depth=1
	s_wait_alu 0xfffe
	s_or_b32 exec_lo, exec_lo, s23
.LBB66_29:                              ;   in Loop: Header=BB66_4 Depth=1
	s_mov_b32 s2, 0
.LBB66_30:                              ;   in Loop: Header=BB66_4 Depth=1
	s_wait_alu 0xfffe
	s_and_not1_b32 vcc_lo, exec_lo, s2
	s_wait_alu 0xfffe
	s_cbranch_vccnz .LBB66_37
; %bb.31:                               ;   in Loop: Header=BB66_4 Depth=1
	s_and_saveexec_b32 s23, s0
	s_cbranch_execz .LBB66_36
; %bb.32:                               ;   in Loop: Header=BB66_4 Depth=1
	v_dual_mov_b32 v10, v8 :: v_dual_mov_b32 v9, v7
	v_mov_b32_e32 v11, v4
	s_mov_b32 s49, 0
	s_branch .LBB66_34
.LBB66_33:                              ;   in Loop: Header=BB66_34 Depth=2
	v_add_nc_u32_e32 v11, s12, v11
	v_add_co_u32 v9, s2, v9, s42
	s_wait_alu 0xf1fe
	v_add_co_ci_u32_e64 v10, null, s43, v10, s2
	s_delay_alu instid0(VALU_DEP_3)
	v_cmp_le_i32_e32 vcc_lo, s15, v11
	s_wait_loadcnt 0x0
	global_store_b128 v[12:13], v[0:3], off
	s_or_b32 s49, vcc_lo, s49
	s_wait_alu 0xfffe
	s_and_not1_b32 exec_lo, exec_lo, s49
	s_cbranch_execz .LBB66_36
.LBB66_34:                              ;   Parent Loop BB66_4 Depth=1
                                        ; =>  This Loop Header: Depth=2
                                        ;       Child Loop BB66_35 Depth 3
	s_delay_alu instid0(VALU_DEP_1) | instskip(SKIP_3) | instid1(VALU_DEP_2)
	v_ashrrev_i32_e32 v12, 31, v11
	v_dual_mov_b32 v15, v10 :: v_dual_mov_b32 v14, v9
	s_mov_b64 s[2:3], s[68:69]
	s_mov_b64 s[70:71], s[66:67]
	v_lshlrev_b64_e32 v[0:1], 4, v[11:12]
	s_mov_b32 s72, s29
	s_delay_alu instid0(VALU_DEP_1) | instskip(SKIP_1) | instid1(VALU_DEP_2)
	v_add_co_u32 v12, vcc_lo, s58, v0
	s_wait_alu 0xfffd
	v_add_co_ci_u32_e64 v13, null, s59, v1, vcc_lo
	s_and_not1_b32 vcc_lo, exec_lo, s87
	global_load_b128 v[0:3], v[12:13], off
	s_wait_alu 0xfffe
	s_cbranch_vccnz .LBB66_33
.LBB66_35:                              ;   Parent Loop BB66_4 Depth=1
                                        ;     Parent Loop BB66_34 Depth=2
                                        ; =>    This Inner Loop Header: Depth=3
	s_clause 0x1
	global_load_b64 v[43:44], v38, s[2:3]
	global_load_b64 v[45:46], v38, s[70:71]
	global_load_b128 v[39:42], v[14:15], off offset:-8
	s_add_co_i32 s72, s72, -1
	s_wait_alu 0xfffe
	s_add_nc_u64 s[70:71], s[70:71], -8
	s_cmp_lt_u32 s72, 3
	s_add_nc_u64 s[2:3], s[2:3], -8
	s_wait_loadcnt 0x2
	v_mul_f64_e32 v[47:48], v[0:1], v[43:44]
	v_mul_f64_e32 v[49:50], v[2:3], v[43:44]
	s_wait_loadcnt 0x0
	v_mul_f64_e32 v[51:52], v[43:44], v[39:40]
	v_mul_f64_e32 v[43:44], v[43:44], v[41:42]
	s_delay_alu instid0(VALU_DEP_4) | instskip(NEXT) | instid1(VALU_DEP_4)
	v_fma_f64 v[39:40], v[45:46], v[39:40], -v[47:48]
	v_fma_f64 v[41:42], v[45:46], v[41:42], -v[49:50]
	s_delay_alu instid0(VALU_DEP_4) | instskip(NEXT) | instid1(VALU_DEP_4)
	v_fma_f64 v[0:1], v[0:1], v[45:46], v[51:52]
	v_fma_f64 v[2:3], v[2:3], v[45:46], v[43:44]
	global_store_b128 v[14:15], v[39:42], off offset:-8
	v_add_co_u32 v14, vcc_lo, v14, s46
	s_wait_alu 0xfffd
	v_add_co_ci_u32_e64 v15, null, s47, v15, vcc_lo
	s_cbranch_scc0 .LBB66_35
	s_branch .LBB66_33
.LBB66_36:                              ;   in Loop: Header=BB66_4 Depth=1
	s_wait_alu 0xfffe
	s_or_b32 exec_lo, exec_lo, s23
.LBB66_37:                              ;   in Loop: Header=BB66_4 Depth=1
	s_mov_b32 s2, 0
.LBB66_38:                              ;   in Loop: Header=BB66_4 Depth=1
	s_wait_alu 0xfffe
	s_and_not1_b32 vcc_lo, exec_lo, s2
	s_wait_alu 0xfffe
	s_cbranch_vccnz .LBB66_45
; %bb.39:                               ;   in Loop: Header=BB66_4 Depth=1
	s_and_saveexec_b32 s23, s0
	s_cbranch_execz .LBB66_44
; %bb.40:                               ;   in Loop: Header=BB66_4 Depth=1
	v_add_co_u32 v9, vcc_lo, v24, s60
	s_wait_alu 0xfffd
	v_add_co_ci_u32_e64 v10, null, s61, v25, vcc_lo
	v_mov_b32_e32 v11, v4
	s_mov_b32 s49, 0
	s_branch .LBB66_42
.LBB66_41:                              ;   in Loop: Header=BB66_42 Depth=2
	v_add_nc_u32_e32 v11, s12, v11
	v_add_co_u32 v9, s2, v9, s42
	s_wait_alu 0xf1fe
	v_add_co_ci_u32_e64 v10, null, s43, v10, s2
	s_delay_alu instid0(VALU_DEP_3)
	v_cmp_le_i32_e32 vcc_lo, s15, v11
	s_wait_loadcnt 0x0
	global_store_b128 v[12:13], v[0:3], off
	s_or_b32 s49, vcc_lo, s49
	s_wait_alu 0xfffe
	s_and_not1_b32 exec_lo, exec_lo, s49
	s_cbranch_execz .LBB66_44
.LBB66_42:                              ;   Parent Loop BB66_4 Depth=1
                                        ; =>  This Loop Header: Depth=2
                                        ;       Child Loop BB66_43 Depth 3
	s_delay_alu instid0(VALU_DEP_1) | instskip(SKIP_3) | instid1(VALU_DEP_2)
	v_ashrrev_i32_e32 v12, 31, v11
	v_dual_mov_b32 v15, v10 :: v_dual_mov_b32 v14, v9
	s_mov_b32 s72, s28
	s_mov_b64 s[2:3], s[56:57]
	v_lshlrev_b64_e32 v[0:1], 4, v[11:12]
	s_mov_b64 s[70:71], s[54:55]
	s_delay_alu instid0(VALU_DEP_1) | instskip(SKIP_1) | instid1(VALU_DEP_2)
	v_add_co_u32 v12, vcc_lo, s58, v0
	s_wait_alu 0xfffd
	v_add_co_ci_u32_e64 v13, null, s59, v1, vcc_lo
	s_and_not1_b32 vcc_lo, exec_lo, s87
	global_load_b128 v[0:3], v[12:13], off
	s_wait_alu 0xfffe
	s_cbranch_vccnz .LBB66_41
.LBB66_43:                              ;   Parent Loop BB66_4 Depth=1
                                        ;     Parent Loop BB66_42 Depth=2
                                        ; =>    This Inner Loop Header: Depth=3
	s_clause 0x1
	global_load_b64 v[43:44], v38, s[70:71]
	global_load_b64 v[45:46], v38, s[2:3]
	global_load_b128 v[39:42], v[14:15], off offset:-8
	s_add_co_i32 s72, s72, -1
	s_wait_alu 0xfffe
	s_add_nc_u64 s[70:71], s[70:71], 8
	s_cmp_eq_u32 s72, 0
	s_add_nc_u64 s[2:3], s[2:3], 8
	s_wait_loadcnt 0x2
	v_mul_f64_e32 v[47:48], v[0:1], v[43:44]
	v_mul_f64_e32 v[49:50], v[2:3], v[43:44]
	s_wait_loadcnt 0x0
	v_mul_f64_e32 v[51:52], v[43:44], v[39:40]
	v_mul_f64_e32 v[43:44], v[43:44], v[41:42]
	s_delay_alu instid0(VALU_DEP_4) | instskip(NEXT) | instid1(VALU_DEP_4)
	v_fma_f64 v[39:40], v[45:46], v[39:40], -v[47:48]
	v_fma_f64 v[41:42], v[45:46], v[41:42], -v[49:50]
	s_delay_alu instid0(VALU_DEP_4) | instskip(NEXT) | instid1(VALU_DEP_4)
	v_fma_f64 v[0:1], v[0:1], v[45:46], v[51:52]
	v_fma_f64 v[2:3], v[2:3], v[45:46], v[43:44]
	global_store_b128 v[14:15], v[39:42], off offset:-8
	v_add_co_u32 v14, vcc_lo, v14, s44
	s_wait_alu 0xfffd
	v_add_co_ci_u32_e64 v15, null, s45, v15, vcc_lo
	s_cbranch_scc0 .LBB66_43
	s_branch .LBB66_41
.LBB66_44:                              ;   in Loop: Header=BB66_4 Depth=1
	s_wait_alu 0xfffe
	s_or_b32 exec_lo, exec_lo, s23
.LBB66_45:                              ;   in Loop: Header=BB66_4 Depth=1
	s_mov_b32 s2, 0
.LBB66_46:                              ;   in Loop: Header=BB66_4 Depth=1
	s_wait_alu 0xfffe
	s_and_not1_b32 vcc_lo, exec_lo, s2
	s_wait_alu 0xfffe
	s_cbranch_vccnz .LBB66_54
; %bb.47:                               ;   in Loop: Header=BB66_4 Depth=1
	s_and_saveexec_b32 s23, s0
	s_cbranch_execz .LBB66_53
; %bb.48:                               ;   in Loop: Header=BB66_4 Depth=1
	v_add_co_u32 v12, vcc_lo, v16, s60
	s_wait_alu 0xfffd
	v_add_co_ci_u32_e64 v13, null, s61, v17, vcc_lo
	v_mov_b32_e32 v9, v4
	s_lshl_b64 s[2:3], s[30:31], 4
	s_mov_b32 s49, 0
	s_wait_alu 0xfffe
	s_add_nc_u64 s[70:71], s[58:59], s[2:3]
	s_branch .LBB66_50
.LBB66_49:                              ;   in Loop: Header=BB66_50 Depth=2
	v_add_nc_u32_e32 v9, s12, v9
	v_add_co_u32 v10, vcc_lo, s58, v10
	s_wait_alu 0xfffd
	v_add_co_ci_u32_e64 v11, null, s59, v11, vcc_lo
	v_add_co_u32 v12, vcc_lo, v12, s42
	s_wait_alu 0xfffd
	v_add_co_ci_u32_e64 v13, null, s43, v13, vcc_lo
	v_cmp_le_i32_e32 vcc_lo, s15, v9
	v_add_co_u32 v7, s2, v7, s42
	s_wait_alu 0xf1fe
	v_add_co_ci_u32_e64 v8, null, s43, v8, s2
	s_or_b32 s49, vcc_lo, s49
	s_wait_loadcnt 0x0
	global_store_b128 v[10:11], v[0:3], off
	s_wait_alu 0xfffe
	s_and_not1_b32 exec_lo, exec_lo, s49
	s_cbranch_execz .LBB66_53
.LBB66_50:                              ;   Parent Loop BB66_4 Depth=1
                                        ; =>  This Loop Header: Depth=2
                                        ;       Child Loop BB66_52 Depth 3
	v_ashrrev_i32_e32 v10, 31, v9
	s_delay_alu instid0(VALU_DEP_1) | instskip(SKIP_1) | instid1(VALU_DEP_1)
	v_lshlrev_b64_e32 v[10:11], 4, v[9:10]
	s_wait_alu 0xfffe
	v_add_co_u32 v0, vcc_lo, s70, v10
	s_wait_alu 0xfffd
	s_delay_alu instid0(VALU_DEP_2)
	v_add_co_ci_u32_e64 v1, null, s71, v11, vcc_lo
	s_and_not1_b32 vcc_lo, exec_lo, s87
	global_load_b128 v[0:3], v[0:1], off
	s_wait_alu 0xfffe
	s_cbranch_vccnz .LBB66_49
; %bb.51:                               ;   in Loop: Header=BB66_50 Depth=2
	s_mov_b64 s[2:3], 0
	s_mov_b64 s[72:73], s[68:69]
	;; [unrolled: 1-line block ×3, first 2 shown]
	s_mov_b32 s89, s28
.LBB66_52:                              ;   Parent Loop BB66_4 Depth=1
                                        ;     Parent Loop BB66_50 Depth=2
                                        ; =>    This Inner Loop Header: Depth=3
	s_wait_alu 0xfffe
	v_add_co_u32 v14, vcc_lo, v12, s2
	s_wait_alu 0xfffd
	v_add_co_ci_u32_e64 v15, null, s3, v13, vcc_lo
	s_add_co_i32 s89, s89, -1
	s_clause 0x1
	global_load_b64 v[43:44], v38, s[74:75]
	global_load_b64 v[45:46], v38, s[72:73]
	global_load_b128 v[39:42], v[14:15], off
	s_add_nc_u64 s[74:75], s[74:75], -8
	s_cmp_eq_u32 s89, 0
	s_add_nc_u64 s[72:73], s[72:73], -8
	s_wait_loadcnt 0x0
	v_mul_f64_e32 v[14:15], v[45:46], v[39:40]
	v_mul_f64_e32 v[47:48], v[45:46], v[41:42]
	;; [unrolled: 1-line block ×4, first 2 shown]
	s_delay_alu instid0(VALU_DEP_4) | instskip(NEXT) | instid1(VALU_DEP_4)
	v_fma_f64 v[39:40], v[0:1], v[43:44], -v[14:15]
	v_fma_f64 v[41:42], v[2:3], v[43:44], -v[47:48]
	s_delay_alu instid0(VALU_DEP_4) | instskip(NEXT) | instid1(VALU_DEP_4)
	v_fma_f64 v[0:1], v[0:1], v[45:46], v[49:50]
	v_fma_f64 v[2:3], v[2:3], v[45:46], v[51:52]
	v_add_co_u32 v14, vcc_lo, v7, s2
	s_wait_alu 0xfffd
	v_add_co_ci_u32_e64 v15, null, s3, v8, vcc_lo
	s_sub_nc_u64 s[2:3], s[2:3], s[44:45]
	global_store_b128 v[14:15], v[39:42], off offset:-8
	s_cbranch_scc0 .LBB66_52
	s_branch .LBB66_49
.LBB66_53:                              ;   in Loop: Header=BB66_4 Depth=1
	s_wait_alu 0xfffe
	s_or_b32 exec_lo, exec_lo, s23
.LBB66_54:                              ;   in Loop: Header=BB66_4 Depth=1
	s_mov_b32 s23, 0
.LBB66_55:                              ;   in Loop: Header=BB66_4 Depth=1
	s_wait_alu 0xfffe
	s_and_not1_b32 vcc_lo, exec_lo, s23
	s_wait_alu 0xfffe
	s_cbranch_vccnz .LBB66_62
; %bb.56:                               ;   in Loop: Header=BB66_4 Depth=1
	s_and_saveexec_b32 s23, s0
	s_cbranch_execz .LBB66_61
; %bb.57:                               ;   in Loop: Header=BB66_4 Depth=1
	v_mov_b32_e32 v7, v4
	s_lshl_b64 s[2:3], s[30:31], 4
	s_mov_b32 s49, 0
	s_wait_alu 0xfffe
	s_add_nc_u64 s[66:67], s[58:59], s[2:3]
	s_branch .LBB66_59
.LBB66_58:                              ;   in Loop: Header=BB66_59 Depth=2
	v_add_nc_u32_e32 v7, s12, v7
	v_add_co_u32 v8, vcc_lo, s66, v8
	s_wait_alu 0xfffd
	v_add_co_ci_u32_e64 v9, null, s67, v9, vcc_lo
	s_delay_alu instid0(VALU_DEP_3)
	v_cmp_le_i32_e32 vcc_lo, s15, v7
	v_add_co_u32 v5, s2, v5, s42
	s_wait_alu 0xf1fe
	v_add_co_ci_u32_e64 v6, null, s43, v6, s2
	s_or_b32 s49, vcc_lo, s49
	s_wait_loadcnt 0x0
	global_store_b128 v[8:9], v[0:3], off
	s_wait_alu 0xfffe
	s_and_not1_b32 exec_lo, exec_lo, s49
	s_cbranch_execz .LBB66_61
.LBB66_59:                              ;   Parent Loop BB66_4 Depth=1
                                        ; =>  This Loop Header: Depth=2
                                        ;       Child Loop BB66_60 Depth 3
	v_ashrrev_i32_e32 v8, 31, v7
	v_dual_mov_b32 v11, v6 :: v_dual_mov_b32 v10, v5
	s_mov_b64 s[2:3], s[54:55]
	s_mov_b64 s[68:69], s[56:57]
	s_delay_alu instid0(VALU_DEP_2) | instskip(SKIP_1) | instid1(VALU_DEP_1)
	v_lshlrev_b64_e32 v[8:9], 4, v[7:8]
	s_mov_b32 s70, s28
	v_add_co_u32 v0, vcc_lo, s58, v8
	s_wait_alu 0xfffd
	s_delay_alu instid0(VALU_DEP_2)
	v_add_co_ci_u32_e64 v1, null, s59, v9, vcc_lo
	s_and_not1_b32 vcc_lo, exec_lo, s87
	global_load_b128 v[0:3], v[0:1], off
	s_wait_alu 0xfffe
	s_cbranch_vccnz .LBB66_58
.LBB66_60:                              ;   Parent Loop BB66_4 Depth=1
                                        ;     Parent Loop BB66_59 Depth=2
                                        ; =>    This Inner Loop Header: Depth=3
	s_delay_alu instid0(VALU_DEP_1)
	v_add_co_u32 v43, vcc_lo, v10, s44
	s_wait_alu 0xfffd
	v_add_co_ci_u32_e64 v44, null, s45, v11, vcc_lo
	s_add_co_i32 s70, s70, -1
	global_load_b128 v[12:15], v[43:44], off offset:-8
	s_clause 0x1
	global_load_b64 v[39:40], v38, s[2:3]
	global_load_b64 v[45:46], v38, s[68:69]
	s_add_nc_u64 s[68:69], s[68:69], 8
	s_wait_alu 0xfffe
	s_cmp_eq_u32 s70, 0
	s_add_nc_u64 s[2:3], s[2:3], 8
	s_wait_loadcnt 0x1
	v_mul_f64_e32 v[41:42], v[39:40], v[12:13]
	v_mul_f64_e32 v[47:48], v[39:40], v[14:15]
	;; [unrolled: 1-line block ×4, first 2 shown]
	s_wait_loadcnt 0x0
	s_delay_alu instid0(VALU_DEP_4) | instskip(NEXT) | instid1(VALU_DEP_4)
	v_fma_f64 v[39:40], v[0:1], v[45:46], v[41:42]
	v_fma_f64 v[41:42], v[2:3], v[45:46], v[47:48]
	s_delay_alu instid0(VALU_DEP_4) | instskip(NEXT) | instid1(VALU_DEP_4)
	v_fma_f64 v[0:1], v[45:46], v[12:13], -v[49:50]
	v_fma_f64 v[2:3], v[45:46], v[14:15], -v[51:52]
	global_store_b128 v[10:11], v[39:42], off offset:-8
	v_dual_mov_b32 v10, v43 :: v_dual_mov_b32 v11, v44
	s_cbranch_scc0 .LBB66_60
	s_branch .LBB66_58
.LBB66_61:                              ;   in Loop: Header=BB66_4 Depth=1
	s_wait_alu 0xfffe
	s_or_b32 exec_lo, exec_lo, s23
.LBB66_62:                              ;   in Loop: Header=BB66_4 Depth=1
	s_mov_b32 s23, 0
.LBB66_63:                              ;   in Loop: Header=BB66_4 Depth=1
	s_wait_alu 0xfffe
	s_and_not1_b32 vcc_lo, exec_lo, s23
	s_wait_alu 0xfffe
	s_cbranch_vccnz .LBB66_70
; %bb.64:                               ;   in Loop: Header=BB66_4 Depth=1
	s_and_saveexec_b32 s23, s1
	s_cbranch_execz .LBB66_69
; %bb.65:                               ;   in Loop: Header=BB66_4 Depth=1
	v_add_co_u32 v5, vcc_lo, v28, s60
	s_wait_alu 0xfffd
	v_add_co_ci_u32_e64 v6, null, s61, v29, vcc_lo
	v_mov_b32_e32 v11, v4
	s_lshl_b64 s[2:3], s[34:35], 4
	s_mov_b32 s49, 0
	s_wait_alu 0xfffe
	s_add_nc_u64 s[66:67], s[58:59], s[2:3]
	s_branch .LBB66_67
.LBB66_66:                              ;   in Loop: Header=BB66_67 Depth=2
	v_add_nc_u32_e32 v11, s12, v11
	v_add_co_u32 v5, s2, v5, s52
	s_wait_alu 0xf1fe
	v_add_co_ci_u32_e64 v6, null, s53, v6, s2
	s_delay_alu instid0(VALU_DEP_3)
	v_cmp_le_i32_e32 vcc_lo, s76, v11
	s_wait_loadcnt 0x0
	global_store_b128 v[7:8], v[0:3], off offset:-16
	s_or_b32 s49, vcc_lo, s49
	s_wait_alu 0xfffe
	s_and_not1_b32 exec_lo, exec_lo, s49
	s_cbranch_execz .LBB66_69
.LBB66_67:                              ;   Parent Loop BB66_4 Depth=1
                                        ; =>  This Loop Header: Depth=2
                                        ;       Child Loop BB66_68 Depth 3
	v_mad_co_i64_i32 v[0:1], null, v11, s22, 0
	v_dual_mov_b32 v10, v6 :: v_dual_mov_b32 v9, v5
	s_mov_b64 s[2:3], s[64:65]
	s_mov_b64 s[68:69], s[62:63]
	s_mov_b32 s70, s48
	s_delay_alu instid0(VALU_DEP_2) | instskip(SKIP_1) | instid1(VALU_DEP_1)
	v_lshlrev_b64_e32 v[0:1], 4, v[0:1]
	s_wait_alu 0xfffe
	v_add_co_u32 v7, vcc_lo, s66, v0
	s_wait_alu 0xfffd
	s_delay_alu instid0(VALU_DEP_2)
	v_add_co_ci_u32_e64 v8, null, s67, v1, vcc_lo
	s_and_not1_b32 vcc_lo, exec_lo, s88
	global_load_b128 v[0:3], v[7:8], off offset:-16
	s_wait_alu 0xfffe
	s_cbranch_vccnz .LBB66_66
.LBB66_68:                              ;   Parent Loop BB66_4 Depth=1
                                        ;     Parent Loop BB66_67 Depth=2
                                        ; =>    This Inner Loop Header: Depth=3
	global_load_b128 v[12:15], v[9:10], off offset:-8
	s_clause 0x1
	global_load_b64 v[39:40], v38, s[68:69]
	global_load_b64 v[41:42], v38, s[2:3]
	s_add_co_i32 s70, s70, -1
	s_add_nc_u64 s[68:69], s[68:69], -8
	s_wait_alu 0xfffe
	s_cmp_eq_u32 s70, 0
	s_add_nc_u64 s[2:3], s[2:3], -8
	s_wait_loadcnt 0x1
	v_mul_f64_e32 v[43:44], v[39:40], v[12:13]
	v_mul_f64_e32 v[45:46], v[39:40], v[14:15]
	s_wait_loadcnt 0x0
	v_mul_f64_e32 v[47:48], v[41:42], v[12:13]
	v_mul_f64_e32 v[49:50], v[41:42], v[14:15]
	s_delay_alu instid0(VALU_DEP_4) | instskip(NEXT) | instid1(VALU_DEP_4)
	v_fma_f64 v[12:13], v[0:1], v[41:42], v[43:44]
	v_fma_f64 v[14:15], v[2:3], v[41:42], v[45:46]
	s_delay_alu instid0(VALU_DEP_4) | instskip(NEXT) | instid1(VALU_DEP_4)
	v_fma_f64 v[0:1], v[0:1], v[39:40], -v[47:48]
	v_fma_f64 v[2:3], v[2:3], v[39:40], -v[49:50]
	global_store_b128 v[9:10], v[12:15], off offset:-8
	v_add_co_u32 v9, vcc_lo, v9, -16
	s_wait_alu 0xfffd
	v_add_co_ci_u32_e64 v10, null, -1, v10, vcc_lo
	s_cbranch_scc0 .LBB66_68
	s_branch .LBB66_66
.LBB66_69:                              ;   in Loop: Header=BB66_4 Depth=1
	s_wait_alu 0xfffe
	s_or_b32 exec_lo, exec_lo, s23
.LBB66_70:                              ;   in Loop: Header=BB66_4 Depth=1
	s_mov_b32 s23, 0
.LBB66_71:                              ;   in Loop: Header=BB66_4 Depth=1
	s_wait_alu 0xfffe
	s_and_not1_b32 vcc_lo, exec_lo, s23
	s_wait_alu 0xfffe
	s_cbranch_vccnz .LBB66_78
; %bb.72:                               ;   in Loop: Header=BB66_4 Depth=1
	s_and_saveexec_b32 s23, s1
	s_cbranch_execz .LBB66_77
; %bb.73:                               ;   in Loop: Header=BB66_4 Depth=1
	v_add_co_u32 v5, vcc_lo, v30, s60
	s_wait_alu 0xfffd
	v_add_co_ci_u32_e64 v6, null, s61, v31, vcc_lo
	v_mov_b32_e32 v11, v4
	s_lshl_b64 s[2:3], s[34:35], 4
	s_mov_b32 s49, 0
	s_wait_alu 0xfffe
	s_add_nc_u64 s[66:67], s[58:59], s[2:3]
	s_branch .LBB66_75
.LBB66_74:                              ;   in Loop: Header=BB66_75 Depth=2
	v_add_nc_u32_e32 v11, s12, v11
	v_add_co_u32 v5, s2, v5, s52
	s_wait_alu 0xf1fe
	v_add_co_ci_u32_e64 v6, null, s53, v6, s2
	s_delay_alu instid0(VALU_DEP_3)
	v_cmp_le_i32_e32 vcc_lo, s76, v11
	s_wait_loadcnt 0x0
	global_store_b128 v[7:8], v[0:3], off offset:-16
	s_or_b32 s49, vcc_lo, s49
	s_wait_alu 0xfffe
	s_and_not1_b32 exec_lo, exec_lo, s49
	s_cbranch_execz .LBB66_77
.LBB66_75:                              ;   Parent Loop BB66_4 Depth=1
                                        ; =>  This Loop Header: Depth=2
                                        ;       Child Loop BB66_76 Depth 3
	v_mad_co_i64_i32 v[0:1], null, v11, s22, 0
	v_dual_mov_b32 v10, v6 :: v_dual_mov_b32 v9, v5
	s_mov_b64 s[2:3], s[54:55]
	s_mov_b64 s[68:69], s[56:57]
	s_mov_b32 s70, s48
	s_delay_alu instid0(VALU_DEP_2) | instskip(SKIP_1) | instid1(VALU_DEP_1)
	v_lshlrev_b64_e32 v[0:1], 4, v[0:1]
	s_wait_alu 0xfffe
	v_add_co_u32 v7, vcc_lo, s66, v0
	s_wait_alu 0xfffd
	s_delay_alu instid0(VALU_DEP_2)
	v_add_co_ci_u32_e64 v8, null, s67, v1, vcc_lo
	s_and_not1_b32 vcc_lo, exec_lo, s88
	global_load_b128 v[0:3], v[7:8], off offset:-16
	s_wait_alu 0xfffe
	s_cbranch_vccnz .LBB66_74
.LBB66_76:                              ;   Parent Loop BB66_4 Depth=1
                                        ;     Parent Loop BB66_75 Depth=2
                                        ; =>    This Inner Loop Header: Depth=3
	global_load_b128 v[12:15], v[9:10], off offset:-8
	s_clause 0x1
	global_load_b64 v[39:40], v38, s[68:69]
	global_load_b64 v[41:42], v38, s[2:3]
	s_add_co_i32 s70, s70, -1
	s_add_nc_u64 s[68:69], s[68:69], 8
	s_wait_alu 0xfffe
	s_cmp_eq_u32 s70, 0
	s_add_nc_u64 s[2:3], s[2:3], 8
	s_wait_loadcnt 0x1
	v_mul_f64_e32 v[43:44], v[39:40], v[12:13]
	v_mul_f64_e32 v[45:46], v[39:40], v[14:15]
	s_wait_loadcnt 0x0
	v_mul_f64_e32 v[47:48], v[41:42], v[12:13]
	v_mul_f64_e32 v[49:50], v[41:42], v[14:15]
	s_delay_alu instid0(VALU_DEP_4) | instskip(NEXT) | instid1(VALU_DEP_4)
	v_fma_f64 v[12:13], v[0:1], v[41:42], v[43:44]
	v_fma_f64 v[14:15], v[2:3], v[41:42], v[45:46]
	s_delay_alu instid0(VALU_DEP_4) | instskip(NEXT) | instid1(VALU_DEP_4)
	v_fma_f64 v[0:1], v[0:1], v[39:40], -v[47:48]
	v_fma_f64 v[2:3], v[2:3], v[39:40], -v[49:50]
	global_store_b128 v[9:10], v[12:15], off offset:-8
	v_add_co_u32 v9, vcc_lo, v9, 16
	s_wait_alu 0xfffd
	v_add_co_ci_u32_e64 v10, null, 0, v10, vcc_lo
	s_cbranch_scc0 .LBB66_76
	s_branch .LBB66_74
.LBB66_77:                              ;   in Loop: Header=BB66_4 Depth=1
	s_wait_alu 0xfffe
	s_or_b32 exec_lo, exec_lo, s23
.LBB66_78:                              ;   in Loop: Header=BB66_4 Depth=1
	s_mov_b32 s23, 0
.LBB66_79:                              ;   in Loop: Header=BB66_4 Depth=1
	s_wait_alu 0xfffe
	s_and_not1_b32 vcc_lo, exec_lo, s23
	s_wait_alu 0xfffe
	s_cbranch_vccnz .LBB66_86
; %bb.80:                               ;   in Loop: Header=BB66_4 Depth=1
	s_and_saveexec_b32 s23, s1
	s_cbranch_execz .LBB66_85
; %bb.81:                               ;   in Loop: Header=BB66_4 Depth=1
	v_add_co_u32 v5, vcc_lo, v32, s60
	s_wait_alu 0xfffd
	v_add_co_ci_u32_e64 v6, null, s61, v33, vcc_lo
	v_mov_b32_e32 v11, v4
	s_mov_b32 s49, 0
	s_branch .LBB66_83
.LBB66_82:                              ;   in Loop: Header=BB66_83 Depth=2
	v_add_nc_u32_e32 v11, s12, v11
	v_add_co_u32 v5, s2, v5, s52
	s_wait_alu 0xf1fe
	v_add_co_ci_u32_e64 v6, null, s53, v6, s2
	s_delay_alu instid0(VALU_DEP_3)
	v_cmp_le_i32_e32 vcc_lo, s76, v11
	s_wait_loadcnt 0x0
	global_store_b128 v[7:8], v[0:3], off
	s_or_b32 s49, vcc_lo, s49
	s_wait_alu 0xfffe
	s_and_not1_b32 exec_lo, exec_lo, s49
	s_cbranch_execz .LBB66_85
.LBB66_83:                              ;   Parent Loop BB66_4 Depth=1
                                        ; =>  This Loop Header: Depth=2
                                        ;       Child Loop BB66_84 Depth 3
	s_delay_alu instid0(VALU_DEP_1) | instskip(SKIP_4) | instid1(VALU_DEP_2)
	v_mad_co_i64_i32 v[0:1], null, v11, s22, 0
	v_dual_mov_b32 v10, v6 :: v_dual_mov_b32 v9, v5
	s_mov_b64 s[2:3], s[64:65]
	s_mov_b64 s[66:67], s[62:63]
	s_mov_b32 s68, s13
	v_lshlrev_b64_e32 v[0:1], 4, v[0:1]
	s_delay_alu instid0(VALU_DEP_1) | instskip(SKIP_1) | instid1(VALU_DEP_2)
	v_add_co_u32 v7, vcc_lo, s58, v0
	s_wait_alu 0xfffd
	v_add_co_ci_u32_e64 v8, null, s59, v1, vcc_lo
	s_and_not1_b32 vcc_lo, exec_lo, s88
	global_load_b128 v[0:3], v[7:8], off
	s_wait_alu 0xfffe
	s_cbranch_vccnz .LBB66_82
.LBB66_84:                              ;   Parent Loop BB66_4 Depth=1
                                        ;     Parent Loop BB66_83 Depth=2
                                        ; =>    This Inner Loop Header: Depth=3
	s_clause 0x1
	global_load_b64 v[39:40], v38, s[2:3]
	global_load_b64 v[41:42], v38, s[66:67]
	global_load_b128 v[12:15], v[9:10], off offset:-8
	s_add_co_i32 s68, s68, -1
	s_wait_alu 0xfffe
	s_add_nc_u64 s[66:67], s[66:67], -8
	s_cmp_lt_u32 s68, 3
	s_add_nc_u64 s[2:3], s[2:3], -8
	s_wait_loadcnt 0x2
	v_mul_f64_e32 v[43:44], v[0:1], v[39:40]
	v_mul_f64_e32 v[45:46], v[2:3], v[39:40]
	s_wait_loadcnt 0x0
	v_mul_f64_e32 v[47:48], v[39:40], v[12:13]
	v_mul_f64_e32 v[39:40], v[39:40], v[14:15]
	s_delay_alu instid0(VALU_DEP_4) | instskip(NEXT) | instid1(VALU_DEP_4)
	v_fma_f64 v[12:13], v[41:42], v[12:13], -v[43:44]
	v_fma_f64 v[14:15], v[41:42], v[14:15], -v[45:46]
	s_delay_alu instid0(VALU_DEP_4) | instskip(NEXT) | instid1(VALU_DEP_4)
	v_fma_f64 v[0:1], v[0:1], v[41:42], v[47:48]
	v_fma_f64 v[2:3], v[2:3], v[41:42], v[39:40]
	global_store_b128 v[9:10], v[12:15], off offset:-8
	v_add_co_u32 v9, vcc_lo, v9, -16
	s_wait_alu 0xfffd
	v_add_co_ci_u32_e64 v10, null, -1, v10, vcc_lo
	s_cbranch_scc0 .LBB66_84
	s_branch .LBB66_82
.LBB66_85:                              ;   in Loop: Header=BB66_4 Depth=1
	s_wait_alu 0xfffe
	s_or_b32 exec_lo, exec_lo, s23
.LBB66_86:                              ;   in Loop: Header=BB66_4 Depth=1
	s_mov_b32 s23, 0
.LBB66_87:                              ;   in Loop: Header=BB66_4 Depth=1
	s_wait_alu 0xfffe
	s_and_not1_b32 vcc_lo, exec_lo, s23
	s_wait_alu 0xfffe
	s_cbranch_vccnz .LBB66_94
; %bb.88:                               ;   in Loop: Header=BB66_4 Depth=1
	s_and_saveexec_b32 s23, s1
	s_cbranch_execz .LBB66_93
; %bb.89:                               ;   in Loop: Header=BB66_4 Depth=1
	v_add_co_u32 v5, vcc_lo, v34, s60
	s_wait_alu 0xfffd
	v_add_co_ci_u32_e64 v6, null, s61, v35, vcc_lo
	v_mov_b32_e32 v11, v4
	s_mov_b32 s49, 0
	s_branch .LBB66_91
.LBB66_90:                              ;   in Loop: Header=BB66_91 Depth=2
	v_add_nc_u32_e32 v11, s12, v11
	v_add_co_u32 v5, s2, v5, s52
	s_wait_alu 0xf1fe
	v_add_co_ci_u32_e64 v6, null, s53, v6, s2
	s_delay_alu instid0(VALU_DEP_3)
	v_cmp_le_i32_e32 vcc_lo, s76, v11
	s_wait_loadcnt 0x0
	global_store_b128 v[7:8], v[0:3], off
	s_or_b32 s49, vcc_lo, s49
	s_wait_alu 0xfffe
	s_and_not1_b32 exec_lo, exec_lo, s49
	s_cbranch_execz .LBB66_93
.LBB66_91:                              ;   Parent Loop BB66_4 Depth=1
                                        ; =>  This Loop Header: Depth=2
                                        ;       Child Loop BB66_92 Depth 3
	s_delay_alu instid0(VALU_DEP_1) | instskip(SKIP_4) | instid1(VALU_DEP_2)
	v_mad_co_i64_i32 v[0:1], null, v11, s22, 0
	v_dual_mov_b32 v10, v6 :: v_dual_mov_b32 v9, v5
	s_mov_b32 s68, s48
	s_mov_b64 s[2:3], s[56:57]
	s_mov_b64 s[66:67], s[54:55]
	v_lshlrev_b64_e32 v[0:1], 4, v[0:1]
	s_delay_alu instid0(VALU_DEP_1) | instskip(SKIP_1) | instid1(VALU_DEP_2)
	v_add_co_u32 v7, vcc_lo, s58, v0
	s_wait_alu 0xfffd
	v_add_co_ci_u32_e64 v8, null, s59, v1, vcc_lo
	s_and_not1_b32 vcc_lo, exec_lo, s88
	global_load_b128 v[0:3], v[7:8], off
	s_wait_alu 0xfffe
	s_cbranch_vccnz .LBB66_90
.LBB66_92:                              ;   Parent Loop BB66_4 Depth=1
                                        ;     Parent Loop BB66_91 Depth=2
                                        ; =>    This Inner Loop Header: Depth=3
	s_clause 0x1
	global_load_b64 v[39:40], v38, s[66:67]
	global_load_b64 v[41:42], v38, s[2:3]
	global_load_b128 v[12:15], v[9:10], off
	s_add_co_i32 s68, s68, -1
	s_wait_alu 0xfffe
	s_add_nc_u64 s[66:67], s[66:67], 8
	s_cmp_eq_u32 s68, 0
	s_add_nc_u64 s[2:3], s[2:3], 8
	s_wait_loadcnt 0x2
	v_mul_f64_e32 v[43:44], v[0:1], v[39:40]
	v_mul_f64_e32 v[45:46], v[2:3], v[39:40]
	s_wait_loadcnt 0x0
	v_mul_f64_e32 v[47:48], v[39:40], v[12:13]
	v_mul_f64_e32 v[39:40], v[39:40], v[14:15]
	s_delay_alu instid0(VALU_DEP_4) | instskip(NEXT) | instid1(VALU_DEP_4)
	v_fma_f64 v[12:13], v[41:42], v[12:13], -v[43:44]
	v_fma_f64 v[14:15], v[41:42], v[14:15], -v[45:46]
	s_delay_alu instid0(VALU_DEP_4) | instskip(NEXT) | instid1(VALU_DEP_4)
	v_fma_f64 v[0:1], v[0:1], v[41:42], v[47:48]
	v_fma_f64 v[2:3], v[2:3], v[41:42], v[39:40]
	global_store_b128 v[9:10], v[12:15], off
	v_add_co_u32 v9, vcc_lo, v9, 16
	s_wait_alu 0xfffd
	v_add_co_ci_u32_e64 v10, null, 0, v10, vcc_lo
	s_cbranch_scc0 .LBB66_92
	s_branch .LBB66_90
.LBB66_93:                              ;   in Loop: Header=BB66_4 Depth=1
	s_wait_alu 0xfffe
	s_or_b32 exec_lo, exec_lo, s23
.LBB66_94:                              ;   in Loop: Header=BB66_4 Depth=1
	s_mov_b32 s23, 0
.LBB66_95:                              ;   in Loop: Header=BB66_4 Depth=1
	s_wait_alu 0xfffe
	s_and_not1_b32 vcc_lo, exec_lo, s23
	s_wait_alu 0xfffe
	s_cbranch_vccnz .LBB66_102
; %bb.96:                               ;   in Loop: Header=BB66_4 Depth=1
	s_and_saveexec_b32 s23, s1
	s_cbranch_execz .LBB66_101
; %bb.97:                               ;   in Loop: Header=BB66_4 Depth=1
	v_add_co_u32 v5, vcc_lo, v26, s60
	s_wait_alu 0xfffd
	v_add_co_ci_u32_e64 v6, null, s61, v27, vcc_lo
	v_mov_b32_e32 v11, v4
	s_lshl_b64 s[2:3], s[34:35], 4
	s_mov_b32 s49, 0
	s_wait_alu 0xfffe
	s_add_nc_u64 s[66:67], s[58:59], s[2:3]
	s_branch .LBB66_99
.LBB66_98:                              ;   in Loop: Header=BB66_99 Depth=2
	v_add_nc_u32_e32 v11, s12, v11
	v_add_co_u32 v7, vcc_lo, s58, v7
	s_wait_alu 0xfffd
	v_add_co_ci_u32_e64 v8, null, s59, v8, vcc_lo
	s_delay_alu instid0(VALU_DEP_3)
	v_cmp_le_i32_e32 vcc_lo, s76, v11
	v_add_co_u32 v5, s2, v5, s52
	s_wait_alu 0xf1fe
	v_add_co_ci_u32_e64 v6, null, s53, v6, s2
	s_or_b32 s49, vcc_lo, s49
	s_wait_loadcnt 0x0
	global_store_b128 v[7:8], v[0:3], off
	s_wait_alu 0xfffe
	s_and_not1_b32 exec_lo, exec_lo, s49
	s_cbranch_execz .LBB66_101
.LBB66_99:                              ;   Parent Loop BB66_4 Depth=1
                                        ; =>  This Loop Header: Depth=2
                                        ;       Child Loop BB66_100 Depth 3
	v_mad_co_i64_i32 v[0:1], null, v11, s22, 0
	v_dual_mov_b32 v10, v6 :: v_dual_mov_b32 v9, v5
	s_mov_b64 s[2:3], s[64:65]
	s_mov_b64 s[68:69], s[62:63]
	s_mov_b32 s70, s48
	s_delay_alu instid0(VALU_DEP_2) | instskip(SKIP_1) | instid1(VALU_DEP_1)
	v_lshlrev_b64_e32 v[7:8], 4, v[0:1]
	s_wait_alu 0xfffe
	v_add_co_u32 v0, vcc_lo, s66, v7
	s_wait_alu 0xfffd
	s_delay_alu instid0(VALU_DEP_2)
	v_add_co_ci_u32_e64 v1, null, s67, v8, vcc_lo
	s_and_not1_b32 vcc_lo, exec_lo, s88
	global_load_b128 v[0:3], v[0:1], off offset:-16
	s_wait_alu 0xfffe
	s_cbranch_vccnz .LBB66_98
.LBB66_100:                             ;   Parent Loop BB66_4 Depth=1
                                        ;     Parent Loop BB66_99 Depth=2
                                        ; =>    This Inner Loop Header: Depth=3
	global_load_b128 v[12:15], v[9:10], off
	s_clause 0x1
	global_load_b64 v[39:40], v38, s[2:3]
	global_load_b64 v[41:42], v38, s[68:69]
	s_add_co_i32 s70, s70, -1
	s_add_nc_u64 s[68:69], s[68:69], -8
	s_wait_alu 0xfffe
	s_cmp_eq_u32 s70, 0
	s_add_nc_u64 s[2:3], s[2:3], -8
	s_wait_loadcnt 0x1
	v_mul_f64_e32 v[43:44], v[39:40], v[12:13]
	v_mul_f64_e32 v[45:46], v[39:40], v[14:15]
	s_wait_loadcnt 0x0
	v_mul_f64_e32 v[47:48], v[41:42], v[12:13]
	v_mul_f64_e32 v[49:50], v[41:42], v[14:15]
	s_delay_alu instid0(VALU_DEP_4) | instskip(NEXT) | instid1(VALU_DEP_4)
	v_fma_f64 v[12:13], v[0:1], v[41:42], -v[43:44]
	v_fma_f64 v[14:15], v[2:3], v[41:42], -v[45:46]
	s_delay_alu instid0(VALU_DEP_4) | instskip(NEXT) | instid1(VALU_DEP_4)
	v_fma_f64 v[0:1], v[0:1], v[39:40], v[47:48]
	v_fma_f64 v[2:3], v[2:3], v[39:40], v[49:50]
	global_store_b128 v[9:10], v[12:15], off offset:16
	v_add_co_u32 v9, vcc_lo, v9, -16
	s_wait_alu 0xfffd
	v_add_co_ci_u32_e64 v10, null, -1, v10, vcc_lo
	s_cbranch_scc0 .LBB66_100
	s_branch .LBB66_98
.LBB66_101:                             ;   in Loop: Header=BB66_4 Depth=1
	s_wait_alu 0xfffe
	s_or_b32 exec_lo, exec_lo, s23
.LBB66_102:                             ;   in Loop: Header=BB66_4 Depth=1
	s_cbranch_execnz .LBB66_3
.LBB66_103:                             ;   in Loop: Header=BB66_4 Depth=1
	s_and_saveexec_b32 s23, s1
	s_cbranch_execz .LBB66_2
; %bb.104:                              ;   in Loop: Header=BB66_4 Depth=1
	v_add_co_u32 v5, vcc_lo, v36, s60
	s_wait_alu 0xfffd
	v_add_co_ci_u32_e64 v6, null, s61, v37, vcc_lo
	v_mov_b32_e32 v11, v4
	s_lshl_b64 s[2:3], s[34:35], 4
	s_mov_b32 s49, 0
	s_wait_alu 0xfffe
	s_add_nc_u64 s[60:61], s[58:59], s[2:3]
	s_branch .LBB66_106
.LBB66_105:                             ;   in Loop: Header=BB66_106 Depth=2
	v_add_nc_u32_e32 v11, s12, v11
	v_add_co_u32 v7, vcc_lo, s60, v7
	s_wait_alu 0xfffd
	v_add_co_ci_u32_e64 v8, null, s61, v8, vcc_lo
	s_delay_alu instid0(VALU_DEP_3)
	v_cmp_le_i32_e32 vcc_lo, s76, v11
	v_add_co_u32 v5, s2, v5, s52
	s_wait_alu 0xf1fe
	v_add_co_ci_u32_e64 v6, null, s53, v6, s2
	s_or_b32 s49, vcc_lo, s49
	s_wait_loadcnt 0x0
	global_store_b128 v[7:8], v[0:3], off offset:-16
	s_wait_alu 0xfffe
	s_and_not1_b32 exec_lo, exec_lo, s49
	s_cbranch_execz .LBB66_2
.LBB66_106:                             ;   Parent Loop BB66_4 Depth=1
                                        ; =>  This Loop Header: Depth=2
                                        ;       Child Loop BB66_107 Depth 3
	v_mad_co_i64_i32 v[0:1], null, v11, s22, 0
	v_dual_mov_b32 v10, v6 :: v_dual_mov_b32 v9, v5
	s_mov_b64 s[2:3], s[56:57]
	s_mov_b64 s[62:63], s[54:55]
	s_mov_b32 s64, s48
	s_delay_alu instid0(VALU_DEP_2) | instskip(NEXT) | instid1(VALU_DEP_1)
	v_lshlrev_b64_e32 v[7:8], 4, v[0:1]
	v_add_co_u32 v0, vcc_lo, s58, v7
	s_wait_alu 0xfffd
	s_delay_alu instid0(VALU_DEP_2)
	v_add_co_ci_u32_e64 v1, null, s59, v8, vcc_lo
	s_and_not1_b32 vcc_lo, exec_lo, s88
	global_load_b128 v[0:3], v[0:1], off
	s_wait_alu 0xfffe
	s_cbranch_vccnz .LBB66_105
.LBB66_107:                             ;   Parent Loop BB66_4 Depth=1
                                        ;     Parent Loop BB66_106 Depth=2
                                        ; =>    This Inner Loop Header: Depth=3
	global_load_b128 v[12:15], v[9:10], off offset:-8
	s_clause 0x1
	global_load_b64 v[39:40], v38, s[62:63]
	global_load_b64 v[43:44], v38, s[2:3]
	s_add_co_i32 s64, s64, -1
	s_add_nc_u64 s[62:63], s[62:63], 8
	s_cmp_eq_u32 s64, 0
	s_wait_alu 0xfffe
	s_add_nc_u64 s[2:3], s[2:3], 8
	s_wait_loadcnt 0x1
	v_mul_f64_e32 v[41:42], v[39:40], v[12:13]
	v_mul_f64_e32 v[45:46], v[39:40], v[14:15]
	v_mul_f64_e32 v[47:48], v[0:1], v[39:40]
	v_mul_f64_e32 v[49:50], v[2:3], v[39:40]
	s_wait_loadcnt 0x0
	s_delay_alu instid0(VALU_DEP_4) | instskip(NEXT) | instid1(VALU_DEP_4)
	v_fma_f64 v[39:40], v[0:1], v[43:44], v[41:42]
	v_fma_f64 v[41:42], v[2:3], v[43:44], v[45:46]
	s_delay_alu instid0(VALU_DEP_4) | instskip(NEXT) | instid1(VALU_DEP_4)
	v_fma_f64 v[0:1], v[43:44], v[12:13], -v[47:48]
	v_fma_f64 v[2:3], v[43:44], v[14:15], -v[49:50]
	global_store_b128 v[9:10], v[39:42], off offset:-24
	v_add_co_u32 v9, vcc_lo, v9, 16
	s_wait_alu 0xfffd
	v_add_co_ci_u32_e64 v10, null, 0, v10, vcc_lo
	s_cbranch_scc0 .LBB66_107
	s_branch .LBB66_105
.LBB66_108:
	s_endpgm
	.section	.rodata,"a",@progbits
	.p2align	6, 0x0
	.amdhsa_kernel _ZN9rocsolver6v33100L11lasr_kernelI19rocblas_complex_numIdEdPS3_iEEv13rocblas_side_14rocblas_pivot_15rocblas_direct_T2_S8_PT0_lSA_lT1_lS8_lS8_
		.amdhsa_group_segment_fixed_size 0
		.amdhsa_private_segment_fixed_size 0
		.amdhsa_kernarg_size 352
		.amdhsa_user_sgpr_count 2
		.amdhsa_user_sgpr_dispatch_ptr 0
		.amdhsa_user_sgpr_queue_ptr 0
		.amdhsa_user_sgpr_kernarg_segment_ptr 1
		.amdhsa_user_sgpr_dispatch_id 0
		.amdhsa_user_sgpr_private_segment_size 0
		.amdhsa_wavefront_size32 1
		.amdhsa_uses_dynamic_stack 0
		.amdhsa_enable_private_segment 0
		.amdhsa_system_sgpr_workgroup_id_x 1
		.amdhsa_system_sgpr_workgroup_id_y 0
		.amdhsa_system_sgpr_workgroup_id_z 1
		.amdhsa_system_sgpr_workgroup_info 0
		.amdhsa_system_vgpr_workitem_id 0
		.amdhsa_next_free_vgpr 55
		.amdhsa_next_free_sgpr 90
		.amdhsa_reserve_vcc 1
		.amdhsa_float_round_mode_32 0
		.amdhsa_float_round_mode_16_64 0
		.amdhsa_float_denorm_mode_32 3
		.amdhsa_float_denorm_mode_16_64 3
		.amdhsa_fp16_overflow 0
		.amdhsa_workgroup_processor_mode 1
		.amdhsa_memory_ordered 1
		.amdhsa_forward_progress 1
		.amdhsa_inst_pref_size 47
		.amdhsa_round_robin_scheduling 0
		.amdhsa_exception_fp_ieee_invalid_op 0
		.amdhsa_exception_fp_denorm_src 0
		.amdhsa_exception_fp_ieee_div_zero 0
		.amdhsa_exception_fp_ieee_overflow 0
		.amdhsa_exception_fp_ieee_underflow 0
		.amdhsa_exception_fp_ieee_inexact 0
		.amdhsa_exception_int_div_zero 0
	.end_amdhsa_kernel
	.section	.text._ZN9rocsolver6v33100L11lasr_kernelI19rocblas_complex_numIdEdPS3_iEEv13rocblas_side_14rocblas_pivot_15rocblas_direct_T2_S8_PT0_lSA_lT1_lS8_lS8_,"axG",@progbits,_ZN9rocsolver6v33100L11lasr_kernelI19rocblas_complex_numIdEdPS3_iEEv13rocblas_side_14rocblas_pivot_15rocblas_direct_T2_S8_PT0_lSA_lT1_lS8_lS8_,comdat
.Lfunc_end66:
	.size	_ZN9rocsolver6v33100L11lasr_kernelI19rocblas_complex_numIdEdPS3_iEEv13rocblas_side_14rocblas_pivot_15rocblas_direct_T2_S8_PT0_lSA_lT1_lS8_lS8_, .Lfunc_end66-_ZN9rocsolver6v33100L11lasr_kernelI19rocblas_complex_numIdEdPS3_iEEv13rocblas_side_14rocblas_pivot_15rocblas_direct_T2_S8_PT0_lSA_lT1_lS8_lS8_
                                        ; -- End function
	.set _ZN9rocsolver6v33100L11lasr_kernelI19rocblas_complex_numIdEdPS3_iEEv13rocblas_side_14rocblas_pivot_15rocblas_direct_T2_S8_PT0_lSA_lT1_lS8_lS8_.num_vgpr, 55
	.set _ZN9rocsolver6v33100L11lasr_kernelI19rocblas_complex_numIdEdPS3_iEEv13rocblas_side_14rocblas_pivot_15rocblas_direct_T2_S8_PT0_lSA_lT1_lS8_lS8_.num_agpr, 0
	.set _ZN9rocsolver6v33100L11lasr_kernelI19rocblas_complex_numIdEdPS3_iEEv13rocblas_side_14rocblas_pivot_15rocblas_direct_T2_S8_PT0_lSA_lT1_lS8_lS8_.numbered_sgpr, 90
	.set _ZN9rocsolver6v33100L11lasr_kernelI19rocblas_complex_numIdEdPS3_iEEv13rocblas_side_14rocblas_pivot_15rocblas_direct_T2_S8_PT0_lSA_lT1_lS8_lS8_.num_named_barrier, 0
	.set _ZN9rocsolver6v33100L11lasr_kernelI19rocblas_complex_numIdEdPS3_iEEv13rocblas_side_14rocblas_pivot_15rocblas_direct_T2_S8_PT0_lSA_lT1_lS8_lS8_.private_seg_size, 0
	.set _ZN9rocsolver6v33100L11lasr_kernelI19rocblas_complex_numIdEdPS3_iEEv13rocblas_side_14rocblas_pivot_15rocblas_direct_T2_S8_PT0_lSA_lT1_lS8_lS8_.uses_vcc, 1
	.set _ZN9rocsolver6v33100L11lasr_kernelI19rocblas_complex_numIdEdPS3_iEEv13rocblas_side_14rocblas_pivot_15rocblas_direct_T2_S8_PT0_lSA_lT1_lS8_lS8_.uses_flat_scratch, 0
	.set _ZN9rocsolver6v33100L11lasr_kernelI19rocblas_complex_numIdEdPS3_iEEv13rocblas_side_14rocblas_pivot_15rocblas_direct_T2_S8_PT0_lSA_lT1_lS8_lS8_.has_dyn_sized_stack, 0
	.set _ZN9rocsolver6v33100L11lasr_kernelI19rocblas_complex_numIdEdPS3_iEEv13rocblas_side_14rocblas_pivot_15rocblas_direct_T2_S8_PT0_lSA_lT1_lS8_lS8_.has_recursion, 0
	.set _ZN9rocsolver6v33100L11lasr_kernelI19rocblas_complex_numIdEdPS3_iEEv13rocblas_side_14rocblas_pivot_15rocblas_direct_T2_S8_PT0_lSA_lT1_lS8_lS8_.has_indirect_call, 0
	.section	.AMDGPU.csdata,"",@progbits
; Kernel info:
; codeLenInByte = 5920
; TotalNumSgprs: 92
; NumVgprs: 55
; ScratchSize: 0
; MemoryBound: 0
; FloatMode: 240
; IeeeMode: 1
; LDSByteSize: 0 bytes/workgroup (compile time only)
; SGPRBlocks: 0
; VGPRBlocks: 6
; NumSGPRsForWavesPerEU: 92
; NumVGPRsForWavesPerEU: 55
; Occupancy: 16
; WaveLimiterHint : 0
; COMPUTE_PGM_RSRC2:SCRATCH_EN: 0
; COMPUTE_PGM_RSRC2:USER_SGPR: 2
; COMPUTE_PGM_RSRC2:TRAP_HANDLER: 0
; COMPUTE_PGM_RSRC2:TGID_X_EN: 1
; COMPUTE_PGM_RSRC2:TGID_Y_EN: 0
; COMPUTE_PGM_RSRC2:TGID_Z_EN: 1
; COMPUTE_PGM_RSRC2:TIDIG_COMP_CNT: 0
	.section	.text._ZN9rocsolver6v33100L11swap_kernelI19rocblas_complex_numIdEiEEvT0_PT_S4_S6_S4_,"axG",@progbits,_ZN9rocsolver6v33100L11swap_kernelI19rocblas_complex_numIdEiEEvT0_PT_S4_S6_S4_,comdat
	.globl	_ZN9rocsolver6v33100L11swap_kernelI19rocblas_complex_numIdEiEEvT0_PT_S4_S6_S4_ ; -- Begin function _ZN9rocsolver6v33100L11swap_kernelI19rocblas_complex_numIdEiEEvT0_PT_S4_S6_S4_
	.p2align	8
	.type	_ZN9rocsolver6v33100L11swap_kernelI19rocblas_complex_numIdEiEEvT0_PT_S4_S6_S4_,@function
_ZN9rocsolver6v33100L11swap_kernelI19rocblas_complex_numIdEiEEvT0_PT_S4_S6_S4_: ; @_ZN9rocsolver6v33100L11swap_kernelI19rocblas_complex_numIdEiEEvT0_PT_S4_S6_S4_
; %bb.0:
	s_load_b32 s12, s[2:3], 0x0
	s_wait_kmcnt 0x0
	s_cmp_lt_i32 s12, 1
	s_cbranch_scc1 .LBB67_10
; %bb.1:
	s_load_b64 s[0:1], s[0:1], 0x4
	s_clause 0x3
	s_load_b32 s7, s[2:3], 0x34
	s_load_b96 s[4:6], s[2:3], 0x8
	s_load_b96 s[8:10], s[2:3], 0x18
	s_load_b32 s2, s[2:3], 0x28
	v_and_b32_e32 v2, 0x3ff, v0
	v_bfe_u32 v3, v0, 10, 10
	v_bfe_u32 v4, v0, 20, 10
	s_wait_kmcnt 0x0
	s_lshr_b32 s0, s0, 16
	s_and_b32 s3, s7, 0xffff
	s_mul_i32 s0, s0, s1
	v_mad_co_u64_u32 v[0:1], null, ttmp9, s3, v[2:3]
	v_mul_lo_u32 v1, s0, v2
	s_cmp_eq_u32 s6, 1
	v_mul_u32_u24_e32 v2, s1, v3
	s_cselect_b32 s0, -1, 0
	s_cmp_eq_u32 s10, 1
	s_mul_i32 s2, s2, s3
	s_cselect_b32 s1, -1, 0
	s_wait_alu 0xfffe
	s_and_b32 s1, s0, s1
	v_cmp_gt_i32_e64 s0, s12, v0
	v_add3_u32 v5, v1, v2, v4
	s_wait_alu 0xfffe
	s_and_b32 vcc_lo, exec_lo, s1
	s_mov_b32 s1, -1
	s_cbranch_vccnz .LBB67_6
; %bb.2:
	s_and_saveexec_b32 s13, s0
	s_cbranch_execz .LBB67_5
; %bb.3:
	v_mad_co_i64_i32 v[1:2], null, s10, v0, 0
	v_mad_co_i64_i32 v[3:4], null, s6, v0, 0
	s_ashr_i32 s7, s6, 31
	s_ashr_i32 s11, s10, 31
	;; [unrolled: 1-line block ×3, first 2 shown]
	v_dual_mov_b32 v7, v0 :: v_dual_lshlrev_b32 v6, 4, v5
	v_lshlrev_b64_e32 v[1:2], 4, v[1:2]
	v_lshlrev_b64_e32 v[3:4], 4, v[3:4]
	s_wait_alu 0xfffe
	s_mul_u64 s[10:11], s[10:11], s[2:3]
	s_mul_u64 s[14:15], s[6:7], s[2:3]
	s_wait_alu 0xfffe
	s_lshl_b64 s[6:7], s[10:11], 4
	s_lshl_b64 s[10:11], s[14:15], 4
	v_add_co_u32 v1, vcc_lo, s8, v1
	s_delay_alu instid0(VALU_DEP_1)
	v_add_co_ci_u32_e64 v2, null, s9, v2, vcc_lo
	v_add_co_u32 v3, vcc_lo, s4, v3
	s_wait_alu 0xfffd
	v_add_co_ci_u32_e64 v4, null, s5, v4, vcc_lo
	s_mov_b32 s3, 0
.LBB67_4:                               ; =>This Inner Loop Header: Depth=1
	global_load_b128 v[8:11], v[3:4], off
	global_load_b128 v[12:15], v[1:2], off
	v_add_nc_u32_e32 v7, s2, v7
	s_wait_loadcnt 0x1
	global_store_b128 v[1:2], v[8:11], off
	s_wait_loadcnt 0x0
	global_store_b128 v[3:4], v[12:15], off
	s_wait_alu 0xfffe
	v_add_co_u32 v1, s1, v1, s6
	v_cmp_le_i32_e32 vcc_lo, s12, v7
	s_wait_alu 0xf1ff
	v_add_co_ci_u32_e64 v2, null, s7, v2, s1
	v_add_co_u32 v3, s1, v3, s10
	s_wait_alu 0xf1ff
	v_add_co_ci_u32_e64 v4, null, s11, v4, s1
	s_or_b32 s3, vcc_lo, s3
	ds_store_2addr_b64 v6, v[12:13], v[14:15] offset1:1
	s_wait_alu 0xfffe
	s_and_not1_b32 exec_lo, exec_lo, s3
	s_cbranch_execnz .LBB67_4
.LBB67_5:
	s_wait_alu 0xfffe
	s_or_b32 exec_lo, exec_lo, s13
	s_mov_b32 s1, 0
.LBB67_6:
	s_wait_alu 0xfffe
	s_and_not1_b32 vcc_lo, exec_lo, s1
	s_wait_alu 0xfffe
	s_cbranch_vccnz .LBB67_10
; %bb.7:
	s_and_saveexec_b32 s1, s0
	s_cbranch_execz .LBB67_10
; %bb.8:
	v_ashrrev_i32_e32 v1, 31, v0
	v_lshl_add_u32 v3, v5, 4, 0x4000
	s_ashr_i32 s3, s2, 31
	s_mov_b32 s1, 0
	s_wait_alu 0xfffe
	s_lshl_b64 s[6:7], s[2:3], 4
	v_lshlrev_b64_e32 v[1:2], 4, v[0:1]
.LBB67_9:                               ; =>This Inner Loop Header: Depth=1
	s_delay_alu instid0(VALU_DEP_1) | instskip(SKIP_1) | instid1(VALU_DEP_2)
	v_add_co_u32 v12, vcc_lo, s8, v1
	s_wait_alu 0xfffd
	v_add_co_ci_u32_e64 v13, null, s9, v2, vcc_lo
	v_add_co_u32 v14, vcc_lo, s4, v1
	s_wait_alu 0xfffd
	v_add_co_ci_u32_e64 v15, null, s5, v2, vcc_lo
	global_load_b128 v[4:7], v[12:13], off
	global_load_b128 v[8:11], v[14:15], off
	v_add_nc_u32_e32 v0, s2, v0
	s_wait_alu 0xfffe
	v_add_co_u32 v1, s0, v1, s6
	s_wait_alu 0xf1ff
	v_add_co_ci_u32_e64 v2, null, s7, v2, s0
	v_cmp_le_i32_e32 vcc_lo, s12, v0
	s_or_b32 s1, vcc_lo, s1
	s_wait_loadcnt 0x1
	ds_store_2addr_b64 v3, v[4:5], v[6:7] offset1:1
	s_wait_loadcnt 0x0
	global_store_b128 v[12:13], v[8:11], off
	global_store_b128 v[14:15], v[4:7], off
	s_wait_alu 0xfffe
	s_and_not1_b32 exec_lo, exec_lo, s1
	s_cbranch_execnz .LBB67_9
.LBB67_10:
	s_endpgm
	.section	.rodata,"a",@progbits
	.p2align	6, 0x0
	.amdhsa_kernel _ZN9rocsolver6v33100L11swap_kernelI19rocblas_complex_numIdEiEEvT0_PT_S4_S6_S4_
		.amdhsa_group_segment_fixed_size 32768
		.amdhsa_private_segment_fixed_size 0
		.amdhsa_kernarg_size 296
		.amdhsa_user_sgpr_count 4
		.amdhsa_user_sgpr_dispatch_ptr 1
		.amdhsa_user_sgpr_queue_ptr 0
		.amdhsa_user_sgpr_kernarg_segment_ptr 1
		.amdhsa_user_sgpr_dispatch_id 0
		.amdhsa_user_sgpr_private_segment_size 0
		.amdhsa_wavefront_size32 1
		.amdhsa_uses_dynamic_stack 0
		.amdhsa_enable_private_segment 0
		.amdhsa_system_sgpr_workgroup_id_x 1
		.amdhsa_system_sgpr_workgroup_id_y 0
		.amdhsa_system_sgpr_workgroup_id_z 0
		.amdhsa_system_sgpr_workgroup_info 0
		.amdhsa_system_vgpr_workitem_id 2
		.amdhsa_next_free_vgpr 16
		.amdhsa_next_free_sgpr 16
		.amdhsa_reserve_vcc 1
		.amdhsa_float_round_mode_32 0
		.amdhsa_float_round_mode_16_64 0
		.amdhsa_float_denorm_mode_32 3
		.amdhsa_float_denorm_mode_16_64 3
		.amdhsa_fp16_overflow 0
		.amdhsa_workgroup_processor_mode 1
		.amdhsa_memory_ordered 1
		.amdhsa_forward_progress 1
		.amdhsa_inst_pref_size 6
		.amdhsa_round_robin_scheduling 0
		.amdhsa_exception_fp_ieee_invalid_op 0
		.amdhsa_exception_fp_denorm_src 0
		.amdhsa_exception_fp_ieee_div_zero 0
		.amdhsa_exception_fp_ieee_overflow 0
		.amdhsa_exception_fp_ieee_underflow 0
		.amdhsa_exception_fp_ieee_inexact 0
		.amdhsa_exception_int_div_zero 0
	.end_amdhsa_kernel
	.section	.text._ZN9rocsolver6v33100L11swap_kernelI19rocblas_complex_numIdEiEEvT0_PT_S4_S6_S4_,"axG",@progbits,_ZN9rocsolver6v33100L11swap_kernelI19rocblas_complex_numIdEiEEvT0_PT_S4_S6_S4_,comdat
.Lfunc_end67:
	.size	_ZN9rocsolver6v33100L11swap_kernelI19rocblas_complex_numIdEiEEvT0_PT_S4_S6_S4_, .Lfunc_end67-_ZN9rocsolver6v33100L11swap_kernelI19rocblas_complex_numIdEiEEvT0_PT_S4_S6_S4_
                                        ; -- End function
	.set _ZN9rocsolver6v33100L11swap_kernelI19rocblas_complex_numIdEiEEvT0_PT_S4_S6_S4_.num_vgpr, 16
	.set _ZN9rocsolver6v33100L11swap_kernelI19rocblas_complex_numIdEiEEvT0_PT_S4_S6_S4_.num_agpr, 0
	.set _ZN9rocsolver6v33100L11swap_kernelI19rocblas_complex_numIdEiEEvT0_PT_S4_S6_S4_.numbered_sgpr, 16
	.set _ZN9rocsolver6v33100L11swap_kernelI19rocblas_complex_numIdEiEEvT0_PT_S4_S6_S4_.num_named_barrier, 0
	.set _ZN9rocsolver6v33100L11swap_kernelI19rocblas_complex_numIdEiEEvT0_PT_S4_S6_S4_.private_seg_size, 0
	.set _ZN9rocsolver6v33100L11swap_kernelI19rocblas_complex_numIdEiEEvT0_PT_S4_S6_S4_.uses_vcc, 1
	.set _ZN9rocsolver6v33100L11swap_kernelI19rocblas_complex_numIdEiEEvT0_PT_S4_S6_S4_.uses_flat_scratch, 0
	.set _ZN9rocsolver6v33100L11swap_kernelI19rocblas_complex_numIdEiEEvT0_PT_S4_S6_S4_.has_dyn_sized_stack, 0
	.set _ZN9rocsolver6v33100L11swap_kernelI19rocblas_complex_numIdEiEEvT0_PT_S4_S6_S4_.has_recursion, 0
	.set _ZN9rocsolver6v33100L11swap_kernelI19rocblas_complex_numIdEiEEvT0_PT_S4_S6_S4_.has_indirect_call, 0
	.section	.AMDGPU.csdata,"",@progbits
; Kernel info:
; codeLenInByte = 672
; TotalNumSgprs: 18
; NumVgprs: 16
; ScratchSize: 0
; MemoryBound: 0
; FloatMode: 240
; IeeeMode: 1
; LDSByteSize: 32768 bytes/workgroup (compile time only)
; SGPRBlocks: 0
; VGPRBlocks: 1
; NumSGPRsForWavesPerEU: 18
; NumVGPRsForWavesPerEU: 16
; Occupancy: 16
; WaveLimiterHint : 0
; COMPUTE_PGM_RSRC2:SCRATCH_EN: 0
; COMPUTE_PGM_RSRC2:USER_SGPR: 4
; COMPUTE_PGM_RSRC2:TRAP_HANDLER: 0
; COMPUTE_PGM_RSRC2:TGID_X_EN: 1
; COMPUTE_PGM_RSRC2:TGID_Y_EN: 0
; COMPUTE_PGM_RSRC2:TGID_Z_EN: 0
; COMPUTE_PGM_RSRC2:TIDIG_COMP_CNT: 2
	.section	.text._ZN9rocsolver6v33100L12steqr_kernelI19rocblas_complex_numIdEdPS3_EEviPT0_lS6_lT1_iilPiS6_iS5_S5_S5_,"axG",@progbits,_ZN9rocsolver6v33100L12steqr_kernelI19rocblas_complex_numIdEdPS3_EEviPT0_lS6_lT1_iilPiS6_iS5_S5_S5_,comdat
	.globl	_ZN9rocsolver6v33100L12steqr_kernelI19rocblas_complex_numIdEdPS3_EEviPT0_lS6_lT1_iilPiS6_iS5_S5_S5_ ; -- Begin function _ZN9rocsolver6v33100L12steqr_kernelI19rocblas_complex_numIdEdPS3_EEviPT0_lS6_lT1_iilPiS6_iS5_S5_S5_
	.p2align	8
	.type	_ZN9rocsolver6v33100L12steqr_kernelI19rocblas_complex_numIdEdPS3_EEviPT0_lS6_lT1_iilPiS6_iS5_S5_S5_,@function
_ZN9rocsolver6v33100L12steqr_kernelI19rocblas_complex_numIdEdPS3_EEviPT0_lS6_lT1_iilPiS6_iS5_S5_S5_: ; @_ZN9rocsolver6v33100L12steqr_kernelI19rocblas_complex_numIdEdPS3_EEviPT0_lS6_lT1_iilPiS6_iS5_S5_S5_
; %bb.0:
	s_clause 0x1
	s_load_b32 s4, s[2:3], 0x7c
	s_load_b32 s7, s[2:3], 0x70
	v_and_b32_e32 v5, 0x3ff, v0
	s_mov_b32 s36, ttmp7
	s_wait_kmcnt 0x0
	s_and_b32 s24, s4, 0xffff
	s_delay_alu instid0(VALU_DEP_1) | instid1(SALU_CYCLE_1)
	v_mad_co_u64_u32 v[6:7], null, ttmp9, s24, v[5:6]
	s_delay_alu instid0(VALU_DEP_1)
	v_cmp_eq_u32_e64 s4, 0, v6
	s_and_saveexec_b32 s5, s4
; %bb.1:
	v_mov_b32_e32 v1, 0
	ds_store_2addr_b32 v1, v1, v1 offset0:6 offset1:9
; %bb.2:
	s_or_b32 exec_lo, exec_lo, s5
	v_mov_b32_e32 v8, 0
	s_load_b32 s6, s[2:3], 0x0
	s_wait_dscnt 0x0
	s_barrier_signal -1
	s_barrier_wait -1
	global_inv scope:SCOPE_SE
	ds_load_2addr_b32 v[1:2], v8 offset0:6 offset1:9
	s_clause 0x2
	s_load_b96 s[28:30], s[2:3], 0x48
	s_load_b256 s[16:23], s[2:3], 0x8
	s_load_b256 s[8:15], s[2:3], 0x28
	s_ashr_i32 s37, s36, 31
	s_mul_i32 s38, s7, s24
	s_wait_kmcnt 0x0
	s_add_co_i32 s40, s6, -1
	s_mul_u64 s[18:19], s[18:19], s[36:37]
	s_wait_dscnt 0x0
	v_cmp_gt_i32_e32 vcc_lo, s6, v1
	v_cmp_gt_i32_e64 s5, s30, v2
	v_readfirstlane_b32 s80, v1
	s_lshl_b64 s[34:35], s[18:19], 3
	s_mul_u64 s[42:43], s[22:23], s[36:37]
	s_add_nc_u64 s[18:19], s[16:17], s[34:35]
	s_and_b32 s5, vcc_lo, s5
	s_ashr_i32 s23, s10, 31
	s_mov_b32 s22, s10
	s_mul_u64 s[12:13], s[12:13], s[36:37]
	s_and_not1_b32 vcc_lo, exec_lo, s5
	s_cbranch_vccnz .LBB68_231
; %bb.3:
	s_clause 0x1
	s_load_b128 s[24:27], s[2:3], 0x58
	s_load_b64 s[44:45], s[2:3], 0x68
	v_ashrrev_i32_e32 v7, 31, v6
	s_lshl_b32 s46, s6, 1
	s_lshl_b64 s[2:3], s[42:43], 3
	s_ashr_i32 s47, s46, 31
	s_lshl_b64 s[64:65], s[12:13], 4
	s_mul_u64 s[48:49], s[46:47], s[36:37]
	s_add_nc_u64 s[46:47], s[20:21], s[2:3]
	s_add_nc_u64 s[2:3], s[8:9], s[64:65]
	s_lshl_b64 s[66:67], s[22:23], 4
	v_lshlrev_b64_e32 v[1:2], 4, v[6:7]
	s_lshl_b64 s[60:61], s[48:49], 3
	s_add_nc_u64 s[48:49], s[2:3], s[66:67]
	s_add_nc_u64 s[66:67], s[64:65], s[66:67]
	s_ashr_i32 s7, s6, 31
	s_add_nc_u64 s[66:67], s[8:9], s[66:67]
	s_wait_alu 0xfffe
	s_lshl_b64 s[56:57], s[6:7], 3
	v_add_co_u32 v1, vcc_lo, s66, v1
	s_wait_kmcnt 0x0
	v_mul_f64_e64 v[10:11], s[24:25], s[24:25]
	v_add_co_ci_u32_e64 v2, null, s67, v2, vcc_lo
	s_delay_alu instid0(VALU_DEP_3)
	v_add_co_u32 v7, vcc_lo, v1, 8
	s_add_nc_u64 s[50:51], s[28:29], s[60:61]
	s_ashr_i32 s53, s11, 31
	s_mov_b32 s52, s11
	s_add_nc_u64 s[60:61], s[60:61], s[56:57]
	v_cmp_gt_i32_e64 s2, s6, v6
	s_wait_alu 0xfffd
	v_add_co_ci_u32_e64 v57, null, 0, v2, vcc_lo
	s_add_nc_u64 s[54:55], s[16:17], s[34:35]
	s_ashr_i32 s39, s38, 31
	s_add_nc_u64 s[60:61], s[28:29], s[60:61]
	s_lshl_b64 s[68:69], s[52:53], 4
	s_mov_b32 s78, 0x667f3bcd
	s_add_nc_u64 s[58:59], s[54:55], 8
	s_lshl_b64 s[28:29], s[38:39], 3
	s_add_nc_u64 s[60:61], s[60:61], -16
	s_add_nc_u64 s[62:63], s[50:51], -8
	;; [unrolled: 1-line block ×4, first 2 shown]
	s_lshl_b64 s[70:71], s[38:39], 4
	s_sub_nc_u64 s[72:73], 0, s[68:69]
	s_add_nc_u64 s[74:75], s[54:55], -8
	s_mov_b32 s77, 0
	s_mov_b32 s79, 0x3ff6a09e
                                        ; implicit-def: $vgpr60
                                        ; implicit-def: $vgpr20_vgpr21
                                        ; implicit-def: $vgpr22_vgpr23
                                        ; implicit-def: $vgpr24_vgpr25
                                        ; implicit-def: $vgpr12_vgpr13
                                        ; implicit-def: $vgpr59
                                        ; implicit-def: $vgpr18_vgpr19
                                        ; implicit-def: $vgpr58
                                        ; implicit-def: $vgpr14_vgpr15
                                        ; implicit-def: $vgpr16_vgpr17
	s_branch .LBB68_7
.LBB68_4:                               ;   in Loop: Header=BB68_7 Depth=1
	s_wait_alu 0xfffe
	s_or_b32 exec_lo, exec_lo, s5
.LBB68_5:                               ;   in Loop: Header=BB68_7 Depth=1
	s_wait_loadcnt 0x0
	s_wait_storecnt 0x0
	s_barrier_signal -1
	s_barrier_wait -1
	global_inv scope:SCOPE_SE
.LBB68_6:                               ;   in Loop: Header=BB68_7 Depth=1
	ds_load_2addr_b32 v[1:2], v8 offset0:6 offset1:9
	s_wait_dscnt 0x0
	v_cmp_gt_i32_e32 vcc_lo, s6, v1
	v_cmp_gt_i32_e64 s3, s30, v2
	v_readfirstlane_b32 s80, v1
	s_and_b32 s3, vcc_lo, s3
	s_wait_alu 0xfffe
	s_and_not1_b32 vcc_lo, exec_lo, s3
	s_wait_alu 0xfffe
	s_cbranch_vccnz .LBB68_231
.LBB68_7:                               ; =>This Loop Header: Depth=1
                                        ;     Child Loop BB68_15 Depth 2
                                        ;     Child Loop BB68_28 Depth 2
	;; [unrolled: 1-line block ×5, first 2 shown]
                                        ;       Child Loop BB68_157 Depth 3
                                        ;       Child Loop BB68_177 Depth 3
	;; [unrolled: 1-line block ×3, first 2 shown]
                                        ;         Child Loop BB68_229 Depth 4
                                        ;     Child Loop BB68_68 Depth 2
                                        ;       Child Loop BB68_75 Depth 3
                                        ;       Child Loop BB68_95 Depth 3
	;; [unrolled: 1-line block ×3, first 2 shown]
                                        ;         Child Loop BB68_147 Depth 4
                                        ;     Child Loop BB68_58 Depth 2
                                        ;     Child Loop BB68_65 Depth 2
	s_and_saveexec_b32 s5, s4
	s_cbranch_execz .LBB68_31
; %bb.8:                                ;   in Loop: Header=BB68_7 Depth=1
	s_cmp_lt_i32 s80, 1
	s_cbranch_scc1 .LBB68_10
; %bb.9:                                ;   in Loop: Header=BB68_7 Depth=1
	s_mov_b32 s81, s77
	v_mov_b32_e32 v9, v8
	s_wait_alu 0xfffe
	s_lshl_b64 s[82:83], s[80:81], 3
	s_wait_alu 0xfffe
	s_add_nc_u64 s[82:83], s[46:47], s[82:83]
	global_store_b64 v8, v[8:9], s[82:83] offset:-8
.LBB68_10:                              ;   in Loop: Header=BB68_7 Depth=1
	s_mov_b32 s10, -1
	s_mov_b32 s3, 0
	s_cmp_lt_i32 s80, s40
	s_mov_b32 s7, 0
	s_cbranch_scc1 .LBB68_12
; %bb.11:                               ;   in Loop: Header=BB68_7 Depth=1
	s_ashr_i32 s81, s80, 31
	s_mov_b32 s10, 0
	s_mov_b32 s7, -1
.LBB68_12:                              ;   in Loop: Header=BB68_7 Depth=1
	s_wait_alu 0xfffe
	s_and_not1_b32 vcc_lo, exec_lo, s10
	s_wait_alu 0xfffe
	s_cbranch_vccnz .LBB68_17
; %bb.13:                               ;   in Loop: Header=BB68_7 Depth=1
	s_ashr_i32 s81, s80, 31
	s_wait_alu 0xfffe
	s_lshl_b64 s[82:83], s[80:81], 3
	s_mov_b64 s[84:85], s[80:81]
	s_wait_alu 0xfffe
	s_add_nc_u64 s[88:89], s[46:47], s[82:83]
	s_add_nc_u64 s[82:83], s[58:59], s[82:83]
	s_branch .LBB68_15
.LBB68_14:                              ;   in Loop: Header=BB68_15 Depth=2
	s_wait_alu 0xfffe
	s_and_not1_b32 vcc_lo, exec_lo, s10
	s_wait_alu 0xfffe
	s_cbranch_vccz .LBB68_18
.LBB68_15:                              ;   Parent Loop BB68_7 Depth=1
                                        ; =>  This Inner Loop Header: Depth=2
	s_clause 0x1
	global_load_b128 v[1:4], v8, s[82:83] offset:-8
	global_load_b64 v[32:33], v8, s[88:89]
	s_wait_alu 0xfffe
	s_mov_b64 s[86:87], s[88:89]
	s_mov_b64 s[90:91], s[84:85]
                                        ; implicit-def: $sgpr84_sgpr85
                                        ; implicit-def: $sgpr88_sgpr89
	s_wait_loadcnt 0x1
	v_cmp_gt_f64_e64 s3, 0x10000000, |v[1:2]|
	v_cmp_gt_f64_e64 s10, 0x10000000, |v[3:4]|
	s_and_b32 s3, s3, exec_lo
	s_cselect_b32 s3, 0x100, 0
	s_cselect_b32 s31, 0xffffff80, 0
	s_and_b32 s10, s10, exec_lo
	s_cselect_b32 s10, 0x100, 0
	s_wait_alu 0xfffe
	v_ldexp_f64 v[1:2], |v[1:2]|, s3
	v_ldexp_f64 v[3:4], |v[3:4]|, s10
	s_cselect_b32 s3, 0xffffff80, 0
	s_delay_alu instid0(VALU_DEP_2) | instskip(NEXT) | instid1(VALU_DEP_1)
	v_rsq_f64_e32 v[20:21], v[1:2]
	v_rsq_f64_e32 v[22:23], v[3:4]
	v_cmp_class_f64_e64 vcc_lo, v[1:2], 0x260
	s_delay_alu instid0(TRANS32_DEP_2) | instskip(SKIP_1) | instid1(TRANS32_DEP_1)
	v_mul_f64_e32 v[24:25], v[1:2], v[20:21]
	v_mul_f64_e32 v[20:21], 0.5, v[20:21]
	v_mul_f64_e32 v[26:27], v[3:4], v[22:23]
	v_mul_f64_e32 v[22:23], 0.5, v[22:23]
	s_delay_alu instid0(VALU_DEP_3) | instskip(NEXT) | instid1(VALU_DEP_2)
	v_fma_f64 v[28:29], -v[20:21], v[24:25], 0.5
	v_fma_f64 v[30:31], -v[22:23], v[26:27], 0.5
	s_delay_alu instid0(VALU_DEP_2) | instskip(SKIP_1) | instid1(VALU_DEP_3)
	v_fma_f64 v[24:25], v[24:25], v[28:29], v[24:25]
	v_fma_f64 v[20:21], v[20:21], v[28:29], v[20:21]
	;; [unrolled: 1-line block ×4, first 2 shown]
	s_delay_alu instid0(VALU_DEP_4) | instskip(NEXT) | instid1(VALU_DEP_3)
	v_fma_f64 v[28:29], -v[24:25], v[24:25], v[1:2]
	v_fma_f64 v[30:31], -v[26:27], v[26:27], v[3:4]
	s_delay_alu instid0(VALU_DEP_2) | instskip(NEXT) | instid1(VALU_DEP_2)
	v_fma_f64 v[24:25], v[28:29], v[20:21], v[24:25]
	v_fma_f64 v[26:27], v[30:31], v[22:23], v[26:27]
	s_delay_alu instid0(VALU_DEP_2) | instskip(NEXT) | instid1(VALU_DEP_2)
	v_fma_f64 v[28:29], -v[24:25], v[24:25], v[1:2]
	v_fma_f64 v[30:31], -v[26:27], v[26:27], v[3:4]
	s_delay_alu instid0(VALU_DEP_2) | instskip(NEXT) | instid1(VALU_DEP_2)
	v_fma_f64 v[20:21], v[28:29], v[20:21], v[24:25]
	v_fma_f64 v[22:23], v[30:31], v[22:23], v[26:27]
	s_delay_alu instid0(VALU_DEP_2) | instskip(SKIP_1) | instid1(VALU_DEP_2)
	v_ldexp_f64 v[20:21], v[20:21], s31
	s_wait_alu 0xfffe
	v_ldexp_f64 v[22:23], v[22:23], s3
	v_cmp_class_f64_e64 s3, v[3:4], 0x260
	s_wait_alu 0xfffd
	s_delay_alu instid0(VALU_DEP_3) | instskip(SKIP_1) | instid1(VALU_DEP_2)
	v_dual_cndmask_b32 v2, v21, v2 :: v_dual_cndmask_b32 v1, v20, v1
	s_wait_alu 0xf1ff
	v_cndmask_b32_e64 v4, v23, v4, s3
	s_delay_alu instid0(VALU_DEP_4) | instskip(SKIP_1) | instid1(VALU_DEP_1)
	v_cndmask_b32_e64 v3, v22, v3, s3
	s_mov_b32 s3, -1
	v_mul_f64_e32 v[1:2], v[1:2], v[3:4]
	s_delay_alu instid0(VALU_DEP_1) | instskip(SKIP_1) | instid1(VALU_DEP_1)
	v_mul_f64_e32 v[1:2], s[24:25], v[1:2]
	s_wait_loadcnt 0x0
	v_cmp_nle_f64_e64 s10, |v[32:33]|, v[1:2]
	s_and_b32 vcc_lo, exec_lo, s10
	s_mov_b32 s10, -1
	s_wait_alu 0xfffe
	s_cbranch_vccz .LBB68_14
; %bb.16:                               ;   in Loop: Header=BB68_15 Depth=2
	s_add_nc_u64 s[84:85], s[90:91], 1
	s_add_nc_u64 s[88:89], s[86:87], 8
	s_wait_alu 0xfffe
	s_cmp_ge_i32 s84, s40
	s_add_nc_u64 s[82:83], s[82:83], 8
	s_mov_b32 s3, 0
	s_cselect_b32 s10, -1, 0
	s_branch .LBB68_14
.LBB68_17:                              ;   in Loop: Header=BB68_7 Depth=1
	s_mov_b32 s10, s80
	s_mov_b64 s[82:83], s[80:81]
	s_and_b32 vcc_lo, exec_lo, s7
	s_wait_alu 0xfffe
	s_cbranch_vccnz .LBB68_21
	s_branch .LBB68_22
.LBB68_18:                              ;   in Loop: Header=BB68_7 Depth=1
	s_xor_b32 s3, s3, -1
                                        ; implicit-def: $sgpr82_sgpr83
	s_wait_alu 0xfffe
	s_and_b32 vcc_lo, exec_lo, s3
	s_mov_b32 s3, -1
	s_wait_alu 0xfffe
	s_cbranch_vccz .LBB68_20
; %bb.19:                               ;   in Loop: Header=BB68_7 Depth=1
	s_ashr_i32 s41, s40, 31
	s_mov_b32 s7, -1
	s_mov_b32 s3, 0
	s_wait_alu 0xfffe
	s_mov_b64 s[82:83], s[40:41]
.LBB68_20:                              ;   in Loop: Header=BB68_7 Depth=1
	v_mov_b32_e32 v20, s90
	v_mov_b32_e32 v22, s86
	;; [unrolled: 1-line block ×3, first 2 shown]
	v_dual_mov_b32 v60, s90 :: v_dual_mov_b32 v21, s91
	v_mov_b32_e32 v23, s87
	v_mov_b32_e32 v25, s81
	s_mov_b32 s10, s40
	s_wait_alu 0xfffe
	s_and_b32 vcc_lo, exec_lo, s7
	s_wait_alu 0xfffe
	s_cbranch_vccz .LBB68_22
.LBB68_21:                              ;   in Loop: Header=BB68_7 Depth=1
	v_mov_b32_e32 v1, s10
	ds_store_b32 v8, v1 offset:20
.LBB68_22:                              ;   in Loop: Header=BB68_7 Depth=1
	v_dual_mov_b32 v1, s80 :: v_dual_mov_b32 v2, s81
	v_dual_mov_b32 v3, s82 :: v_dual_mov_b32 v4, s83
	v_mov_b32_e32 v28, s10
	s_and_not1_b32 vcc_lo, exec_lo, s3
	s_wait_alu 0xfffe
	s_cbranch_vccnz .LBB68_24
; %bb.23:                               ;   in Loop: Header=BB68_7 Depth=1
	v_mov_b32_e32 v1, v24
	v_dual_mov_b32 v3, v20 :: v_dual_mov_b32 v28, v60
	v_dual_mov_b32 v9, v8 :: v_dual_mov_b32 v2, v25
	v_mov_b32_e32 v4, v21
	ds_store_b32 v8, v60 offset:20
	global_store_b64 v[22:23], v[8:9], off
.LBB68_24:                              ;   in Loop: Header=BB68_7 Depth=1
	v_lshlrev_b64_e32 v[3:4], 3, v[3:4]
	v_lshlrev_b64_e32 v[26:27], 3, v[1:2]
	s_delay_alu instid0(VALU_DEP_2) | instskip(SKIP_1) | instid1(VALU_DEP_3)
	v_add_co_u32 v1, vcc_lo, s18, v3
	s_wait_alu 0xfffd
	v_add_co_ci_u32_e64 v2, null, s19, v4, vcc_lo
	s_delay_alu instid0(VALU_DEP_3)
	v_add_co_u32 v3, vcc_lo, s18, v26
	s_wait_alu 0xfffd
	v_add_co_ci_u32_e64 v4, null, s19, v27, vcc_lo
	s_clause 0x1
	global_load_b64 v[1:2], v[1:2], off
	global_load_b64 v[3:4], v[3:4], off
	s_wait_loadcnt 0x0
	v_cmp_lt_f64_e64 s7, |v[1:2]|, |v[3:4]|
	v_dual_mov_b32 v4, s80 :: v_dual_add_nc_u32 v3, 1, v28
	ds_store_2addr_b32 v8, v28, v28 offset0:8 offset1:10
	ds_store_b32 v8, v4 offset:16
	ds_store_b64 v8, v[3:4] offset:24
	s_and_saveexec_b32 s3, s7
; %bb.25:                               ;   in Loop: Header=BB68_7 Depth=1
	v_mov_b32_e32 v3, s80
	ds_store_2addr_b32 v8, v28, v3 offset0:4 offset1:8
; %bb.26:                               ;   in Loop: Header=BB68_7 Depth=1
	s_wait_alu 0xfffe
	s_or_b32 exec_lo, exec_lo, s3
	v_and_b32_e32 v2, 0x7fffffff, v2
	s_mov_b32 s7, exec_lo
	v_cmpx_lt_i32_e64 s80, v28
	s_cbranch_execz .LBB68_30
; %bb.27:                               ;   in Loop: Header=BB68_7 Depth=1
	v_add_co_u32 v3, vcc_lo, s54, v26
	s_wait_alu 0xfffd
	v_add_co_ci_u32_e64 v4, null, s55, v27, vcc_lo
	v_add_co_u32 v26, vcc_lo, s46, v26
	s_wait_alu 0xfffd
	v_add_co_ci_u32_e64 v27, null, s47, v27, vcc_lo
	s_mov_b32 s10, 0
.LBB68_28:                              ;   Parent Loop BB68_7 Depth=1
                                        ; =>  This Inner Loop Header: Depth=2
	global_load_b64 v[29:30], v[26:27], off
	global_load_b64 v[31:32], v[3:4], off
	v_max_num_f64_e32 v[1:2], v[1:2], v[1:2]
	s_add_co_i32 s80, s80, 1
	v_add_co_u32 v3, vcc_lo, v3, 8
	s_wait_alu 0xfffd
	v_add_co_ci_u32_e64 v4, null, 0, v4, vcc_lo
	s_wait_alu 0xfffe
	v_cmp_ge_i32_e32 vcc_lo, s80, v28
	v_add_co_u32 v26, s3, v26, 8
	s_wait_alu 0xf1ff
	v_add_co_ci_u32_e64 v27, null, 0, v27, s3
	s_or_b32 s10, vcc_lo, s10
	s_wait_loadcnt 0x1
	v_max_num_f64_e64 v[29:30], |v[29:30]|, |v[29:30]|
	s_wait_loadcnt 0x0
	v_max_num_f64_e64 v[31:32], |v[31:32]|, |v[31:32]|
	s_delay_alu instid0(VALU_DEP_1) | instskip(NEXT) | instid1(VALU_DEP_1)
	v_max_num_f64_e32 v[29:30], v[31:32], v[29:30]
	v_max_num_f64_e32 v[1:2], v[1:2], v[29:30]
	s_wait_alu 0xfffe
	s_and_not1_b32 exec_lo, exec_lo, s10
	s_cbranch_execnz .LBB68_28
; %bb.29:                               ;   in Loop: Header=BB68_7 Depth=1
	s_or_b32 exec_lo, exec_lo, s10
.LBB68_30:                              ;   in Loop: Header=BB68_7 Depth=1
	s_wait_alu 0xfffe
	s_or_b32 exec_lo, exec_lo, s7
	ds_store_b64 v8, v[1:2] offset:8
.LBB68_31:                              ;   in Loop: Header=BB68_7 Depth=1
	s_wait_alu 0xfffe
	s_or_b32 exec_lo, exec_lo, s5
	s_wait_storecnt 0x0
	s_wait_loadcnt_dscnt 0x0
	s_barrier_signal -1
	s_barrier_wait -1
	global_inv scope:SCOPE_SE
	ds_load_b64 v[1:2], v8 offset:8
	ds_load_2addr_b32 v[3:4], v8 offset0:4 offset1:8
	s_wait_dscnt 0x1
	v_cmp_eq_f64_e32 vcc_lo, 0, v[1:2]
	s_wait_dscnt 0x0
	v_cmp_eq_u32_e64 s3, v4, v3
	s_or_b32 s3, s3, vcc_lo
	s_wait_alu 0xfffe
	s_and_b32 vcc_lo, exec_lo, s3
	s_wait_alu 0xfffe
	s_cbranch_vccnz .LBB68_6
; %bb.32:                               ;   in Loop: Header=BB68_7 Depth=1
	v_cmp_nlt_f64_e32 vcc_lo, s[44:45], v[1:2]
	s_mov_b32 s3, -1
	s_cbranch_vccz .LBB68_41
; %bb.33:                               ;   in Loop: Header=BB68_7 Depth=1
	v_cmp_ngt_f64_e32 vcc_lo, s[26:27], v[1:2]
	s_cbranch_vccnz .LBB68_40
; %bb.34:                               ;   in Loop: Header=BB68_7 Depth=1
	v_div_scale_f64 v[3:4], null, s[26:27], s[26:27], v[1:2]
	s_delay_alu instid0(VALU_DEP_1) | instskip(NEXT) | instid1(TRANS32_DEP_1)
	v_rcp_f64_e32 v[26:27], v[3:4]
	v_fma_f64 v[28:29], -v[3:4], v[26:27], 1.0
	s_delay_alu instid0(VALU_DEP_1) | instskip(NEXT) | instid1(VALU_DEP_1)
	v_fma_f64 v[26:27], v[26:27], v[28:29], v[26:27]
	v_fma_f64 v[28:29], -v[3:4], v[26:27], 1.0
	s_delay_alu instid0(VALU_DEP_1) | instskip(SKIP_1) | instid1(VALU_DEP_1)
	v_fma_f64 v[26:27], v[26:27], v[28:29], v[26:27]
	v_div_scale_f64 v[28:29], vcc_lo, v[1:2], s[26:27], v[1:2]
	v_mul_f64_e32 v[30:31], v[28:29], v[26:27]
	s_delay_alu instid0(VALU_DEP_1) | instskip(SKIP_1) | instid1(VALU_DEP_1)
	v_fma_f64 v[3:4], -v[3:4], v[30:31], v[28:29]
	s_wait_alu 0xfffd
	v_div_fmas_f64 v[3:4], v[3:4], v[26:27], v[30:31]
	ds_load_2addr_b32 v[26:27], v8 offset0:7 offset1:10
	v_div_fixup_f64 v[3:4], v[3:4], s[26:27], v[1:2]
	s_and_saveexec_b32 s3, s4
	s_cbranch_execz .LBB68_36
; %bb.35:                               ;   in Loop: Header=BB68_7 Depth=1
	s_wait_dscnt 0x0
	v_ashrrev_i32_e32 v29, 31, v27
	v_mov_b32_e32 v28, v27
	s_delay_alu instid0(VALU_DEP_1) | instskip(NEXT) | instid1(VALU_DEP_1)
	v_lshlrev_b64_e32 v[28:29], 3, v[28:29]
	v_add_co_u32 v28, vcc_lo, s18, v28
	s_wait_alu 0xfffd
	s_delay_alu instid0(VALU_DEP_2)
	v_add_co_ci_u32_e64 v29, null, s19, v29, vcc_lo
	global_load_b64 v[30:31], v[28:29], off
	s_wait_loadcnt 0x0
	v_mul_f64_e32 v[30:31], v[3:4], v[30:31]
	global_store_b64 v[28:29], v[30:31], off
.LBB68_36:                              ;   in Loop: Header=BB68_7 Depth=1
	s_wait_alu 0xfffe
	s_or_b32 exec_lo, exec_lo, s3
	s_wait_dscnt 0x0
	v_add_nc_u32_e32 v28, v26, v6
	s_mov_b32 s5, exec_lo
	s_delay_alu instid0(VALU_DEP_1)
	v_cmpx_lt_i32_e64 v28, v27
	s_cbranch_execz .LBB68_39
; %bb.37:                               ;   in Loop: Header=BB68_7 Depth=1
	v_ashrrev_i32_e32 v29, 31, v28
	s_mov_b32 s7, 0
	s_delay_alu instid0(VALU_DEP_1)
	v_lshlrev_b64_e32 v[29:30], 3, v[28:29]
.LBB68_38:                              ;   Parent Loop BB68_7 Depth=1
                                        ; =>  This Inner Loop Header: Depth=2
	s_delay_alu instid0(VALU_DEP_1) | instskip(SKIP_1) | instid1(VALU_DEP_2)
	v_add_co_u32 v31, vcc_lo, s18, v29
	s_wait_alu 0xfffd
	v_add_co_ci_u32_e64 v32, null, s19, v30, vcc_lo
	v_add_co_u32 v35, vcc_lo, s46, v29
	s_wait_alu 0xfffd
	v_add_co_ci_u32_e64 v36, null, s47, v30, vcc_lo
	global_load_b64 v[33:34], v[31:32], off
	v_add_nc_u32_e32 v28, s38, v28
	v_add_co_u32 v29, s3, v29, s28
	s_wait_alu 0xf1ff
	v_add_co_ci_u32_e64 v30, null, s29, v30, s3
	s_delay_alu instid0(VALU_DEP_3)
	v_cmp_ge_i32_e32 vcc_lo, v28, v27
	s_wait_alu 0xfffe
	s_or_b32 s7, vcc_lo, s7
	s_wait_loadcnt 0x0
	v_mul_f64_e32 v[33:34], v[3:4], v[33:34]
	global_store_b64 v[31:32], v[33:34], off
	global_load_b64 v[31:32], v[35:36], off
	s_wait_loadcnt 0x0
	v_mul_f64_e32 v[31:32], v[3:4], v[31:32]
	global_store_b64 v[35:36], v[31:32], off
	s_wait_alu 0xfffe
	s_and_not1_b32 exec_lo, exec_lo, s7
	s_cbranch_execnz .LBB68_38
.LBB68_39:                              ;   in Loop: Header=BB68_7 Depth=1
	s_wait_alu 0xfffe
	s_or_b32 exec_lo, exec_lo, s5
.LBB68_40:                              ;   in Loop: Header=BB68_7 Depth=1
	s_mov_b32 s3, 0
.LBB68_41:                              ;   in Loop: Header=BB68_7 Depth=1
	s_wait_alu 0xfffe
	s_and_not1_b32 vcc_lo, exec_lo, s3
	s_wait_alu 0xfffe
	s_cbranch_vccnz .LBB68_48
; %bb.42:                               ;   in Loop: Header=BB68_7 Depth=1
	v_div_scale_f64 v[3:4], null, s[44:45], s[44:45], v[1:2]
	s_delay_alu instid0(VALU_DEP_1) | instskip(NEXT) | instid1(TRANS32_DEP_1)
	v_rcp_f64_e32 v[26:27], v[3:4]
	v_fma_f64 v[28:29], -v[3:4], v[26:27], 1.0
	s_delay_alu instid0(VALU_DEP_1) | instskip(NEXT) | instid1(VALU_DEP_1)
	v_fma_f64 v[26:27], v[26:27], v[28:29], v[26:27]
	v_fma_f64 v[28:29], -v[3:4], v[26:27], 1.0
	s_delay_alu instid0(VALU_DEP_1) | instskip(SKIP_1) | instid1(VALU_DEP_1)
	v_fma_f64 v[26:27], v[26:27], v[28:29], v[26:27]
	v_div_scale_f64 v[28:29], vcc_lo, v[1:2], s[44:45], v[1:2]
	v_mul_f64_e32 v[30:31], v[28:29], v[26:27]
	s_delay_alu instid0(VALU_DEP_1) | instskip(SKIP_1) | instid1(VALU_DEP_1)
	v_fma_f64 v[3:4], -v[3:4], v[30:31], v[28:29]
	s_wait_alu 0xfffd
	v_div_fmas_f64 v[3:4], v[3:4], v[26:27], v[30:31]
	s_delay_alu instid0(VALU_DEP_1)
	v_div_fixup_f64 v[1:2], v[3:4], s[44:45], v[1:2]
	ds_load_2addr_b32 v[3:4], v8 offset0:7 offset1:10
	s_and_saveexec_b32 s3, s4
	s_cbranch_execz .LBB68_44
; %bb.43:                               ;   in Loop: Header=BB68_7 Depth=1
	s_wait_dscnt 0x0
	v_ashrrev_i32_e32 v27, 31, v4
	v_mov_b32_e32 v26, v4
	s_delay_alu instid0(VALU_DEP_1) | instskip(NEXT) | instid1(VALU_DEP_1)
	v_lshlrev_b64_e32 v[26:27], 3, v[26:27]
	v_add_co_u32 v26, vcc_lo, s18, v26
	s_wait_alu 0xfffd
	s_delay_alu instid0(VALU_DEP_2)
	v_add_co_ci_u32_e64 v27, null, s19, v27, vcc_lo
	global_load_b64 v[28:29], v[26:27], off
	s_wait_loadcnt 0x0
	v_mul_f64_e32 v[28:29], v[1:2], v[28:29]
	global_store_b64 v[26:27], v[28:29], off
.LBB68_44:                              ;   in Loop: Header=BB68_7 Depth=1
	s_wait_alu 0xfffe
	s_or_b32 exec_lo, exec_lo, s3
	s_wait_dscnt 0x0
	v_add_nc_u32_e32 v26, v3, v6
	s_mov_b32 s5, exec_lo
	s_delay_alu instid0(VALU_DEP_1)
	v_cmpx_lt_i32_e64 v26, v4
	s_cbranch_execz .LBB68_47
; %bb.45:                               ;   in Loop: Header=BB68_7 Depth=1
	v_ashrrev_i32_e32 v27, 31, v26
	s_mov_b32 s7, 0
	s_delay_alu instid0(VALU_DEP_1)
	v_lshlrev_b64_e32 v[27:28], 3, v[26:27]
.LBB68_46:                              ;   Parent Loop BB68_7 Depth=1
                                        ; =>  This Inner Loop Header: Depth=2
	s_delay_alu instid0(VALU_DEP_1) | instskip(SKIP_1) | instid1(VALU_DEP_2)
	v_add_co_u32 v29, vcc_lo, s18, v27
	s_wait_alu 0xfffd
	v_add_co_ci_u32_e64 v30, null, s19, v28, vcc_lo
	v_add_co_u32 v33, vcc_lo, s46, v27
	s_wait_alu 0xfffd
	v_add_co_ci_u32_e64 v34, null, s47, v28, vcc_lo
	global_load_b64 v[31:32], v[29:30], off
	v_add_nc_u32_e32 v26, s38, v26
	v_add_co_u32 v27, s3, v27, s28
	s_wait_alu 0xf1ff
	v_add_co_ci_u32_e64 v28, null, s29, v28, s3
	s_delay_alu instid0(VALU_DEP_3)
	v_cmp_ge_i32_e32 vcc_lo, v26, v4
	s_wait_alu 0xfffe
	s_or_b32 s7, vcc_lo, s7
	s_wait_loadcnt 0x0
	v_mul_f64_e32 v[31:32], v[1:2], v[31:32]
	global_store_b64 v[29:30], v[31:32], off
	global_load_b64 v[29:30], v[33:34], off
	s_wait_loadcnt 0x0
	v_mul_f64_e32 v[29:30], v[1:2], v[29:30]
	global_store_b64 v[33:34], v[29:30], off
	s_wait_alu 0xfffe
	s_and_not1_b32 exec_lo, exec_lo, s7
	s_cbranch_execnz .LBB68_46
.LBB68_47:                              ;   in Loop: Header=BB68_7 Depth=1
	s_wait_alu 0xfffe
	s_or_b32 exec_lo, exec_lo, s5
.LBB68_48:                              ;   in Loop: Header=BB68_7 Depth=1
	s_wait_loadcnt 0x0
	s_wait_storecnt 0x0
	s_barrier_signal -1
	s_barrier_wait -1
	global_inv scope:SCOPE_SE
	ds_load_b64 v[28:29], v8 offset:32
	ds_load_b32 v26, v8 offset:16
	s_mov_b32 s7, -1
                                        ; implicit-def: $vgpr32_vgpr33
                                        ; implicit-def: $vgpr30_vgpr31
                                        ; implicit-def: $vgpr27
	s_wait_dscnt 0x1
	v_cmp_gt_i32_e64 s3, s30, v29
	s_wait_dscnt 0x0
	v_cmp_lt_i32_e32 vcc_lo, v28, v26
	s_wait_alu 0xf1ff
	s_delay_alu instid0(VALU_DEP_2) | instskip(NEXT) | instid1(VALU_DEP_1)
	v_cndmask_b32_e64 v1, 0, 1, s3
	v_cmp_ne_u32_e64 s5, 1, v1
	s_cbranch_vccnz .LBB68_51
; %bb.49:                               ;   in Loop: Header=BB68_7 Depth=1
	v_dual_mov_b32 v33, v17 :: v_dual_mov_b32 v32, v16
	v_dual_mov_b32 v31, v15 :: v_dual_mov_b32 v30, v14
	;; [unrolled: 1-line block ×4, first 2 shown]
	s_and_b32 vcc_lo, exec_lo, s5
	s_wait_alu 0xfffe
	s_cbranch_vccz .LBB68_151
.LBB68_50:                              ;   in Loop: Header=BB68_7 Depth=1
	s_mov_b32 s7, 0
.LBB68_51:                              ;   in Loop: Header=BB68_7 Depth=1
	s_wait_alu 0xfffe
	s_and_not1_b32 vcc_lo, exec_lo, s7
	s_wait_alu 0xfffe
	s_cbranch_vccz .LBB68_68
; %bb.52:                               ;   in Loop: Header=BB68_7 Depth=1
	v_mov_b32_e32 v14, v30
	v_mov_b32_e32 v16, v32
	v_dual_mov_b32 v58, v27 :: v_dual_mov_b32 v15, v31
	v_mov_b32_e32 v17, v33
.LBB68_53:                              ;   in Loop: Header=BB68_7 Depth=1
	s_wait_loadcnt 0x0
	s_barrier_signal -1
	s_barrier_wait -1
	global_inv scope:SCOPE_SE
	ds_load_b64 v[1:2], v8 offset:8
	s_wait_dscnt 0x0
	v_cmp_nlt_f64_e32 vcc_lo, s[44:45], v[1:2]
	s_cbranch_vccnz .LBB68_60
; %bb.54:                               ;   in Loop: Header=BB68_7 Depth=1
	v_div_scale_f64 v[3:4], null, v[1:2], v[1:2], s[44:45]
	s_delay_alu instid0(VALU_DEP_1) | instskip(NEXT) | instid1(TRANS32_DEP_1)
	v_rcp_f64_e32 v[26:27], v[3:4]
	v_fma_f64 v[28:29], -v[3:4], v[26:27], 1.0
	s_delay_alu instid0(VALU_DEP_1) | instskip(NEXT) | instid1(VALU_DEP_1)
	v_fma_f64 v[26:27], v[26:27], v[28:29], v[26:27]
	v_fma_f64 v[28:29], -v[3:4], v[26:27], 1.0
	s_delay_alu instid0(VALU_DEP_1) | instskip(SKIP_1) | instid1(VALU_DEP_1)
	v_fma_f64 v[26:27], v[26:27], v[28:29], v[26:27]
	v_div_scale_f64 v[28:29], vcc_lo, s[44:45], v[1:2], s[44:45]
	v_mul_f64_e32 v[30:31], v[28:29], v[26:27]
	s_delay_alu instid0(VALU_DEP_1) | instskip(SKIP_1) | instid1(VALU_DEP_1)
	v_fma_f64 v[3:4], -v[3:4], v[30:31], v[28:29]
	s_wait_alu 0xfffd
	v_div_fmas_f64 v[3:4], v[3:4], v[26:27], v[30:31]
	ds_load_2addr_b32 v[26:27], v8 offset0:7 offset1:10
	v_div_fixup_f64 v[3:4], v[3:4], v[1:2], s[44:45]
	s_and_saveexec_b32 s3, s4
	s_cbranch_execz .LBB68_56
; %bb.55:                               ;   in Loop: Header=BB68_7 Depth=1
	s_wait_dscnt 0x0
	v_ashrrev_i32_e32 v29, 31, v27
	v_mov_b32_e32 v28, v27
	s_delay_alu instid0(VALU_DEP_1) | instskip(NEXT) | instid1(VALU_DEP_1)
	v_lshlrev_b64_e32 v[28:29], 3, v[28:29]
	v_add_co_u32 v28, vcc_lo, s18, v28
	s_wait_alu 0xfffd
	s_delay_alu instid0(VALU_DEP_2)
	v_add_co_ci_u32_e64 v29, null, s19, v29, vcc_lo
	global_load_b64 v[30:31], v[28:29], off
	s_wait_loadcnt 0x0
	v_mul_f64_e32 v[30:31], v[3:4], v[30:31]
	global_store_b64 v[28:29], v[30:31], off
.LBB68_56:                              ;   in Loop: Header=BB68_7 Depth=1
	s_wait_alu 0xfffe
	s_or_b32 exec_lo, exec_lo, s3
	s_wait_dscnt 0x0
	v_add_nc_u32_e32 v28, v26, v6
	s_mov_b32 s5, exec_lo
	s_delay_alu instid0(VALU_DEP_1)
	v_cmpx_lt_i32_e64 v28, v27
	s_cbranch_execz .LBB68_59
; %bb.57:                               ;   in Loop: Header=BB68_7 Depth=1
	v_ashrrev_i32_e32 v29, 31, v28
	s_mov_b32 s7, 0
	s_delay_alu instid0(VALU_DEP_1)
	v_lshlrev_b64_e32 v[29:30], 3, v[28:29]
.LBB68_58:                              ;   Parent Loop BB68_7 Depth=1
                                        ; =>  This Inner Loop Header: Depth=2
	s_delay_alu instid0(VALU_DEP_1) | instskip(SKIP_1) | instid1(VALU_DEP_2)
	v_add_co_u32 v31, vcc_lo, s18, v29
	s_wait_alu 0xfffd
	v_add_co_ci_u32_e64 v32, null, s19, v30, vcc_lo
	v_add_co_u32 v35, vcc_lo, s46, v29
	s_wait_alu 0xfffd
	v_add_co_ci_u32_e64 v36, null, s47, v30, vcc_lo
	global_load_b64 v[33:34], v[31:32], off
	v_add_nc_u32_e32 v28, s38, v28
	v_add_co_u32 v29, s3, v29, s28
	s_wait_alu 0xf1ff
	v_add_co_ci_u32_e64 v30, null, s29, v30, s3
	s_delay_alu instid0(VALU_DEP_3)
	v_cmp_ge_i32_e32 vcc_lo, v28, v27
	s_wait_alu 0xfffe
	s_or_b32 s7, vcc_lo, s7
	s_wait_loadcnt 0x0
	v_mul_f64_e32 v[33:34], v[3:4], v[33:34]
	global_store_b64 v[31:32], v[33:34], off
	global_load_b64 v[31:32], v[35:36], off
	s_wait_loadcnt 0x0
	v_mul_f64_e32 v[31:32], v[3:4], v[31:32]
	global_store_b64 v[35:36], v[31:32], off
	s_wait_alu 0xfffe
	s_and_not1_b32 exec_lo, exec_lo, s7
	s_cbranch_execnz .LBB68_58
.LBB68_59:                              ;   in Loop: Header=BB68_7 Depth=1
	s_wait_alu 0xfffe
	s_or_b32 exec_lo, exec_lo, s5
.LBB68_60:                              ;   in Loop: Header=BB68_7 Depth=1
	v_cmp_ngt_f64_e32 vcc_lo, s[26:27], v[1:2]
	s_cbranch_vccnz .LBB68_5
; %bb.61:                               ;   in Loop: Header=BB68_7 Depth=1
	v_div_scale_f64 v[3:4], null, v[1:2], v[1:2], s[26:27]
	s_delay_alu instid0(VALU_DEP_1) | instskip(NEXT) | instid1(TRANS32_DEP_1)
	v_rcp_f64_e32 v[26:27], v[3:4]
	v_fma_f64 v[28:29], -v[3:4], v[26:27], 1.0
	s_delay_alu instid0(VALU_DEP_1) | instskip(NEXT) | instid1(VALU_DEP_1)
	v_fma_f64 v[26:27], v[26:27], v[28:29], v[26:27]
	v_fma_f64 v[28:29], -v[3:4], v[26:27], 1.0
	s_delay_alu instid0(VALU_DEP_1) | instskip(SKIP_1) | instid1(VALU_DEP_1)
	v_fma_f64 v[26:27], v[26:27], v[28:29], v[26:27]
	v_div_scale_f64 v[28:29], vcc_lo, s[26:27], v[1:2], s[26:27]
	v_mul_f64_e32 v[30:31], v[28:29], v[26:27]
	s_delay_alu instid0(VALU_DEP_1) | instskip(SKIP_1) | instid1(VALU_DEP_1)
	v_fma_f64 v[3:4], -v[3:4], v[30:31], v[28:29]
	s_wait_alu 0xfffd
	v_div_fmas_f64 v[3:4], v[3:4], v[26:27], v[30:31]
	s_delay_alu instid0(VALU_DEP_1)
	v_div_fixup_f64 v[1:2], v[3:4], v[1:2], s[26:27]
	ds_load_2addr_b32 v[3:4], v8 offset0:7 offset1:10
	s_and_saveexec_b32 s3, s4
	s_cbranch_execz .LBB68_63
; %bb.62:                               ;   in Loop: Header=BB68_7 Depth=1
	s_wait_dscnt 0x0
	v_ashrrev_i32_e32 v27, 31, v4
	v_mov_b32_e32 v26, v4
	s_delay_alu instid0(VALU_DEP_1) | instskip(NEXT) | instid1(VALU_DEP_1)
	v_lshlrev_b64_e32 v[26:27], 3, v[26:27]
	v_add_co_u32 v26, vcc_lo, s18, v26
	s_wait_alu 0xfffd
	s_delay_alu instid0(VALU_DEP_2)
	v_add_co_ci_u32_e64 v27, null, s19, v27, vcc_lo
	global_load_b64 v[28:29], v[26:27], off
	s_wait_loadcnt 0x0
	v_mul_f64_e32 v[28:29], v[1:2], v[28:29]
	global_store_b64 v[26:27], v[28:29], off
.LBB68_63:                              ;   in Loop: Header=BB68_7 Depth=1
	s_wait_alu 0xfffe
	s_or_b32 exec_lo, exec_lo, s3
	s_wait_dscnt 0x0
	v_add_nc_u32_e32 v26, v3, v6
	s_mov_b32 s5, exec_lo
	s_delay_alu instid0(VALU_DEP_1)
	v_cmpx_lt_i32_e64 v26, v4
	s_cbranch_execz .LBB68_4
; %bb.64:                               ;   in Loop: Header=BB68_7 Depth=1
	v_ashrrev_i32_e32 v27, 31, v26
	s_mov_b32 s7, 0
	s_delay_alu instid0(VALU_DEP_1)
	v_lshlrev_b64_e32 v[27:28], 3, v[26:27]
.LBB68_65:                              ;   Parent Loop BB68_7 Depth=1
                                        ; =>  This Inner Loop Header: Depth=2
	s_delay_alu instid0(VALU_DEP_1) | instskip(SKIP_1) | instid1(VALU_DEP_2)
	v_add_co_u32 v29, vcc_lo, s18, v27
	s_wait_alu 0xfffd
	v_add_co_ci_u32_e64 v30, null, s19, v28, vcc_lo
	v_add_co_u32 v33, vcc_lo, s46, v27
	s_wait_alu 0xfffd
	v_add_co_ci_u32_e64 v34, null, s47, v28, vcc_lo
	global_load_b64 v[31:32], v[29:30], off
	v_add_nc_u32_e32 v26, s38, v26
	v_add_co_u32 v27, s3, v27, s28
	s_wait_alu 0xf1ff
	v_add_co_ci_u32_e64 v28, null, s29, v28, s3
	s_delay_alu instid0(VALU_DEP_3)
	v_cmp_ge_i32_e32 vcc_lo, v26, v4
	s_wait_alu 0xfffe
	s_or_b32 s7, vcc_lo, s7
	s_wait_loadcnt 0x0
	v_mul_f64_e32 v[31:32], v[1:2], v[31:32]
	global_store_b64 v[29:30], v[31:32], off
	global_load_b64 v[29:30], v[33:34], off
	s_wait_loadcnt 0x0
	v_mul_f64_e32 v[29:30], v[1:2], v[29:30]
	global_store_b64 v[33:34], v[29:30], off
	s_wait_alu 0xfffe
	s_and_not1_b32 exec_lo, exec_lo, s7
	s_cbranch_execnz .LBB68_65
	s_branch .LBB68_4
.LBB68_66:                              ;   in Loop: Header=BB68_68 Depth=2
	s_wait_alu 0xfffe
	s_or_b32 exec_lo, exec_lo, s5
	s_wait_loadcnt 0x0
	s_wait_storecnt 0x0
	s_barrier_signal -1
	s_barrier_wait -1
	global_inv scope:SCOPE_SE
	ds_load_b32 v26, v8 offset:16
.LBB68_67:                              ;   in Loop: Header=BB68_68 Depth=2
	ds_load_b64 v[28:29], v8 offset:32
	s_wait_dscnt 0x0
	v_cmp_ge_i32_e32 vcc_lo, v26, v28
	v_cmp_gt_i32_e64 s3, s30, v29
	s_and_b32 s3, vcc_lo, s3
.LBB68_68:                              ;   Parent Loop BB68_7 Depth=1
                                        ; =>  This Loop Header: Depth=2
                                        ;       Child Loop BB68_75 Depth 3
                                        ;       Child Loop BB68_95 Depth 3
	;; [unrolled: 1-line block ×3, first 2 shown]
                                        ;         Child Loop BB68_147 Depth 4
	s_wait_alu 0xfffe
	s_and_not1_b32 vcc_lo, exec_lo, s3
	s_wait_alu 0xfffe
	s_cbranch_vccnz .LBB68_53
; %bb.69:                               ;   in Loop: Header=BB68_68 Depth=2
	s_and_saveexec_b32 s5, s4
	s_cbranch_execz .LBB68_142
; %bb.70:                               ;   in Loop: Header=BB68_68 Depth=2
	v_cmp_gt_i32_e32 vcc_lo, v26, v28
	s_mov_b32 s3, 0
	s_cbranch_vccnz .LBB68_72
; %bb.71:                               ;   in Loop: Header=BB68_68 Depth=2
	v_ashrrev_i32_e32 v27, 31, v26
	v_mov_b32_e32 v2, v26
	s_mov_b32 s7, -1
	s_delay_alu instid0(VALU_DEP_2)
	v_mov_b32_e32 v3, v27
	v_mov_b32_e32 v1, v26
	s_cbranch_execz .LBB68_73
	s_branch .LBB68_78
.LBB68_72:                              ;   in Loop: Header=BB68_68 Depth=2
	s_mov_b32 s7, 0
                                        ; implicit-def: $vgpr2_vgpr3
	v_mov_b32_e32 v1, v26
.LBB68_73:                              ;   in Loop: Header=BB68_68 Depth=2
	v_ashrrev_i32_e32 v27, 31, v26
	v_mov_b32_e32 v3, v26
	s_delay_alu instid0(VALU_DEP_2) | instskip(NEXT) | instid1(VALU_DEP_1)
	v_lshlrev_b64_e32 v[1:2], 3, v[26:27]
	v_add_co_u32 v12, vcc_lo, s46, v1
	s_wait_alu 0xfffd
	s_delay_alu instid0(VALU_DEP_2)
	v_add_co_ci_u32_e64 v13, null, s47, v2, vcc_lo
	v_add_co_u32 v1, vcc_lo, s74, v1
	s_wait_alu 0xfffd
	v_add_co_ci_u32_e64 v2, null, s75, v2, vcc_lo
	s_branch .LBB68_75
.LBB68_74:                              ;   in Loop: Header=BB68_75 Depth=3
	v_add_nc_u32_e32 v3, -1, v59
	v_add_co_u32 v1, vcc_lo, v1, -8
	s_wait_alu 0xfffd
	v_add_co_ci_u32_e64 v2, null, -1, v2, vcc_lo
	s_delay_alu instid0(VALU_DEP_3)
	v_cmp_le_i32_e64 s7, v3, v28
	s_mov_b32 s3, 0
	v_add_co_u32 v12, vcc_lo, v12, -8
	s_wait_alu 0xfffd
	v_add_co_ci_u32_e64 v13, null, -1, v13, vcc_lo
	s_and_not1_b32 vcc_lo, exec_lo, s7
	s_wait_alu 0xfffe
	s_cbranch_vccz .LBB68_77
.LBB68_75:                              ;   Parent Loop BB68_7 Depth=1
                                        ;     Parent Loop BB68_68 Depth=2
                                        ; =>    This Inner Loop Header: Depth=3
	global_load_b128 v[30:33], v[1:2], off
	global_load_b64 v[18:19], v[12:13], off offset:-8
	v_mov_b32_e32 v59, v3
	s_wait_loadcnt 0x1
	v_mul_f64_e32 v[30:31], v[32:33], v[30:31]
	s_wait_loadcnt 0x0
	v_mul_f64_e32 v[18:19], v[18:19], v[18:19]
	s_delay_alu instid0(VALU_DEP_2) | instskip(NEXT) | instid1(VALU_DEP_1)
	v_mul_f64_e64 v[30:31], v[10:11], |v[30:31]|
	v_cmp_le_f64_e64 s3, |v[18:19]|, v[30:31]
	s_wait_alu 0xfffe
	s_and_b32 vcc_lo, exec_lo, s3
	s_wait_alu 0xfffe
	s_cbranch_vccz .LBB68_74
; %bb.76:                               ;   in Loop: Header=BB68_68 Depth=2
	s_mov_b32 s3, -1
                                        ; implicit-def: $vgpr3
                                        ; implicit-def: $vgpr1_vgpr2
	v_add_co_u32 v12, vcc_lo, v12, -8
	s_wait_alu 0xfffd
	v_add_co_ci_u32_e64 v13, null, -1, v13, vcc_lo
.LBB68_77:                              ;   in Loop: Header=BB68_68 Depth=2
	v_dual_mov_b32 v1, v28 :: v_dual_mov_b32 v2, v26
	v_dual_mov_b32 v18, v26 :: v_dual_mov_b32 v19, v27
	v_mov_b32_e32 v3, v27
	s_wait_alu 0xfffe
	s_xor_b32 s7, s3, -1
	s_mov_b32 s3, -1
.LBB68_78:                              ;   in Loop: Header=BB68_68 Depth=2
	s_wait_alu 0xfffe
	s_and_b32 vcc_lo, exec_lo, s7
	s_wait_alu 0xfffe
	s_cbranch_vccnz .LBB68_107
; %bb.79:                               ;   in Loop: Header=BB68_68 Depth=2
	s_and_not1_b32 vcc_lo, exec_lo, s3
	s_wait_alu 0xfffe
	s_cbranch_vccnz .LBB68_81
.LBB68_80:                              ;   in Loop: Header=BB68_68 Depth=2
	v_dual_mov_b32 v9, v8 :: v_dual_mov_b32 v2, v18
	v_mov_b32_e32 v3, v19
	v_mov_b32_e32 v1, v59
	ds_store_2addr_b32 v8, v59, v26 offset0:5 offset1:7
	global_store_b64 v[12:13], v[8:9], off
.LBB68_81:                              ;   in Loop: Header=BB68_68 Depth=2
	v_lshlrev_b64_e32 v[30:31], 3, v[2:3]
	v_add_nc_u32_e32 v2, -1, v26
	s_mov_b32 s3, exec_lo
	s_delay_alu instid0(VALU_DEP_2) | instskip(SKIP_1) | instid1(VALU_DEP_3)
	v_add_co_u32 v27, vcc_lo, s18, v30
	s_wait_alu 0xfffd
	v_add_co_ci_u32_e64 v28, null, s19, v31, vcc_lo
	global_load_b64 v[38:39], v[27:28], off
	s_wait_loadcnt 0x0
	ds_store_b64 v8, v[38:39]
	v_cmpx_ne_u32_e64 v1, v26
	s_wait_alu 0xfffe
	s_xor_b32 s7, exec_lo, s3
	s_cbranch_execz .LBB68_139
; %bb.82:                               ;   in Loop: Header=BB68_68 Depth=2
	s_mov_b32 s3, exec_lo
	v_cmpx_ne_u32_e64 v1, v2
	s_wait_alu 0xfffe
	s_xor_b32 s10, exec_lo, s3
	s_cbranch_execz .LBB68_111
; %bb.83:                               ;   in Loop: Header=BB68_68 Depth=2
	v_add_co_u32 v3, vcc_lo, s46, v30
	s_wait_alu 0xfffd
	v_add_co_ci_u32_e64 v4, null, s47, v31, vcc_lo
	s_mov_b32 s31, exec_lo
	global_load_b64 v[30:31], v[27:28], off offset:-8
	global_load_b64 v[32:33], v[3:4], off offset:-8
	s_wait_loadcnt 0x1
	v_add_f64_e64 v[30:31], v[30:31], -v[38:39]
	s_wait_loadcnt 0x0
	v_add_f64_e32 v[34:35], v[32:33], v[32:33]
	s_delay_alu instid0(VALU_DEP_1) | instskip(SKIP_1) | instid1(VALU_DEP_2)
	v_div_scale_f64 v[36:37], null, v[34:35], v[34:35], v[30:31]
	v_div_scale_f64 v[44:45], vcc_lo, v[30:31], v[34:35], v[30:31]
	v_rcp_f64_e32 v[40:41], v[36:37]
	s_delay_alu instid0(TRANS32_DEP_1) | instskip(NEXT) | instid1(VALU_DEP_1)
	v_fma_f64 v[42:43], -v[36:37], v[40:41], 1.0
	v_fma_f64 v[40:41], v[40:41], v[42:43], v[40:41]
	s_delay_alu instid0(VALU_DEP_1) | instskip(NEXT) | instid1(VALU_DEP_1)
	v_fma_f64 v[42:43], -v[36:37], v[40:41], 1.0
	v_fma_f64 v[40:41], v[40:41], v[42:43], v[40:41]
	s_delay_alu instid0(VALU_DEP_1) | instskip(NEXT) | instid1(VALU_DEP_1)
	v_mul_f64_e32 v[42:43], v[44:45], v[40:41]
	v_fma_f64 v[36:37], -v[36:37], v[42:43], v[44:45]
	s_wait_alu 0xfffd
	s_delay_alu instid0(VALU_DEP_1) | instskip(NEXT) | instid1(VALU_DEP_1)
	v_div_fmas_f64 v[36:37], v[36:37], v[40:41], v[42:43]
	v_div_fixup_f64 v[30:31], v[36:37], v[34:35], v[30:31]
	s_delay_alu instid0(VALU_DEP_1) | instskip(NEXT) | instid1(VALU_DEP_1)
	v_fma_f64 v[34:35], v[30:31], v[30:31], 1.0
	v_cmp_gt_f64_e32 vcc_lo, 0x10000000, v[34:35]
	s_wait_alu 0xfffd
	v_cndmask_b32_e64 v2, 0, 0x100, vcc_lo
	s_delay_alu instid0(VALU_DEP_1) | instskip(SKIP_1) | instid1(VALU_DEP_2)
	v_ldexp_f64 v[34:35], v[34:35], v2
	v_cndmask_b32_e64 v2, 0, 0xffffff80, vcc_lo
	v_rsq_f64_e32 v[36:37], v[34:35]
	v_cmp_class_f64_e64 vcc_lo, v[34:35], 0x260
	s_delay_alu instid0(TRANS32_DEP_1) | instskip(SKIP_1) | instid1(VALU_DEP_1)
	v_mul_f64_e32 v[40:41], v[34:35], v[36:37]
	v_mul_f64_e32 v[36:37], 0.5, v[36:37]
	v_fma_f64 v[42:43], -v[36:37], v[40:41], 0.5
	s_delay_alu instid0(VALU_DEP_1) | instskip(SKIP_1) | instid1(VALU_DEP_2)
	v_fma_f64 v[40:41], v[40:41], v[42:43], v[40:41]
	v_fma_f64 v[36:37], v[36:37], v[42:43], v[36:37]
	v_fma_f64 v[42:43], -v[40:41], v[40:41], v[34:35]
	s_delay_alu instid0(VALU_DEP_1) | instskip(NEXT) | instid1(VALU_DEP_1)
	v_fma_f64 v[40:41], v[42:43], v[36:37], v[40:41]
	v_fma_f64 v[42:43], -v[40:41], v[40:41], v[34:35]
	s_delay_alu instid0(VALU_DEP_1) | instskip(NEXT) | instid1(VALU_DEP_1)
	v_fma_f64 v[36:37], v[42:43], v[36:37], v[40:41]
	v_ldexp_f64 v[36:37], v[36:37], v2
	s_wait_alu 0xfffd
	s_delay_alu instid0(VALU_DEP_1) | instskip(NEXT) | instid1(VALU_DEP_2)
	v_cndmask_b32_e32 v2, v37, v35, vcc_lo
	v_cndmask_b32_e32 v34, v36, v34, vcc_lo
	v_cmp_nle_f64_e32 vcc_lo, 0, v[30:31]
	s_delay_alu instid0(VALU_DEP_3) | instskip(SKIP_2) | instid1(VALU_DEP_1)
	v_and_b32_e32 v9, 0x7fffffff, v2
	v_or_b32_e32 v2, 0x80000000, v2
	s_wait_alu 0xfffd
	v_cndmask_b32_e32 v35, v9, v2, vcc_lo
	v_ashrrev_i32_e32 v2, 31, v1
	v_mov_b32_e32 v9, v8
	s_delay_alu instid0(VALU_DEP_2) | instskip(SKIP_2) | instid1(VALU_DEP_3)
	v_lshlrev_b64_e32 v[40:41], 3, v[1:2]
	v_add_nc_u32_e32 v2, 1, v29
	v_add_f64_e32 v[30:31], v[30:31], v[34:35]
	v_add_co_u32 v36, vcc_lo, s18, v40
	s_wait_alu 0xfffd
	s_delay_alu instid0(VALU_DEP_4) | instskip(SKIP_4) | instid1(VALU_DEP_1)
	v_add_co_ci_u32_e64 v37, null, s19, v41, vcc_lo
	global_load_b64 v[42:43], v[36:37], off
	ds_store_b32 v8, v2 offset:36
	ds_store_b64 v8, v[8:9]
	v_div_scale_f64 v[34:35], null, v[30:31], v[30:31], v[32:33]
	v_rcp_f64_e32 v[44:45], v[34:35]
	s_delay_alu instid0(TRANS32_DEP_1) | instskip(NEXT) | instid1(VALU_DEP_1)
	v_fma_f64 v[46:47], -v[34:35], v[44:45], 1.0
	v_fma_f64 v[44:45], v[44:45], v[46:47], v[44:45]
	s_delay_alu instid0(VALU_DEP_1) | instskip(NEXT) | instid1(VALU_DEP_1)
	v_fma_f64 v[46:47], -v[34:35], v[44:45], 1.0
	v_fma_f64 v[44:45], v[44:45], v[46:47], v[44:45]
	v_div_scale_f64 v[46:47], vcc_lo, v[32:33], v[30:31], v[32:33]
	s_delay_alu instid0(VALU_DEP_1) | instskip(NEXT) | instid1(VALU_DEP_1)
	v_mul_f64_e32 v[48:49], v[46:47], v[44:45]
	v_fma_f64 v[34:35], -v[34:35], v[48:49], v[46:47]
	s_wait_alu 0xfffd
	s_delay_alu instid0(VALU_DEP_1) | instskip(SKIP_2) | instid1(VALU_DEP_2)
	v_div_fmas_f64 v[34:35], v[34:35], v[44:45], v[48:49]
	s_wait_loadcnt 0x0
	v_add_f64_e64 v[44:45], v[42:43], -v[38:39]
	v_div_fixup_f64 v[30:31], v[34:35], v[30:31], v[32:33]
	v_mov_b32_e32 v34, 0
	v_mov_b32_e32 v35, 0
	s_delay_alu instid0(VALU_DEP_3)
	v_add_f64_e32 v[30:31], v[44:45], v[30:31]
	v_cmpx_lt_i32_e64 v1, v26
	s_cbranch_execz .LBB68_110
; %bb.84:                               ;   in Loop: Header=BB68_68 Depth=2
	v_add_co_u32 v32, vcc_lo, s46, v40
	s_wait_alu 0xfffd
	v_add_co_ci_u32_e64 v33, null, s47, v41, vcc_lo
	v_mov_b32_e32 v48, 0
	v_mov_b32_e32 v49, 0
	s_mov_b32 s3, exec_lo
	global_load_b64 v[38:39], v[32:33], off
	v_mov_b32_e32 v32, 0
	v_mov_b32_e32 v33, 0x3ff00000
	s_wait_loadcnt 0x0
	v_cmpx_neq_f64_e32 0, v[38:39]
	s_cbranch_execz .LBB68_92
; %bb.85:                               ;   in Loop: Header=BB68_68 Depth=2
	v_mov_b32_e32 v32, 0
	v_dual_mov_b32 v33, 0 :: v_dual_mov_b32 v48, 0
	v_mov_b32_e32 v49, 0x3ff00000
	s_mov_b32 s33, exec_lo
	v_cmpx_neq_f64_e32 0, v[30:31]
	s_cbranch_execz .LBB68_91
; %bb.86:                               ;   in Loop: Header=BB68_68 Depth=2
	v_cmp_ngt_f64_e64 s39, |v[38:39]|, |v[30:31]|
                                        ; implicit-def: $vgpr48_vgpr49
                                        ; implicit-def: $vgpr32_vgpr33
	s_and_saveexec_b32 s41, s39
	s_wait_alu 0xfffe
	s_xor_b32 s39, exec_lo, s41
	s_cbranch_execz .LBB68_88
; %bb.87:                               ;   in Loop: Header=BB68_68 Depth=2
	v_div_scale_f64 v[32:33], null, v[30:31], v[30:31], -v[38:39]
	v_div_scale_f64 v[46:47], vcc_lo, -v[38:39], v[30:31], -v[38:39]
	s_delay_alu instid0(VALU_DEP_2) | instskip(NEXT) | instid1(TRANS32_DEP_1)
	v_rcp_f64_e32 v[34:35], v[32:33]
	v_fma_f64 v[44:45], -v[32:33], v[34:35], 1.0
	s_delay_alu instid0(VALU_DEP_1) | instskip(NEXT) | instid1(VALU_DEP_1)
	v_fma_f64 v[34:35], v[34:35], v[44:45], v[34:35]
	v_fma_f64 v[44:45], -v[32:33], v[34:35], 1.0
	s_delay_alu instid0(VALU_DEP_1) | instskip(NEXT) | instid1(VALU_DEP_1)
	v_fma_f64 v[34:35], v[34:35], v[44:45], v[34:35]
	v_mul_f64_e32 v[44:45], v[46:47], v[34:35]
	s_delay_alu instid0(VALU_DEP_1) | instskip(SKIP_1) | instid1(VALU_DEP_1)
	v_fma_f64 v[32:33], -v[32:33], v[44:45], v[46:47]
	s_wait_alu 0xfffd
	v_div_fmas_f64 v[32:33], v[32:33], v[34:35], v[44:45]
	s_delay_alu instid0(VALU_DEP_1) | instskip(NEXT) | instid1(VALU_DEP_1)
	v_div_fixup_f64 v[29:30], v[32:33], v[30:31], -v[38:39]
	v_fma_f64 v[31:32], v[29:30], v[29:30], 1.0
	s_delay_alu instid0(VALU_DEP_1) | instskip(SKIP_2) | instid1(VALU_DEP_1)
	v_cmp_gt_f64_e32 vcc_lo, 0x10000000, v[31:32]
	s_wait_alu 0xfffd
	v_cndmask_b32_e64 v2, 0, 0x100, vcc_lo
	v_ldexp_f64 v[31:32], v[31:32], v2
	v_cndmask_b32_e64 v2, 0, 0xffffff80, vcc_lo
	s_delay_alu instid0(VALU_DEP_2) | instskip(SKIP_1) | instid1(TRANS32_DEP_1)
	v_rsq_f64_e32 v[33:34], v[31:32]
	v_cmp_class_f64_e64 vcc_lo, v[31:32], 0x260
	v_mul_f64_e32 v[44:45], v[31:32], v[33:34]
	v_mul_f64_e32 v[33:34], 0.5, v[33:34]
	s_delay_alu instid0(VALU_DEP_1) | instskip(NEXT) | instid1(VALU_DEP_1)
	v_fma_f64 v[46:47], -v[33:34], v[44:45], 0.5
	v_fma_f64 v[44:45], v[44:45], v[46:47], v[44:45]
	v_fma_f64 v[33:34], v[33:34], v[46:47], v[33:34]
	s_delay_alu instid0(VALU_DEP_2) | instskip(NEXT) | instid1(VALU_DEP_1)
	v_fma_f64 v[46:47], -v[44:45], v[44:45], v[31:32]
	v_fma_f64 v[44:45], v[46:47], v[33:34], v[44:45]
	s_delay_alu instid0(VALU_DEP_1) | instskip(NEXT) | instid1(VALU_DEP_1)
	v_fma_f64 v[46:47], -v[44:45], v[44:45], v[31:32]
	v_fma_f64 v[33:34], v[46:47], v[33:34], v[44:45]
	s_delay_alu instid0(VALU_DEP_1) | instskip(SKIP_1) | instid1(VALU_DEP_1)
	v_ldexp_f64 v[33:34], v[33:34], v2
	s_wait_alu 0xfffd
	v_dual_cndmask_b32 v32, v34, v32 :: v_dual_cndmask_b32 v31, v33, v31
	s_delay_alu instid0(VALU_DEP_1) | instskip(NEXT) | instid1(VALU_DEP_1)
	v_div_scale_f64 v[33:34], null, v[31:32], v[31:32], 1.0
	v_rcp_f64_e32 v[44:45], v[33:34]
	s_delay_alu instid0(TRANS32_DEP_1) | instskip(NEXT) | instid1(VALU_DEP_1)
	v_fma_f64 v[46:47], -v[33:34], v[44:45], 1.0
	v_fma_f64 v[44:45], v[44:45], v[46:47], v[44:45]
	s_delay_alu instid0(VALU_DEP_1) | instskip(NEXT) | instid1(VALU_DEP_1)
	v_fma_f64 v[46:47], -v[33:34], v[44:45], 1.0
	v_fma_f64 v[44:45], v[44:45], v[46:47], v[44:45]
	v_div_scale_f64 v[46:47], vcc_lo, 1.0, v[31:32], 1.0
	s_delay_alu instid0(VALU_DEP_1) | instskip(NEXT) | instid1(VALU_DEP_1)
	v_mul_f64_e32 v[48:49], v[46:47], v[44:45]
	v_fma_f64 v[33:34], -v[33:34], v[48:49], v[46:47]
	s_wait_alu 0xfffd
	s_delay_alu instid0(VALU_DEP_1) | instskip(NEXT) | instid1(VALU_DEP_1)
	v_div_fmas_f64 v[33:34], v[33:34], v[44:45], v[48:49]
	v_div_fixup_f64 v[32:33], v[33:34], v[31:32], 1.0
	s_delay_alu instid0(VALU_DEP_1)
	v_mul_f64_e32 v[48:49], v[29:30], v[32:33]
                                        ; implicit-def: $vgpr30_vgpr31
.LBB68_88:                              ;   in Loop: Header=BB68_68 Depth=2
	s_wait_alu 0xfffe
	s_and_not1_saveexec_b32 s39, s39
	s_cbranch_execz .LBB68_90
; %bb.89:                               ;   in Loop: Header=BB68_68 Depth=2
	v_div_scale_f64 v[32:33], null, v[38:39], v[38:39], -v[30:31]
	v_div_scale_f64 v[46:47], vcc_lo, -v[30:31], v[38:39], -v[30:31]
	s_delay_alu instid0(VALU_DEP_2) | instskip(NEXT) | instid1(TRANS32_DEP_1)
	v_rcp_f64_e32 v[34:35], v[32:33]
	v_fma_f64 v[44:45], -v[32:33], v[34:35], 1.0
	s_delay_alu instid0(VALU_DEP_1) | instskip(NEXT) | instid1(VALU_DEP_1)
	v_fma_f64 v[34:35], v[34:35], v[44:45], v[34:35]
	v_fma_f64 v[44:45], -v[32:33], v[34:35], 1.0
	s_delay_alu instid0(VALU_DEP_1) | instskip(NEXT) | instid1(VALU_DEP_1)
	v_fma_f64 v[34:35], v[34:35], v[44:45], v[34:35]
	v_mul_f64_e32 v[44:45], v[46:47], v[34:35]
	s_delay_alu instid0(VALU_DEP_1) | instskip(SKIP_1) | instid1(VALU_DEP_1)
	v_fma_f64 v[32:33], -v[32:33], v[44:45], v[46:47]
	s_wait_alu 0xfffd
	v_div_fmas_f64 v[32:33], v[32:33], v[34:35], v[44:45]
	s_delay_alu instid0(VALU_DEP_1) | instskip(NEXT) | instid1(VALU_DEP_1)
	v_div_fixup_f64 v[29:30], v[32:33], v[38:39], -v[30:31]
	v_fma_f64 v[31:32], v[29:30], v[29:30], 1.0
	s_delay_alu instid0(VALU_DEP_1) | instskip(SKIP_2) | instid1(VALU_DEP_1)
	v_cmp_gt_f64_e32 vcc_lo, 0x10000000, v[31:32]
	s_wait_alu 0xfffd
	v_cndmask_b32_e64 v2, 0, 0x100, vcc_lo
	v_ldexp_f64 v[31:32], v[31:32], v2
	v_cndmask_b32_e64 v2, 0, 0xffffff80, vcc_lo
	s_delay_alu instid0(VALU_DEP_2) | instskip(SKIP_1) | instid1(TRANS32_DEP_1)
	v_rsq_f64_e32 v[33:34], v[31:32]
	v_cmp_class_f64_e64 vcc_lo, v[31:32], 0x260
	v_mul_f64_e32 v[44:45], v[31:32], v[33:34]
	v_mul_f64_e32 v[33:34], 0.5, v[33:34]
	s_delay_alu instid0(VALU_DEP_1) | instskip(NEXT) | instid1(VALU_DEP_1)
	v_fma_f64 v[46:47], -v[33:34], v[44:45], 0.5
	v_fma_f64 v[44:45], v[44:45], v[46:47], v[44:45]
	v_fma_f64 v[33:34], v[33:34], v[46:47], v[33:34]
	s_delay_alu instid0(VALU_DEP_2) | instskip(NEXT) | instid1(VALU_DEP_1)
	v_fma_f64 v[46:47], -v[44:45], v[44:45], v[31:32]
	v_fma_f64 v[44:45], v[46:47], v[33:34], v[44:45]
	s_delay_alu instid0(VALU_DEP_1) | instskip(NEXT) | instid1(VALU_DEP_1)
	v_fma_f64 v[46:47], -v[44:45], v[44:45], v[31:32]
	v_fma_f64 v[33:34], v[46:47], v[33:34], v[44:45]
	s_delay_alu instid0(VALU_DEP_1) | instskip(SKIP_1) | instid1(VALU_DEP_1)
	v_ldexp_f64 v[33:34], v[33:34], v2
	s_wait_alu 0xfffd
	v_dual_cndmask_b32 v32, v34, v32 :: v_dual_cndmask_b32 v31, v33, v31
	s_delay_alu instid0(VALU_DEP_1) | instskip(NEXT) | instid1(VALU_DEP_1)
	v_div_scale_f64 v[33:34], null, v[31:32], v[31:32], 1.0
	v_rcp_f64_e32 v[44:45], v[33:34]
	s_delay_alu instid0(TRANS32_DEP_1) | instskip(NEXT) | instid1(VALU_DEP_1)
	v_fma_f64 v[46:47], -v[33:34], v[44:45], 1.0
	v_fma_f64 v[44:45], v[44:45], v[46:47], v[44:45]
	s_delay_alu instid0(VALU_DEP_1) | instskip(NEXT) | instid1(VALU_DEP_1)
	v_fma_f64 v[46:47], -v[33:34], v[44:45], 1.0
	v_fma_f64 v[44:45], v[44:45], v[46:47], v[44:45]
	v_div_scale_f64 v[46:47], vcc_lo, 1.0, v[31:32], 1.0
	s_delay_alu instid0(VALU_DEP_1) | instskip(NEXT) | instid1(VALU_DEP_1)
	v_mul_f64_e32 v[48:49], v[46:47], v[44:45]
	v_fma_f64 v[33:34], -v[33:34], v[48:49], v[46:47]
	s_wait_alu 0xfffd
	s_delay_alu instid0(VALU_DEP_1) | instskip(NEXT) | instid1(VALU_DEP_1)
	v_div_fmas_f64 v[33:34], v[33:34], v[44:45], v[48:49]
	v_div_fixup_f64 v[48:49], v[33:34], v[31:32], 1.0
	s_delay_alu instid0(VALU_DEP_1)
	v_mul_f64_e32 v[32:33], v[29:30], v[48:49]
.LBB68_90:                              ;   in Loop: Header=BB68_68 Depth=2
	s_wait_alu 0xfffe
	s_or_b32 exec_lo, exec_lo, s39
.LBB68_91:                              ;   in Loop: Header=BB68_68 Depth=2
	s_delay_alu instid0(SALU_CYCLE_1)
	s_or_b32 exec_lo, exec_lo, s33
.LBB68_92:                              ;   in Loop: Header=BB68_68 Depth=2
	s_wait_alu 0xfffe
	s_or_b32 exec_lo, exec_lo, s3
	global_load_b64 v[29:30], v[36:37], off offset:8
	v_add_f64_e32 v[34:35], v[32:33], v[32:33]
	s_mov_b32 s33, exec_lo
	s_wait_loadcnt 0x0
	v_add_f64_e64 v[29:30], v[29:30], -v[42:43]
	s_delay_alu instid0(VALU_DEP_1) | instskip(NEXT) | instid1(VALU_DEP_1)
	v_mul_f64_e32 v[29:30], v[48:49], v[29:30]
	v_fma_f64 v[29:30], v[38:39], v[34:35], -v[29:30]
	s_delay_alu instid0(VALU_DEP_1)
	v_mul_f64_e64 v[34:35], v[29:30], -v[48:49]
	v_fma_f64 v[42:43], v[29:30], -v[48:49], v[42:43]
	v_fma_f64 v[30:31], v[32:33], v[29:30], -v[38:39]
	v_add_co_u32 v39, vcc_lo, s50, v40
	s_wait_alu 0xfffd
	v_add_co_ci_u32_e64 v40, null, s51, v41, vcc_lo
	v_xor_b32_e32 v49, 0x80000000, v49
	v_add_nc_u32_e32 v38, 1, v1
	v_add_co_u32 v44, vcc_lo, v39, s56
	s_wait_alu 0xfffd
	v_add_co_ci_u32_e64 v45, null, s57, v40, vcc_lo
	ds_store_b64 v8, v[34:35]
	global_store_b64 v[36:37], v[42:43], off
	s_clause 0x1
	global_store_b64 v[39:40], v[32:33], off
	global_store_b64 v[44:45], v[48:49], off offset:-8
	v_cmpx_lt_i32_e64 v38, v26
	s_cbranch_execz .LBB68_109
; %bb.93:                               ;   in Loop: Header=BB68_68 Depth=2
	v_ashrrev_i32_e32 v39, 31, v38
	s_mov_b32 s41, 1
	s_mov_b32 s39, 0
	s_delay_alu instid0(VALU_DEP_1) | instskip(NEXT) | instid1(VALU_DEP_1)
	v_lshlrev_b64_e32 v[40:41], 3, v[38:39]
	v_add_co_u32 v36, vcc_lo, s50, v40
	s_wait_alu 0xfffd
	s_delay_alu instid0(VALU_DEP_2)
	v_add_co_ci_u32_e64 v37, null, s51, v41, vcc_lo
	v_add_co_u32 v38, vcc_lo, s64, v40
	s_wait_alu 0xfffd
	v_add_co_ci_u32_e64 v39, null, s65, v41, vcc_lo
	v_add_co_u32 v40, vcc_lo, s54, v40
	s_wait_alu 0xfffd
	v_add_co_ci_u32_e64 v41, null, s55, v41, vcc_lo
	s_branch .LBB68_95
.LBB68_94:                              ;   in Loop: Header=BB68_95 Depth=3
	global_load_b128 v[50:53], v[40:41], off
	v_mul_f64_e32 v[31:32], v[32:33], v[42:43]
	v_add_f64_e32 v[42:43], v[46:47], v[46:47]
	v_add_co_u32 v38, vcc_lo, v38, 8
	s_wait_alu 0xfffd
	v_add_co_ci_u32_e64 v39, null, 0, v39, vcc_lo
	s_add_co_i32 s41, s41, 1
	s_wait_loadcnt 0x0
	v_add_f64_e64 v[29:30], v[50:51], -v[34:35]
	s_delay_alu instid0(VALU_DEP_1) | instskip(NEXT) | instid1(VALU_DEP_1)
	v_add_f64_e64 v[34:35], v[52:53], -v[29:30]
	v_mul_f64_e32 v[33:34], v[48:49], v[34:35]
	s_delay_alu instid0(VALU_DEP_1) | instskip(NEXT) | instid1(VALU_DEP_1)
	v_fma_f64 v[42:43], v[31:32], v[42:43], -v[33:34]
	v_fma_f64 v[44:45], v[42:43], -v[48:49], v[29:30]
	v_mul_f64_e64 v[34:35], v[42:43], -v[48:49]
	v_fma_f64 v[30:31], v[46:47], v[42:43], -v[31:32]
	v_add_co_u32 v32, vcc_lo, v40, 8
	s_wait_alu 0xfffd
	v_add_co_ci_u32_e64 v33, null, 0, v41, vcc_lo
	s_wait_alu 0xfffe
	v_add_nc_u32_e32 v2, s41, v1
	v_add_co_u32 v42, vcc_lo, v36, s66
	s_wait_alu 0xfffd
	v_add_co_ci_u32_e64 v43, null, s67, v37, vcc_lo
	v_xor_b32_e32 v49, 0x80000000, v49
	global_store_b64 v[40:41], v[44:45], off
	global_store_b64 v[36:37], v[46:47], off
	v_add_co_u32 v36, s3, v36, 8
	v_mov_b32_e32 v41, v33
	v_cmp_ge_i32_e32 vcc_lo, v2, v26
	v_mov_b32_e32 v40, v32
	v_mov_b32_e32 v32, v46
	s_wait_alu 0xf1ff
	v_add_co_ci_u32_e64 v37, null, 0, v37, s3
	v_mov_b32_e32 v33, v47
	s_or_b32 s39, vcc_lo, s39
	global_store_b64 v[42:43], v[48:49], off
	s_wait_alu 0xfffe
	s_and_not1_b32 exec_lo, exec_lo, s39
	s_cbranch_execz .LBB68_108
.LBB68_95:                              ;   Parent Loop BB68_7 Depth=1
                                        ;     Parent Loop BB68_68 Depth=2
                                        ; =>    This Inner Loop Header: Depth=3
	global_load_b64 v[42:43], v[38:39], off offset:8
	s_mov_b32 s3, exec_lo
	v_mov_b32_e32 v46, 0
	v_mov_b32_e32 v47, 0x3ff00000
	s_wait_loadcnt 0x0
	v_mul_f64_e32 v[44:45], v[48:49], v[42:43]
	v_mov_b32_e32 v48, 0
	v_mov_b32_e32 v49, 0
	s_delay_alu instid0(VALU_DEP_3)
	v_cmpx_neq_f64_e32 0, v[44:45]
	s_cbranch_execz .LBB68_105
; %bb.96:                               ;   in Loop: Header=BB68_95 Depth=3
	v_xor_b32_e32 v51, 0x80000000, v45
	v_mov_b32_e32 v50, v44
	s_mov_b32 s76, exec_lo
                                        ; implicit-def: $vgpr48_vgpr49
                                        ; implicit-def: $vgpr46_vgpr47
	v_cmpx_neq_f64_e32 0, v[30:31]
	s_xor_b32 s76, exec_lo, s76
	s_cbranch_execz .LBB68_102
; %bb.97:                               ;   in Loop: Header=BB68_95 Depth=3
	v_cmp_ngt_f64_e64 s80, |v[44:45]|, |v[30:31]|
                                        ; implicit-def: $vgpr48_vgpr49
                                        ; implicit-def: $vgpr46_vgpr47
	s_and_saveexec_b32 s81, s80
	s_wait_alu 0xfffe
	s_xor_b32 s80, exec_lo, s81
	s_cbranch_execz .LBB68_99
; %bb.98:                               ;   in Loop: Header=BB68_95 Depth=3
	v_div_scale_f64 v[46:47], null, v[30:31], v[30:31], -v[44:45]
	v_div_scale_f64 v[52:53], vcc_lo, -v[44:45], v[30:31], -v[44:45]
	s_delay_alu instid0(VALU_DEP_2) | instskip(NEXT) | instid1(TRANS32_DEP_1)
	v_rcp_f64_e32 v[48:49], v[46:47]
	v_fma_f64 v[50:51], -v[46:47], v[48:49], 1.0
	s_delay_alu instid0(VALU_DEP_1) | instskip(NEXT) | instid1(VALU_DEP_1)
	v_fma_f64 v[48:49], v[48:49], v[50:51], v[48:49]
	v_fma_f64 v[50:51], -v[46:47], v[48:49], 1.0
	s_delay_alu instid0(VALU_DEP_1) | instskip(NEXT) | instid1(VALU_DEP_1)
	v_fma_f64 v[48:49], v[48:49], v[50:51], v[48:49]
	v_mul_f64_e32 v[50:51], v[52:53], v[48:49]
	s_delay_alu instid0(VALU_DEP_1) | instskip(SKIP_1) | instid1(VALU_DEP_1)
	v_fma_f64 v[46:47], -v[46:47], v[50:51], v[52:53]
	s_wait_alu 0xfffd
	v_div_fmas_f64 v[46:47], v[46:47], v[48:49], v[50:51]
	s_delay_alu instid0(VALU_DEP_1) | instskip(NEXT) | instid1(VALU_DEP_1)
	v_div_fixup_f64 v[48:49], v[46:47], v[30:31], -v[44:45]
	v_fma_f64 v[46:47], v[48:49], v[48:49], 1.0
	s_delay_alu instid0(VALU_DEP_1) | instskip(SKIP_2) | instid1(VALU_DEP_1)
	v_cmp_gt_f64_e32 vcc_lo, 0x10000000, v[46:47]
	s_wait_alu 0xfffd
	v_cndmask_b32_e64 v2, 0, 0x100, vcc_lo
	v_ldexp_f64 v[46:47], v[46:47], v2
	v_cndmask_b32_e64 v2, 0, 0xffffff80, vcc_lo
	s_delay_alu instid0(VALU_DEP_2) | instskip(SKIP_1) | instid1(TRANS32_DEP_1)
	v_rsq_f64_e32 v[50:51], v[46:47]
	v_cmp_class_f64_e64 vcc_lo, v[46:47], 0x260
	v_mul_f64_e32 v[52:53], v[46:47], v[50:51]
	v_mul_f64_e32 v[50:51], 0.5, v[50:51]
	s_delay_alu instid0(VALU_DEP_1) | instskip(NEXT) | instid1(VALU_DEP_1)
	v_fma_f64 v[54:55], -v[50:51], v[52:53], 0.5
	v_fma_f64 v[52:53], v[52:53], v[54:55], v[52:53]
	v_fma_f64 v[50:51], v[50:51], v[54:55], v[50:51]
	s_delay_alu instid0(VALU_DEP_2) | instskip(NEXT) | instid1(VALU_DEP_1)
	v_fma_f64 v[54:55], -v[52:53], v[52:53], v[46:47]
	v_fma_f64 v[52:53], v[54:55], v[50:51], v[52:53]
	s_delay_alu instid0(VALU_DEP_1) | instskip(NEXT) | instid1(VALU_DEP_1)
	v_fma_f64 v[54:55], -v[52:53], v[52:53], v[46:47]
	v_fma_f64 v[50:51], v[54:55], v[50:51], v[52:53]
	s_delay_alu instid0(VALU_DEP_1) | instskip(SKIP_1) | instid1(VALU_DEP_1)
	v_ldexp_f64 v[50:51], v[50:51], v2
	s_wait_alu 0xfffd
	v_dual_cndmask_b32 v47, v51, v47 :: v_dual_cndmask_b32 v46, v50, v46
	s_delay_alu instid0(VALU_DEP_1) | instskip(NEXT) | instid1(VALU_DEP_1)
	v_div_scale_f64 v[50:51], null, v[46:47], v[46:47], 1.0
	v_rcp_f64_e32 v[52:53], v[50:51]
	s_delay_alu instid0(TRANS32_DEP_1) | instskip(NEXT) | instid1(VALU_DEP_1)
	v_fma_f64 v[54:55], -v[50:51], v[52:53], 1.0
	v_fma_f64 v[52:53], v[52:53], v[54:55], v[52:53]
	s_delay_alu instid0(VALU_DEP_1) | instskip(NEXT) | instid1(VALU_DEP_1)
	v_fma_f64 v[54:55], -v[50:51], v[52:53], 1.0
	v_fma_f64 v[52:53], v[52:53], v[54:55], v[52:53]
	v_div_scale_f64 v[54:55], vcc_lo, 1.0, v[46:47], 1.0
	s_delay_alu instid0(VALU_DEP_1) | instskip(NEXT) | instid1(VALU_DEP_1)
	v_mul_f64_e32 v[61:62], v[54:55], v[52:53]
	v_fma_f64 v[50:51], -v[50:51], v[61:62], v[54:55]
	s_wait_alu 0xfffd
	s_delay_alu instid0(VALU_DEP_1) | instskip(NEXT) | instid1(VALU_DEP_1)
	v_div_fmas_f64 v[50:51], v[50:51], v[52:53], v[61:62]
	v_div_fixup_f64 v[46:47], v[50:51], v[46:47], 1.0
	s_delay_alu instid0(VALU_DEP_1)
	v_mul_f64_e32 v[48:49], v[48:49], v[46:47]
.LBB68_99:                              ;   in Loop: Header=BB68_95 Depth=3
	s_wait_alu 0xfffe
	s_and_not1_saveexec_b32 s80, s80
	s_cbranch_execz .LBB68_101
; %bb.100:                              ;   in Loop: Header=BB68_95 Depth=3
	v_div_scale_f64 v[46:47], null, v[44:45], v[44:45], -v[30:31]
	v_div_scale_f64 v[52:53], vcc_lo, -v[30:31], v[44:45], -v[30:31]
	s_delay_alu instid0(VALU_DEP_2) | instskip(NEXT) | instid1(TRANS32_DEP_1)
	v_rcp_f64_e32 v[48:49], v[46:47]
	v_fma_f64 v[50:51], -v[46:47], v[48:49], 1.0
	s_delay_alu instid0(VALU_DEP_1) | instskip(NEXT) | instid1(VALU_DEP_1)
	v_fma_f64 v[48:49], v[48:49], v[50:51], v[48:49]
	v_fma_f64 v[50:51], -v[46:47], v[48:49], 1.0
	s_delay_alu instid0(VALU_DEP_1) | instskip(NEXT) | instid1(VALU_DEP_1)
	v_fma_f64 v[48:49], v[48:49], v[50:51], v[48:49]
	v_mul_f64_e32 v[50:51], v[52:53], v[48:49]
	s_delay_alu instid0(VALU_DEP_1) | instskip(SKIP_1) | instid1(VALU_DEP_1)
	v_fma_f64 v[46:47], -v[46:47], v[50:51], v[52:53]
	s_wait_alu 0xfffd
	v_div_fmas_f64 v[46:47], v[46:47], v[48:49], v[50:51]
	s_delay_alu instid0(VALU_DEP_1) | instskip(NEXT) | instid1(VALU_DEP_1)
	v_div_fixup_f64 v[46:47], v[46:47], v[44:45], -v[30:31]
	v_fma_f64 v[48:49], v[46:47], v[46:47], 1.0
	s_delay_alu instid0(VALU_DEP_1) | instskip(SKIP_2) | instid1(VALU_DEP_1)
	v_cmp_gt_f64_e32 vcc_lo, 0x10000000, v[48:49]
	s_wait_alu 0xfffd
	v_cndmask_b32_e64 v2, 0, 0x100, vcc_lo
	v_ldexp_f64 v[48:49], v[48:49], v2
	v_cndmask_b32_e64 v2, 0, 0xffffff80, vcc_lo
	s_delay_alu instid0(VALU_DEP_2) | instskip(SKIP_1) | instid1(TRANS32_DEP_1)
	v_rsq_f64_e32 v[50:51], v[48:49]
	v_cmp_class_f64_e64 vcc_lo, v[48:49], 0x260
	v_mul_f64_e32 v[52:53], v[48:49], v[50:51]
	v_mul_f64_e32 v[50:51], 0.5, v[50:51]
	s_delay_alu instid0(VALU_DEP_1) | instskip(NEXT) | instid1(VALU_DEP_1)
	v_fma_f64 v[54:55], -v[50:51], v[52:53], 0.5
	v_fma_f64 v[52:53], v[52:53], v[54:55], v[52:53]
	v_fma_f64 v[50:51], v[50:51], v[54:55], v[50:51]
	s_delay_alu instid0(VALU_DEP_2) | instskip(NEXT) | instid1(VALU_DEP_1)
	v_fma_f64 v[54:55], -v[52:53], v[52:53], v[48:49]
	v_fma_f64 v[52:53], v[54:55], v[50:51], v[52:53]
	s_delay_alu instid0(VALU_DEP_1) | instskip(NEXT) | instid1(VALU_DEP_1)
	v_fma_f64 v[54:55], -v[52:53], v[52:53], v[48:49]
	v_fma_f64 v[50:51], v[54:55], v[50:51], v[52:53]
	s_delay_alu instid0(VALU_DEP_1) | instskip(SKIP_1) | instid1(VALU_DEP_1)
	v_ldexp_f64 v[50:51], v[50:51], v2
	s_wait_alu 0xfffd
	v_dual_cndmask_b32 v49, v51, v49 :: v_dual_cndmask_b32 v48, v50, v48
	s_delay_alu instid0(VALU_DEP_1) | instskip(NEXT) | instid1(VALU_DEP_1)
	v_div_scale_f64 v[50:51], null, v[48:49], v[48:49], 1.0
	v_rcp_f64_e32 v[52:53], v[50:51]
	s_delay_alu instid0(TRANS32_DEP_1) | instskip(NEXT) | instid1(VALU_DEP_1)
	v_fma_f64 v[54:55], -v[50:51], v[52:53], 1.0
	v_fma_f64 v[52:53], v[52:53], v[54:55], v[52:53]
	s_delay_alu instid0(VALU_DEP_1) | instskip(NEXT) | instid1(VALU_DEP_1)
	v_fma_f64 v[54:55], -v[50:51], v[52:53], 1.0
	v_fma_f64 v[52:53], v[52:53], v[54:55], v[52:53]
	v_div_scale_f64 v[54:55], vcc_lo, 1.0, v[48:49], 1.0
	s_delay_alu instid0(VALU_DEP_1) | instskip(NEXT) | instid1(VALU_DEP_1)
	v_mul_f64_e32 v[61:62], v[54:55], v[52:53]
	v_fma_f64 v[50:51], -v[50:51], v[61:62], v[54:55]
	s_wait_alu 0xfffd
	s_delay_alu instid0(VALU_DEP_1) | instskip(NEXT) | instid1(VALU_DEP_1)
	v_div_fmas_f64 v[50:51], v[50:51], v[52:53], v[61:62]
	v_div_fixup_f64 v[48:49], v[50:51], v[48:49], 1.0
	s_delay_alu instid0(VALU_DEP_1)
	v_mul_f64_e32 v[46:47], v[46:47], v[48:49]
.LBB68_101:                             ;   in Loop: Header=BB68_95 Depth=3
	s_wait_alu 0xfffe
	s_or_b32 exec_lo, exec_lo, s80
	s_delay_alu instid0(VALU_DEP_1) | instskip(NEXT) | instid1(VALU_DEP_1)
	v_mul_f64_e32 v[44:45], v[44:45], v[48:49]
	v_fma_f64 v[50:51], v[30:31], v[46:47], -v[44:45]
.LBB68_102:                             ;   in Loop: Header=BB68_95 Depth=3
	s_and_not1_saveexec_b32 s76, s76
; %bb.103:                              ;   in Loop: Header=BB68_95 Depth=3
	v_mov_b32_e32 v46, 0
	v_dual_mov_b32 v47, 0 :: v_dual_mov_b32 v48, 0
	v_mov_b32_e32 v49, 0x3ff00000
; %bb.104:                              ;   in Loop: Header=BB68_95 Depth=3
	s_or_b32 exec_lo, exec_lo, s76
	s_delay_alu instid0(VALU_DEP_4)
	v_dual_mov_b32 v30, v50 :: v_dual_mov_b32 v31, v51
.LBB68_105:                             ;   in Loop: Header=BB68_95 Depth=3
	s_wait_alu 0xfffe
	s_or_b32 exec_lo, exec_lo, s3
	s_cmp_eq_u32 s41, 0
	s_cbranch_scc1 .LBB68_94
; %bb.106:                              ;   in Loop: Header=BB68_95 Depth=3
	global_store_b64 v[38:39], v[30:31], off
	s_branch .LBB68_94
.LBB68_107:                             ;   in Loop: Header=BB68_68 Depth=2
	ds_store_2addr_b32 v8, v1, v26 offset0:5 offset1:7
	s_cbranch_execz .LBB68_80
	s_branch .LBB68_81
.LBB68_108:                             ;   in Loop: Header=BB68_68 Depth=2
	s_or_b32 exec_lo, exec_lo, s39
	ds_store_b64 v8, v[34:35]
.LBB68_109:                             ;   in Loop: Header=BB68_68 Depth=2
	s_or_b32 exec_lo, exec_lo, s33
	global_load_b64 v[38:39], v[27:28], off
.LBB68_110:                             ;   in Loop: Header=BB68_68 Depth=2
	s_wait_alu 0xfffe
	s_or_b32 exec_lo, exec_lo, s31
	s_wait_loadcnt 0x0
	v_add_f64_e64 v[1:2], v[38:39], -v[34:35]
                                        ; implicit-def: $vgpr26
                                        ; implicit-def: $vgpr38_vgpr39
	global_store_b64 v[27:28], v[1:2], off
	global_store_b64 v[3:4], v[30:31], off offset:-8
                                        ; implicit-def: $vgpr27_vgpr28
                                        ; implicit-def: $vgpr30_vgpr31
                                        ; implicit-def: $vgpr1
.LBB68_111:                             ;   in Loop: Header=BB68_68 Depth=2
	s_wait_alu 0xfffe
	s_and_not1_saveexec_b32 s10, s10
	s_cbranch_execz .LBB68_148
; %bb.112:                              ;   in Loop: Header=BB68_68 Depth=2
	v_ashrrev_i32_e32 v2, 31, v1
                                        ; implicit-def: $vgpr42_vgpr43
	s_delay_alu instid0(VALU_DEP_1) | instskip(NEXT) | instid1(VALU_DEP_1)
	v_lshlrev_b64_e32 v[32:33], 3, v[1:2]
	v_add_co_u32 v1, vcc_lo, s18, v32
	s_wait_alu 0xfffd
	s_delay_alu instid0(VALU_DEP_2)
	v_add_co_ci_u32_e64 v2, null, s19, v33, vcc_lo
	v_add_co_u32 v3, vcc_lo, s46, v32
	s_wait_alu 0xfffd
	v_add_co_ci_u32_e64 v4, null, s47, v33, vcc_lo
	global_load_b64 v[1:2], v[1:2], off
	global_load_b64 v[40:41], v[3:4], off
	s_wait_loadcnt 0x1
	v_add_f64_e64 v[36:37], v[1:2], -v[38:39]
	s_wait_loadcnt 0x0
	v_add_f64_e32 v[34:35], v[40:41], v[40:41]
	s_delay_alu instid0(VALU_DEP_1)
	v_cmp_ngt_f64_e64 s3, |v[36:37]|, |v[34:35]|
	s_and_saveexec_b32 s31, s3
	s_wait_alu 0xfffe
	s_xor_b32 s3, exec_lo, s31
	s_cbranch_execz .LBB68_118
; %bb.113:                              ;   in Loop: Header=BB68_68 Depth=2
	v_cmp_nlt_f64_e64 s31, |v[36:37]|, |v[34:35]|
                                        ; implicit-def: $vgpr42_vgpr43
	s_and_saveexec_b32 s33, s31
	s_delay_alu instid0(SALU_CYCLE_1)
	s_xor_b32 s31, exec_lo, s33
	s_cbranch_execz .LBB68_115
; %bb.114:                              ;   in Loop: Header=BB68_68 Depth=2
	v_mul_f64_e64 v[42:43], |v[34:35]|, s[78:79]
.LBB68_115:                             ;   in Loop: Header=BB68_68 Depth=2
	s_wait_alu 0xfffe
	s_and_not1_saveexec_b32 s31, s31
	s_cbranch_execz .LBB68_117
; %bb.116:                              ;   in Loop: Header=BB68_68 Depth=2
	v_dual_mov_b32 v3, v36 :: v_dual_and_b32 v4, 0x7fffffff, v37
	v_dual_mov_b32 v42, v34 :: v_dual_and_b32 v43, 0x7fffffff, v35
	s_delay_alu instid0(VALU_DEP_1) | instskip(SKIP_1) | instid1(VALU_DEP_2)
	v_div_scale_f64 v[44:45], null, v[42:43], v[42:43], v[3:4]
	v_div_scale_f64 v[3:4], vcc_lo, v[3:4], v[42:43], v[3:4]
	v_rcp_f64_e32 v[46:47], v[44:45]
	s_delay_alu instid0(TRANS32_DEP_1) | instskip(NEXT) | instid1(VALU_DEP_1)
	v_fma_f64 v[48:49], -v[44:45], v[46:47], 1.0
	v_fma_f64 v[46:47], v[46:47], v[48:49], v[46:47]
	s_delay_alu instid0(VALU_DEP_1) | instskip(NEXT) | instid1(VALU_DEP_1)
	v_fma_f64 v[48:49], -v[44:45], v[46:47], 1.0
	v_fma_f64 v[42:43], v[46:47], v[48:49], v[46:47]
	s_delay_alu instid0(VALU_DEP_1) | instskip(NEXT) | instid1(VALU_DEP_1)
	v_mul_f64_e32 v[46:47], v[3:4], v[42:43]
	v_fma_f64 v[3:4], -v[44:45], v[46:47], v[3:4]
	s_wait_alu 0xfffd
	s_delay_alu instid0(VALU_DEP_1) | instskip(NEXT) | instid1(VALU_DEP_1)
	v_div_fmas_f64 v[3:4], v[3:4], v[42:43], v[46:47]
	v_div_fixup_f64 v[3:4], v[3:4], |v[34:35]|, |v[36:37]|
	s_delay_alu instid0(VALU_DEP_1) | instskip(NEXT) | instid1(VALU_DEP_1)
	v_fma_f64 v[3:4], v[3:4], v[3:4], 1.0
	v_cmp_gt_f64_e32 vcc_lo, 0x10000000, v[3:4]
	s_wait_alu 0xfffd
	v_cndmask_b32_e64 v9, 0, 0x100, vcc_lo
	s_delay_alu instid0(VALU_DEP_1) | instskip(SKIP_1) | instid1(VALU_DEP_2)
	v_ldexp_f64 v[3:4], v[3:4], v9
	v_cndmask_b32_e64 v9, 0, 0xffffff80, vcc_lo
	v_rsq_f64_e32 v[42:43], v[3:4]
	v_cmp_class_f64_e64 vcc_lo, v[3:4], 0x260
	s_delay_alu instid0(TRANS32_DEP_1) | instskip(SKIP_1) | instid1(VALU_DEP_1)
	v_mul_f64_e32 v[44:45], v[3:4], v[42:43]
	v_mul_f64_e32 v[42:43], 0.5, v[42:43]
	v_fma_f64 v[46:47], -v[42:43], v[44:45], 0.5
	s_delay_alu instid0(VALU_DEP_1) | instskip(SKIP_1) | instid1(VALU_DEP_2)
	v_fma_f64 v[44:45], v[44:45], v[46:47], v[44:45]
	v_fma_f64 v[42:43], v[42:43], v[46:47], v[42:43]
	v_fma_f64 v[46:47], -v[44:45], v[44:45], v[3:4]
	s_delay_alu instid0(VALU_DEP_1) | instskip(NEXT) | instid1(VALU_DEP_1)
	v_fma_f64 v[44:45], v[46:47], v[42:43], v[44:45]
	v_fma_f64 v[46:47], -v[44:45], v[44:45], v[3:4]
	s_delay_alu instid0(VALU_DEP_1) | instskip(NEXT) | instid1(VALU_DEP_1)
	v_fma_f64 v[42:43], v[46:47], v[42:43], v[44:45]
	v_ldexp_f64 v[42:43], v[42:43], v9
	s_wait_alu 0xfffd
	s_delay_alu instid0(VALU_DEP_1) | instskip(NEXT) | instid1(VALU_DEP_1)
	v_dual_cndmask_b32 v4, v43, v4 :: v_dual_cndmask_b32 v3, v42, v3
	v_mul_f64_e64 v[42:43], |v[34:35]|, v[3:4]
.LBB68_117:                             ;   in Loop: Header=BB68_68 Depth=2
	s_wait_alu 0xfffe
	s_or_b32 exec_lo, exec_lo, s31
.LBB68_118:                             ;   in Loop: Header=BB68_68 Depth=2
	s_wait_alu 0xfffe
	s_and_not1_saveexec_b32 s3, s3
	s_cbranch_execz .LBB68_120
; %bb.119:                              ;   in Loop: Header=BB68_68 Depth=2
	v_dual_mov_b32 v3, v34 :: v_dual_and_b32 v4, 0x7fffffff, v35
	v_dual_mov_b32 v42, v36 :: v_dual_and_b32 v43, 0x7fffffff, v37
	s_delay_alu instid0(VALU_DEP_1) | instskip(SKIP_1) | instid1(VALU_DEP_2)
	v_div_scale_f64 v[44:45], null, v[42:43], v[42:43], v[3:4]
	v_div_scale_f64 v[3:4], vcc_lo, v[3:4], v[42:43], v[3:4]
	v_rcp_f64_e32 v[46:47], v[44:45]
	s_delay_alu instid0(TRANS32_DEP_1) | instskip(NEXT) | instid1(VALU_DEP_1)
	v_fma_f64 v[48:49], -v[44:45], v[46:47], 1.0
	v_fma_f64 v[46:47], v[46:47], v[48:49], v[46:47]
	s_delay_alu instid0(VALU_DEP_1) | instskip(NEXT) | instid1(VALU_DEP_1)
	v_fma_f64 v[48:49], -v[44:45], v[46:47], 1.0
	v_fma_f64 v[42:43], v[46:47], v[48:49], v[46:47]
	s_delay_alu instid0(VALU_DEP_1) | instskip(NEXT) | instid1(VALU_DEP_1)
	v_mul_f64_e32 v[46:47], v[3:4], v[42:43]
	v_fma_f64 v[3:4], -v[44:45], v[46:47], v[3:4]
	s_wait_alu 0xfffd
	s_delay_alu instid0(VALU_DEP_1) | instskip(NEXT) | instid1(VALU_DEP_1)
	v_div_fmas_f64 v[3:4], v[3:4], v[42:43], v[46:47]
	v_div_fixup_f64 v[3:4], v[3:4], |v[36:37]|, |v[34:35]|
	s_delay_alu instid0(VALU_DEP_1) | instskip(NEXT) | instid1(VALU_DEP_1)
	v_fma_f64 v[3:4], v[3:4], v[3:4], 1.0
	v_cmp_gt_f64_e32 vcc_lo, 0x10000000, v[3:4]
	s_wait_alu 0xfffd
	v_cndmask_b32_e64 v9, 0, 0x100, vcc_lo
	s_delay_alu instid0(VALU_DEP_1) | instskip(SKIP_1) | instid1(VALU_DEP_2)
	v_ldexp_f64 v[3:4], v[3:4], v9
	v_cndmask_b32_e64 v9, 0, 0xffffff80, vcc_lo
	v_rsq_f64_e32 v[42:43], v[3:4]
	v_cmp_class_f64_e64 vcc_lo, v[3:4], 0x260
	s_delay_alu instid0(TRANS32_DEP_1) | instskip(SKIP_1) | instid1(VALU_DEP_1)
	v_mul_f64_e32 v[44:45], v[3:4], v[42:43]
	v_mul_f64_e32 v[42:43], 0.5, v[42:43]
	v_fma_f64 v[46:47], -v[42:43], v[44:45], 0.5
	s_delay_alu instid0(VALU_DEP_1) | instskip(SKIP_1) | instid1(VALU_DEP_2)
	v_fma_f64 v[44:45], v[44:45], v[46:47], v[44:45]
	v_fma_f64 v[42:43], v[42:43], v[46:47], v[42:43]
	v_fma_f64 v[46:47], -v[44:45], v[44:45], v[3:4]
	s_delay_alu instid0(VALU_DEP_1) | instskip(NEXT) | instid1(VALU_DEP_1)
	v_fma_f64 v[44:45], v[46:47], v[42:43], v[44:45]
	v_fma_f64 v[46:47], -v[44:45], v[44:45], v[3:4]
	s_delay_alu instid0(VALU_DEP_1) | instskip(NEXT) | instid1(VALU_DEP_1)
	v_fma_f64 v[42:43], v[46:47], v[42:43], v[44:45]
	v_ldexp_f64 v[42:43], v[42:43], v9
	s_wait_alu 0xfffd
	s_delay_alu instid0(VALU_DEP_1) | instskip(NEXT) | instid1(VALU_DEP_1)
	v_dual_cndmask_b32 v4, v43, v4 :: v_dual_cndmask_b32 v3, v42, v3
	v_mul_f64_e64 v[42:43], |v[36:37]|, v[3:4]
.LBB68_120:                             ;   in Loop: Header=BB68_68 Depth=2
	s_wait_alu 0xfffe
	s_or_b32 exec_lo, exec_lo, s3
	v_cmp_gt_f64_e64 vcc_lo, |v[1:2]|, |v[38:39]|
	v_add_f64_e32 v[46:47], v[38:39], v[1:2]
	s_mov_b32 s31, exec_lo
	s_wait_alu 0xfffd
	v_dual_cndmask_b32 v45, v2, v39 :: v_dual_cndmask_b32 v44, v1, v38
	v_dual_cndmask_b32 v39, v39, v2 :: v_dual_cndmask_b32 v38, v38, v1
                                        ; implicit-def: $vgpr3_vgpr4
	s_delay_alu instid0(VALU_DEP_3)
	v_cmpx_ngt_f64_e32 0, v[46:47]
	s_wait_alu 0xfffe
	s_xor_b32 s31, exec_lo, s31
	s_cbranch_execz .LBB68_126
; %bb.121:                              ;   in Loop: Header=BB68_68 Depth=2
	s_mov_b32 s3, exec_lo
                                        ; implicit-def: $vgpr3_vgpr4
	v_cmpx_nlt_f64_e32 0, v[46:47]
	s_wait_alu 0xfffe
	s_xor_b32 s3, exec_lo, s3
	s_cbranch_execz .LBB68_123
; %bb.122:                              ;   in Loop: Header=BB68_68 Depth=2
	v_mul_f64_e32 v[1:2], 0.5, v[42:43]
	v_mul_f64_e32 v[3:4], -0.5, v[42:43]
                                        ; implicit-def: $vgpr46_vgpr47
                                        ; implicit-def: $vgpr38_vgpr39
                                        ; implicit-def: $vgpr40_vgpr41
                                        ; implicit-def: $vgpr44_vgpr45
.LBB68_123:                             ;   in Loop: Header=BB68_68 Depth=2
	s_wait_alu 0xfffe
	s_and_not1_saveexec_b32 s33, s3
	s_cbranch_execz .LBB68_125
; %bb.124:                              ;   in Loop: Header=BB68_68 Depth=2
	v_add_f64_e32 v[1:2], v[46:47], v[42:43]
	s_delay_alu instid0(VALU_DEP_1) | instskip(NEXT) | instid1(VALU_DEP_1)
	v_mul_f64_e32 v[1:2], 0.5, v[1:2]
	v_div_scale_f64 v[3:4], null, v[1:2], v[1:2], v[38:39]
	v_div_scale_f64 v[46:47], null, v[1:2], v[1:2], v[40:41]
	v_div_scale_f64 v[61:62], vcc_lo, v[38:39], v[1:2], v[38:39]
	s_delay_alu instid0(VALU_DEP_3) | instskip(NEXT) | instid1(VALU_DEP_2)
	v_rcp_f64_e32 v[48:49], v[3:4]
	v_rcp_f64_e32 v[50:51], v[46:47]
	s_delay_alu instid0(TRANS32_DEP_2) | instskip(NEXT) | instid1(TRANS32_DEP_1)
	v_fma_f64 v[52:53], -v[3:4], v[48:49], 1.0
	v_fma_f64 v[54:55], -v[46:47], v[50:51], 1.0
	s_delay_alu instid0(VALU_DEP_2) | instskip(NEXT) | instid1(VALU_DEP_2)
	v_fma_f64 v[48:49], v[48:49], v[52:53], v[48:49]
	v_fma_f64 v[50:51], v[50:51], v[54:55], v[50:51]
	s_delay_alu instid0(VALU_DEP_2) | instskip(NEXT) | instid1(VALU_DEP_2)
	v_fma_f64 v[52:53], -v[3:4], v[48:49], 1.0
	v_fma_f64 v[54:55], -v[46:47], v[50:51], 1.0
	s_delay_alu instid0(VALU_DEP_2) | instskip(SKIP_1) | instid1(VALU_DEP_3)
	v_fma_f64 v[48:49], v[48:49], v[52:53], v[48:49]
	v_div_scale_f64 v[52:53], s3, v[40:41], v[1:2], v[40:41]
	v_fma_f64 v[50:51], v[50:51], v[54:55], v[50:51]
	s_delay_alu instid0(VALU_DEP_3) | instskip(NEXT) | instid1(VALU_DEP_2)
	v_mul_f64_e32 v[54:55], v[61:62], v[48:49]
	v_mul_f64_e32 v[63:64], v[52:53], v[50:51]
	s_delay_alu instid0(VALU_DEP_2) | instskip(NEXT) | instid1(VALU_DEP_2)
	v_fma_f64 v[3:4], -v[3:4], v[54:55], v[61:62]
	v_fma_f64 v[46:47], -v[46:47], v[63:64], v[52:53]
	s_wait_alu 0xfffd
	s_delay_alu instid0(VALU_DEP_2) | instskip(SKIP_2) | instid1(VALU_DEP_2)
	v_div_fmas_f64 v[3:4], v[3:4], v[48:49], v[54:55]
	s_mov_b32 vcc_lo, s3
	s_wait_alu 0xfffe
	v_div_fmas_f64 v[46:47], v[46:47], v[50:51], v[63:64]
	s_delay_alu instid0(VALU_DEP_2) | instskip(NEXT) | instid1(VALU_DEP_2)
	v_div_fixup_f64 v[3:4], v[3:4], v[1:2], v[38:39]
	v_div_fixup_f64 v[46:47], v[46:47], v[1:2], v[40:41]
	s_delay_alu instid0(VALU_DEP_1) | instskip(NEXT) | instid1(VALU_DEP_1)
	v_mul_f64_e32 v[38:39], v[40:41], v[46:47]
	v_fma_f64 v[3:4], v[44:45], v[3:4], -v[38:39]
.LBB68_125:                             ;   in Loop: Header=BB68_68 Depth=2
	s_or_b32 exec_lo, exec_lo, s33
                                        ; implicit-def: $vgpr46_vgpr47
                                        ; implicit-def: $vgpr38_vgpr39
                                        ; implicit-def: $vgpr40_vgpr41
                                        ; implicit-def: $vgpr44_vgpr45
.LBB68_126:                             ;   in Loop: Header=BB68_68 Depth=2
	s_wait_alu 0xfffe
	s_or_saveexec_b32 s31, s31
	v_mov_b32_e32 v9, 1
	s_wait_alu 0xfffe
	s_xor_b32 exec_lo, exec_lo, s31
	s_cbranch_execz .LBB68_128
; %bb.127:                              ;   in Loop: Header=BB68_68 Depth=2
	v_add_f64_e64 v[1:2], v[46:47], -v[42:43]
	v_mov_b32_e32 v9, -1
	s_delay_alu instid0(VALU_DEP_2) | instskip(NEXT) | instid1(VALU_DEP_1)
	v_mul_f64_e32 v[1:2], 0.5, v[1:2]
	v_div_scale_f64 v[3:4], null, v[1:2], v[1:2], v[38:39]
	v_div_scale_f64 v[46:47], null, v[1:2], v[1:2], v[40:41]
	v_div_scale_f64 v[61:62], vcc_lo, v[38:39], v[1:2], v[38:39]
	s_delay_alu instid0(VALU_DEP_3) | instskip(NEXT) | instid1(VALU_DEP_2)
	v_rcp_f64_e32 v[48:49], v[3:4]
	v_rcp_f64_e32 v[50:51], v[46:47]
	s_delay_alu instid0(TRANS32_DEP_2) | instskip(NEXT) | instid1(TRANS32_DEP_1)
	v_fma_f64 v[52:53], -v[3:4], v[48:49], 1.0
	v_fma_f64 v[54:55], -v[46:47], v[50:51], 1.0
	s_delay_alu instid0(VALU_DEP_2) | instskip(NEXT) | instid1(VALU_DEP_2)
	v_fma_f64 v[48:49], v[48:49], v[52:53], v[48:49]
	v_fma_f64 v[50:51], v[50:51], v[54:55], v[50:51]
	s_delay_alu instid0(VALU_DEP_2) | instskip(NEXT) | instid1(VALU_DEP_2)
	v_fma_f64 v[52:53], -v[3:4], v[48:49], 1.0
	v_fma_f64 v[54:55], -v[46:47], v[50:51], 1.0
	s_delay_alu instid0(VALU_DEP_2) | instskip(SKIP_1) | instid1(VALU_DEP_3)
	v_fma_f64 v[48:49], v[48:49], v[52:53], v[48:49]
	v_div_scale_f64 v[52:53], s3, v[40:41], v[1:2], v[40:41]
	v_fma_f64 v[50:51], v[50:51], v[54:55], v[50:51]
	s_delay_alu instid0(VALU_DEP_3) | instskip(NEXT) | instid1(VALU_DEP_2)
	v_mul_f64_e32 v[54:55], v[61:62], v[48:49]
	v_mul_f64_e32 v[63:64], v[52:53], v[50:51]
	s_delay_alu instid0(VALU_DEP_2) | instskip(NEXT) | instid1(VALU_DEP_2)
	v_fma_f64 v[3:4], -v[3:4], v[54:55], v[61:62]
	v_fma_f64 v[46:47], -v[46:47], v[63:64], v[52:53]
	s_wait_alu 0xfffd
	s_delay_alu instid0(VALU_DEP_2) | instskip(SKIP_2) | instid1(VALU_DEP_2)
	v_div_fmas_f64 v[3:4], v[3:4], v[48:49], v[54:55]
	s_mov_b32 vcc_lo, s3
	s_wait_alu 0xfffe
	v_div_fmas_f64 v[46:47], v[46:47], v[50:51], v[63:64]
	s_delay_alu instid0(VALU_DEP_2) | instskip(NEXT) | instid1(VALU_DEP_2)
	v_div_fixup_f64 v[3:4], v[3:4], v[1:2], v[38:39]
	v_div_fixup_f64 v[46:47], v[46:47], v[1:2], v[40:41]
	s_delay_alu instid0(VALU_DEP_1) | instskip(NEXT) | instid1(VALU_DEP_1)
	v_mul_f64_e32 v[38:39], v[40:41], v[46:47]
	v_fma_f64 v[3:4], v[44:45], v[3:4], -v[38:39]
.LBB68_128:                             ;   in Loop: Header=BB68_68 Depth=2
	s_or_b32 exec_lo, exec_lo, s31
	s_delay_alu instid0(SALU_CYCLE_1)
	s_mov_b32 s3, exec_lo
                                        ; implicit-def: $vgpr38_vgpr39
	v_cmpx_le_f64_e32 0, v[36:37]
	s_wait_alu 0xfffe
	s_xor_b32 s3, exec_lo, s3
	s_cbranch_execz .LBB68_130
; %bb.129:                              ;   in Loop: Header=BB68_68 Depth=2
	v_add_f64_e32 v[38:39], v[36:37], v[42:43]
                                        ; implicit-def: $vgpr42_vgpr43
                                        ; implicit-def: $vgpr36_vgpr37
.LBB68_130:                             ;   in Loop: Header=BB68_68 Depth=2
	s_wait_alu 0xfffe
	s_or_saveexec_b32 s3, s3
	v_mov_b32_e32 v29, 1
	s_wait_alu 0xfffe
	s_xor_b32 exec_lo, exec_lo, s3
	s_cbranch_execz .LBB68_132
; %bb.131:                              ;   in Loop: Header=BB68_68 Depth=2
	v_add_f64_e64 v[38:39], v[36:37], -v[42:43]
	v_mov_b32_e32 v29, -1
.LBB68_132:                             ;   in Loop: Header=BB68_68 Depth=2
	s_or_b32 exec_lo, exec_lo, s3
	s_delay_alu instid0(VALU_DEP_2)
	v_cmp_ngt_f64_e64 s3, |v[38:39]|, |v[34:35]|
                                        ; implicit-def: $vgpr36_vgpr37
                                        ; implicit-def: $vgpr40_vgpr41
	s_and_saveexec_b32 s31, s3
	s_wait_alu 0xfffe
	s_xor_b32 s3, exec_lo, s31
	s_cbranch_execz .LBB68_136
; %bb.133:                              ;   in Loop: Header=BB68_68 Depth=2
	v_mov_b32_e32 v36, 0
	v_dual_mov_b32 v37, 0 :: v_dual_mov_b32 v40, 0
	v_mov_b32_e32 v41, 0x3ff00000
	s_mov_b32 s31, exec_lo
	v_cmpx_neq_f64_e32 0, v[34:35]
	s_cbranch_execz .LBB68_135
; %bb.134:                              ;   in Loop: Header=BB68_68 Depth=2
	v_div_scale_f64 v[36:37], null, v[34:35], v[34:35], -v[38:39]
	v_div_scale_f64 v[44:45], vcc_lo, -v[38:39], v[34:35], -v[38:39]
	s_delay_alu instid0(VALU_DEP_2) | instskip(NEXT) | instid1(TRANS32_DEP_1)
	v_rcp_f64_e32 v[40:41], v[36:37]
	v_fma_f64 v[42:43], -v[36:37], v[40:41], 1.0
	s_delay_alu instid0(VALU_DEP_1) | instskip(NEXT) | instid1(VALU_DEP_1)
	v_fma_f64 v[40:41], v[40:41], v[42:43], v[40:41]
	v_fma_f64 v[42:43], -v[36:37], v[40:41], 1.0
	s_delay_alu instid0(VALU_DEP_1) | instskip(NEXT) | instid1(VALU_DEP_1)
	v_fma_f64 v[40:41], v[40:41], v[42:43], v[40:41]
	v_mul_f64_e32 v[42:43], v[44:45], v[40:41]
	s_delay_alu instid0(VALU_DEP_1) | instskip(SKIP_1) | instid1(VALU_DEP_1)
	v_fma_f64 v[36:37], -v[36:37], v[42:43], v[44:45]
	s_wait_alu 0xfffd
	v_div_fmas_f64 v[36:37], v[36:37], v[40:41], v[42:43]
	s_delay_alu instid0(VALU_DEP_1) | instskip(NEXT) | instid1(VALU_DEP_1)
	v_div_fixup_f64 v[34:35], v[36:37], v[34:35], -v[38:39]
	v_fma_f64 v[36:37], v[34:35], v[34:35], 1.0
	s_delay_alu instid0(VALU_DEP_1) | instskip(SKIP_2) | instid1(VALU_DEP_1)
	v_cmp_gt_f64_e32 vcc_lo, 0x10000000, v[36:37]
	s_wait_alu 0xfffd
	v_cndmask_b32_e64 v38, 0, 0x100, vcc_lo
	v_ldexp_f64 v[36:37], v[36:37], v38
	s_delay_alu instid0(VALU_DEP_1) | instskip(NEXT) | instid1(TRANS32_DEP_1)
	v_rsq_f64_e32 v[38:39], v[36:37]
	v_mul_f64_e32 v[40:41], v[36:37], v[38:39]
	v_mul_f64_e32 v[38:39], 0.5, v[38:39]
	s_delay_alu instid0(VALU_DEP_1) | instskip(NEXT) | instid1(VALU_DEP_1)
	v_fma_f64 v[42:43], -v[38:39], v[40:41], 0.5
	v_fma_f64 v[40:41], v[40:41], v[42:43], v[40:41]
	v_fma_f64 v[38:39], v[38:39], v[42:43], v[38:39]
	s_delay_alu instid0(VALU_DEP_2) | instskip(NEXT) | instid1(VALU_DEP_1)
	v_fma_f64 v[42:43], -v[40:41], v[40:41], v[36:37]
	v_fma_f64 v[40:41], v[42:43], v[38:39], v[40:41]
	s_delay_alu instid0(VALU_DEP_1) | instskip(NEXT) | instid1(VALU_DEP_1)
	v_fma_f64 v[42:43], -v[40:41], v[40:41], v[36:37]
	v_fma_f64 v[38:39], v[42:43], v[38:39], v[40:41]
	v_cndmask_b32_e64 v40, 0, 0xffffff80, vcc_lo
	v_cmp_class_f64_e64 vcc_lo, v[36:37], 0x260
	s_delay_alu instid0(VALU_DEP_2) | instskip(SKIP_1) | instid1(VALU_DEP_1)
	v_ldexp_f64 v[38:39], v[38:39], v40
	s_wait_alu 0xfffd
	v_dual_cndmask_b32 v37, v39, v37 :: v_dual_cndmask_b32 v36, v38, v36
	s_delay_alu instid0(VALU_DEP_1) | instskip(NEXT) | instid1(VALU_DEP_1)
	v_div_scale_f64 v[38:39], null, v[36:37], v[36:37], 1.0
	v_rcp_f64_e32 v[40:41], v[38:39]
	s_delay_alu instid0(TRANS32_DEP_1) | instskip(NEXT) | instid1(VALU_DEP_1)
	v_fma_f64 v[42:43], -v[38:39], v[40:41], 1.0
	v_fma_f64 v[40:41], v[40:41], v[42:43], v[40:41]
	s_delay_alu instid0(VALU_DEP_1) | instskip(NEXT) | instid1(VALU_DEP_1)
	v_fma_f64 v[42:43], -v[38:39], v[40:41], 1.0
	v_fma_f64 v[40:41], v[40:41], v[42:43], v[40:41]
	v_div_scale_f64 v[42:43], vcc_lo, 1.0, v[36:37], 1.0
	s_delay_alu instid0(VALU_DEP_1) | instskip(NEXT) | instid1(VALU_DEP_1)
	v_mul_f64_e32 v[44:45], v[42:43], v[40:41]
	v_fma_f64 v[38:39], -v[38:39], v[44:45], v[42:43]
	s_wait_alu 0xfffd
	s_delay_alu instid0(VALU_DEP_1) | instskip(NEXT) | instid1(VALU_DEP_1)
	v_div_fmas_f64 v[38:39], v[38:39], v[40:41], v[44:45]
	v_div_fixup_f64 v[40:41], v[38:39], v[36:37], 1.0
	s_delay_alu instid0(VALU_DEP_1)
	v_mul_f64_e32 v[36:37], v[34:35], v[40:41]
.LBB68_135:                             ;   in Loop: Header=BB68_68 Depth=2
	s_wait_alu 0xfffe
	s_or_b32 exec_lo, exec_lo, s31
                                        ; implicit-def: $vgpr38_vgpr39
                                        ; implicit-def: $vgpr34_vgpr35
.LBB68_136:                             ;   in Loop: Header=BB68_68 Depth=2
	s_wait_alu 0xfffe
	s_and_not1_saveexec_b32 s3, s3
	s_cbranch_execz .LBB68_138
; %bb.137:                              ;   in Loop: Header=BB68_68 Depth=2
	v_div_scale_f64 v[36:37], null, v[38:39], v[38:39], -v[34:35]
	v_div_scale_f64 v[44:45], vcc_lo, -v[34:35], v[38:39], -v[34:35]
	s_delay_alu instid0(VALU_DEP_2) | instskip(NEXT) | instid1(TRANS32_DEP_1)
	v_rcp_f64_e32 v[40:41], v[36:37]
	v_fma_f64 v[42:43], -v[36:37], v[40:41], 1.0
	s_delay_alu instid0(VALU_DEP_1) | instskip(NEXT) | instid1(VALU_DEP_1)
	v_fma_f64 v[40:41], v[40:41], v[42:43], v[40:41]
	v_fma_f64 v[42:43], -v[36:37], v[40:41], 1.0
	s_delay_alu instid0(VALU_DEP_1) | instskip(NEXT) | instid1(VALU_DEP_1)
	v_fma_f64 v[40:41], v[40:41], v[42:43], v[40:41]
	v_mul_f64_e32 v[42:43], v[44:45], v[40:41]
	s_delay_alu instid0(VALU_DEP_1) | instskip(SKIP_1) | instid1(VALU_DEP_1)
	v_fma_f64 v[36:37], -v[36:37], v[42:43], v[44:45]
	s_wait_alu 0xfffd
	v_div_fmas_f64 v[36:37], v[36:37], v[40:41], v[42:43]
	s_delay_alu instid0(VALU_DEP_1) | instskip(NEXT) | instid1(VALU_DEP_1)
	v_div_fixup_f64 v[34:35], v[36:37], v[38:39], -v[34:35]
	v_fma_f64 v[36:37], v[34:35], v[34:35], 1.0
	s_delay_alu instid0(VALU_DEP_1) | instskip(SKIP_2) | instid1(VALU_DEP_1)
	v_cmp_gt_f64_e32 vcc_lo, 0x10000000, v[36:37]
	s_wait_alu 0xfffd
	v_cndmask_b32_e64 v38, 0, 0x100, vcc_lo
	v_ldexp_f64 v[36:37], v[36:37], v38
	s_delay_alu instid0(VALU_DEP_1) | instskip(NEXT) | instid1(TRANS32_DEP_1)
	v_rsq_f64_e32 v[38:39], v[36:37]
	v_mul_f64_e32 v[40:41], v[36:37], v[38:39]
	v_mul_f64_e32 v[38:39], 0.5, v[38:39]
	s_delay_alu instid0(VALU_DEP_1) | instskip(NEXT) | instid1(VALU_DEP_1)
	v_fma_f64 v[42:43], -v[38:39], v[40:41], 0.5
	v_fma_f64 v[40:41], v[40:41], v[42:43], v[40:41]
	v_fma_f64 v[38:39], v[38:39], v[42:43], v[38:39]
	s_delay_alu instid0(VALU_DEP_2) | instskip(NEXT) | instid1(VALU_DEP_1)
	v_fma_f64 v[42:43], -v[40:41], v[40:41], v[36:37]
	v_fma_f64 v[40:41], v[42:43], v[38:39], v[40:41]
	s_delay_alu instid0(VALU_DEP_1) | instskip(NEXT) | instid1(VALU_DEP_1)
	v_fma_f64 v[42:43], -v[40:41], v[40:41], v[36:37]
	v_fma_f64 v[38:39], v[42:43], v[38:39], v[40:41]
	v_cndmask_b32_e64 v40, 0, 0xffffff80, vcc_lo
	v_cmp_class_f64_e64 vcc_lo, v[36:37], 0x260
	s_delay_alu instid0(VALU_DEP_2) | instskip(SKIP_1) | instid1(VALU_DEP_1)
	v_ldexp_f64 v[38:39], v[38:39], v40
	s_wait_alu 0xfffd
	v_dual_cndmask_b32 v37, v39, v37 :: v_dual_cndmask_b32 v36, v38, v36
	s_delay_alu instid0(VALU_DEP_1) | instskip(NEXT) | instid1(VALU_DEP_1)
	v_div_scale_f64 v[38:39], null, v[36:37], v[36:37], 1.0
	v_rcp_f64_e32 v[40:41], v[38:39]
	s_delay_alu instid0(TRANS32_DEP_1) | instskip(NEXT) | instid1(VALU_DEP_1)
	v_fma_f64 v[42:43], -v[38:39], v[40:41], 1.0
	v_fma_f64 v[40:41], v[40:41], v[42:43], v[40:41]
	s_delay_alu instid0(VALU_DEP_1) | instskip(NEXT) | instid1(VALU_DEP_1)
	v_fma_f64 v[42:43], -v[38:39], v[40:41], 1.0
	v_fma_f64 v[40:41], v[40:41], v[42:43], v[40:41]
	v_div_scale_f64 v[42:43], vcc_lo, 1.0, v[36:37], 1.0
	s_delay_alu instid0(VALU_DEP_1) | instskip(NEXT) | instid1(VALU_DEP_1)
	v_mul_f64_e32 v[44:45], v[42:43], v[40:41]
	v_fma_f64 v[38:39], -v[38:39], v[44:45], v[42:43]
	s_wait_alu 0xfffd
	s_delay_alu instid0(VALU_DEP_1) | instskip(NEXT) | instid1(VALU_DEP_1)
	v_div_fmas_f64 v[38:39], v[38:39], v[40:41], v[44:45]
	v_div_fixup_f64 v[36:37], v[38:39], v[36:37], 1.0
	s_delay_alu instid0(VALU_DEP_1)
	v_mul_f64_e32 v[40:41], v[34:35], v[36:37]
.LBB68_138:                             ;   in Loop: Header=BB68_68 Depth=2
	s_wait_alu 0xfffe
	s_or_b32 exec_lo, exec_lo, s3
	s_delay_alu instid0(VALU_DEP_1)
	v_xor_b32_e32 v34, 0x80000000, v37
	v_cmp_eq_u32_e32 vcc_lo, v9, v29
	v_add_co_u32 v32, s3, s50, v32
	s_wait_alu 0xf1ff
	v_add_co_ci_u32_e64 v33, null, s51, v33, s3
	s_wait_alu 0xfffd
	v_dual_cndmask_b32 v35, v41, v34 :: v_dual_cndmask_b32 v34, v40, v36
	v_dual_cndmask_b32 v37, v37, v41 :: v_dual_cndmask_b32 v36, v36, v40
	v_add_co_u32 v38, vcc_lo, v32, s56
	v_dual_mov_b32 v9, v8 :: v_dual_add_nc_u32 v26, -2, v26
	s_wait_alu 0xfffd
	v_add_co_ci_u32_e64 v39, null, s57, v33, vcc_lo
	v_add_co_u32 v29, vcc_lo, s46, v30
	s_wait_alu 0xfffd
	v_add_co_ci_u32_e64 v30, null, s47, v31, vcc_lo
	s_clause 0x1
	global_store_b64 v[32:33], v[34:35], off
	global_store_b64 v[38:39], v[36:37], off offset:-8
	global_store_b128 v[27:28], v[1:4], off offset:-8
	global_store_b64 v[29:30], v[8:9], off offset:-8
	ds_store_b32 v8, v26 offset:16
	s_or_b32 exec_lo, exec_lo, s10
                                        ; implicit-def: $vgpr2
.LBB68_139:                             ;   in Loop: Header=BB68_68 Depth=2
	s_wait_alu 0xfffe
	s_and_not1_saveexec_b32 s3, s7
.LBB68_140:                             ;   in Loop: Header=BB68_68 Depth=2
	ds_store_b32 v8, v2 offset:16
.LBB68_141:                             ;   in Loop: Header=BB68_68 Depth=2
	s_wait_alu 0xfffe
	s_or_b32 exec_lo, exec_lo, s3
.LBB68_142:                             ;   in Loop: Header=BB68_68 Depth=2
	s_wait_alu 0xfffe
	s_or_b32 exec_lo, exec_lo, s5
	s_wait_storecnt 0x0
	s_wait_loadcnt_dscnt 0x0
	s_barrier_signal -1
	s_barrier_wait -1
	global_inv scope:SCOPE_SE
	ds_load_b64 v[1:2], v8 offset:16
	s_wait_dscnt 0x0
	v_readfirstlane_b32 s80, v2
	s_wait_alu 0xf1ff
	s_delay_alu instid0(VALU_DEP_1)
	v_cmp_eq_u32_e32 vcc_lo, s80, v1
	v_mov_b32_e32 v26, s80
	s_cbranch_vccnz .LBB68_67
; %bb.143:                              ;   in Loop: Header=BB68_68 Depth=2
	s_and_saveexec_b32 s5, s2
	s_cbranch_execz .LBB68_66
; %bb.144:                              ;   in Loop: Header=BB68_68 Depth=2
	ds_load_b32 v1, v8 offset:28
	s_mul_i32 s82, s80, s11
	s_ashr_i32 s81, s80, 31
	s_wait_alu 0xfffe
	s_ashr_i32 s83, s82, 31
	s_lshl_b64 s[84:85], s[80:81], 3
	s_wait_alu 0xfffe
	s_lshl_b64 s[86:87], s[82:83], 4
	v_mov_b32_e32 v28, v6
	s_wait_alu 0xfffe
	v_add_co_u32 v26, vcc_lo, v7, s86
	s_wait_alu 0xfffd
	v_add_co_ci_u32_e64 v27, null, s87, v57, vcc_lo
	s_add_nc_u64 s[82:83], s[50:51], s[84:85]
	s_add_nc_u64 s[84:85], s[48:49], s[86:87]
	s_mov_b32 s10, 0
	s_wait_dscnt 0x0
	v_readfirstlane_b32 s3, v1
	s_sub_co_i32 s80, s3, s80
	s_wait_alu 0xfffe
	s_cmp_gt_i32 s80, 0
	s_cselect_b32 s7, -1, 0
	s_ashr_i32 s81, s80, 31
	s_wait_alu 0xfffe
	s_mul_u64 s[88:89], s[80:81], s[52:53]
	s_wait_alu 0xfffe
	s_lshl_b64 s[86:87], s[88:89], 4
	s_wait_alu 0xfffe
	s_add_nc_u64 s[86:87], s[84:85], s[86:87]
	s_branch .LBB68_146
.LBB68_145:                             ;   in Loop: Header=BB68_146 Depth=3
	v_add_nc_u32_e32 v28, s38, v28
	v_add_co_u32 v29, vcc_lo, s86, v29
	s_wait_alu 0xfffd
	v_add_co_ci_u32_e64 v30, null, s87, v30, vcc_lo
	s_delay_alu instid0(VALU_DEP_3)
	v_cmp_le_i32_e32 vcc_lo, s6, v28
	v_add_co_u32 v26, s3, v26, s70
	s_wait_alu 0xf1ff
	v_add_co_ci_u32_e64 v27, null, s71, v27, s3
	s_or_b32 s10, vcc_lo, s10
	s_wait_loadcnt 0x0
	global_store_b128 v[29:30], v[1:4], off
	s_wait_alu 0xfffe
	s_and_not1_b32 exec_lo, exec_lo, s10
	s_cbranch_execz .LBB68_66
.LBB68_146:                             ;   Parent Loop BB68_7 Depth=1
                                        ;     Parent Loop BB68_68 Depth=2
                                        ; =>    This Loop Header: Depth=3
                                        ;         Child Loop BB68_147 Depth 4
	v_ashrrev_i32_e32 v29, 31, v28
	v_dual_mov_b32 v32, v27 :: v_dual_mov_b32 v31, v26
	s_mov_b64 s[88:89], s[82:83]
	s_mov_b32 s3, s80
	s_delay_alu instid0(VALU_DEP_2) | instskip(NEXT) | instid1(VALU_DEP_1)
	v_lshlrev_b64_e32 v[29:30], 4, v[28:29]
	v_add_co_u32 v1, vcc_lo, s84, v29
	s_wait_alu 0xfffd
	s_delay_alu instid0(VALU_DEP_2)
	v_add_co_ci_u32_e64 v2, null, s85, v30, vcc_lo
	s_and_not1_b32 vcc_lo, exec_lo, s7
	global_load_b128 v[1:4], v[1:2], off
	s_wait_alu 0xfffe
	s_cbranch_vccnz .LBB68_145
.LBB68_147:                             ;   Parent Loop BB68_7 Depth=1
                                        ;     Parent Loop BB68_68 Depth=2
                                        ;       Parent Loop BB68_146 Depth=3
                                        ; =>      This Inner Loop Header: Depth=4
	s_delay_alu instid0(VALU_DEP_1)
	v_add_co_u32 v41, vcc_lo, v31, s68
	s_wait_alu 0xfffd
	v_add_co_ci_u32_e64 v42, null, s69, v32, vcc_lo
	s_wait_alu 0xfffe
	s_add_nc_u64 s[90:91], s[88:89], s[66:67]
	s_add_co_i32 s3, s3, -1
	global_load_b128 v[33:36], v[41:42], off offset:-8
	s_clause 0x1
	global_load_b64 v[37:38], v8, s[90:91]
	global_load_b64 v[43:44], v8, s[88:89]
	s_wait_alu 0xfffe
	s_cmp_eq_u32 s3, 0
	s_add_nc_u64 s[88:89], s[88:89], 8
	s_wait_loadcnt 0x1
	v_mul_f64_e32 v[39:40], v[37:38], v[33:34]
	v_mul_f64_e32 v[45:46], v[37:38], v[35:36]
	;; [unrolled: 1-line block ×4, first 2 shown]
	s_wait_loadcnt 0x0
	s_delay_alu instid0(VALU_DEP_4) | instskip(NEXT) | instid1(VALU_DEP_4)
	v_fma_f64 v[37:38], v[1:2], v[43:44], v[39:40]
	v_fma_f64 v[39:40], v[3:4], v[43:44], v[45:46]
	s_delay_alu instid0(VALU_DEP_4) | instskip(NEXT) | instid1(VALU_DEP_4)
	v_fma_f64 v[1:2], v[43:44], v[33:34], -v[47:48]
	v_fma_f64 v[3:4], v[43:44], v[35:36], -v[49:50]
	global_store_b128 v[31:32], v[37:40], off offset:-8
	v_dual_mov_b32 v31, v41 :: v_dual_mov_b32 v32, v42
	s_cbranch_scc0 .LBB68_147
	s_branch .LBB68_145
.LBB68_148:                             ;   in Loop: Header=BB68_68 Depth=2
	s_wait_alu 0xfffe
	s_or_b32 exec_lo, exec_lo, s10
                                        ; implicit-def: $vgpr2
	s_and_not1_saveexec_b32 s3, s7
	s_cbranch_execnz .LBB68_140
	s_branch .LBB68_141
.LBB68_149:                             ;   in Loop: Header=BB68_151 Depth=2
	s_wait_alu 0xfffe
	s_or_b32 exec_lo, exec_lo, s7
	s_wait_loadcnt 0x0
	s_wait_storecnt 0x0
	s_barrier_signal -1
	s_barrier_wait -1
	global_inv scope:SCOPE_SE
	ds_load_b32 v34, v8 offset:16
.LBB68_150:                             ;   in Loop: Header=BB68_151 Depth=2
	ds_load_b64 v[38:39], v8 offset:32
	s_wait_dscnt 0x0
	v_cmp_le_i32_e32 vcc_lo, v34, v38
	v_cmp_gt_i32_e64 s5, s30, v39
	s_and_b32 s5, vcc_lo, s5
	s_wait_alu 0xfffe
	s_and_not1_b32 vcc_lo, exec_lo, s5
	s_wait_alu 0xfffe
	s_cbranch_vccnz .LBB68_50
.LBB68_151:                             ;   Parent Loop BB68_7 Depth=1
                                        ; =>  This Loop Header: Depth=2
                                        ;       Child Loop BB68_157 Depth 3
                                        ;       Child Loop BB68_177 Depth 3
                                        ;       Child Loop BB68_228 Depth 3
                                        ;         Child Loop BB68_229 Depth 4
	s_and_saveexec_b32 s7, s4
	s_cbranch_execz .LBB68_224
; %bb.152:                              ;   in Loop: Header=BB68_151 Depth=2
	v_cmp_lt_i32_e32 vcc_lo, v34, v38
	s_mov_b32 s5, 0
	s_cbranch_vccnz .LBB68_154
; %bb.153:                              ;   in Loop: Header=BB68_151 Depth=2
	v_ashrrev_i32_e32 v35, 31, v34
	v_mov_b32_e32 v2, v34
	s_mov_b32 s10, -1
	s_delay_alu instid0(VALU_DEP_2)
	v_mov_b32_e32 v3, v35
	v_mov_b32_e32 v1, v34
	s_cbranch_execz .LBB68_155
	s_branch .LBB68_160
.LBB68_154:                             ;   in Loop: Header=BB68_151 Depth=2
	s_mov_b32 s10, 0
                                        ; implicit-def: $vgpr2_vgpr3
	v_mov_b32_e32 v1, v34
.LBB68_155:                             ;   in Loop: Header=BB68_151 Depth=2
	v_ashrrev_i32_e32 v35, 31, v34
	v_mov_b32_e32 v9, v34
	s_delay_alu instid0(VALU_DEP_2) | instskip(NEXT) | instid1(VALU_DEP_1)
	v_lshlrev_b64_e32 v[1:2], 3, v[34:35]
	v_add_co_u32 v3, vcc_lo, s46, v1
	s_wait_alu 0xfffd
	s_delay_alu instid0(VALU_DEP_2)
	v_add_co_ci_u32_e64 v4, null, s47, v2, vcc_lo
	v_add_co_u32 v1, vcc_lo, s54, v1
	s_wait_alu 0xfffd
	v_add_co_ci_u32_e64 v2, null, s55, v2, vcc_lo
	s_branch .LBB68_157
.LBB68_156:                             ;   in Loop: Header=BB68_157 Depth=3
	v_add_nc_u32_e32 v9, 1, v27
	v_add_co_u32 v3, vcc_lo, v30, 8
	s_wait_alu 0xfffd
	v_add_co_ci_u32_e64 v4, null, 0, v31, vcc_lo
	v_add_co_u32 v1, vcc_lo, v1, 8
	s_wait_alu 0xfffd
	v_add_co_ci_u32_e64 v2, null, 0, v2, vcc_lo
	v_cmp_ge_i32_e64 s10, v9, v38
	s_mov_b32 s5, 0
	s_and_not1_b32 vcc_lo, exec_lo, s10
	s_wait_alu 0xfffe
	s_cbranch_vccz .LBB68_159
.LBB68_157:                             ;   Parent Loop BB68_7 Depth=1
                                        ;     Parent Loop BB68_151 Depth=2
                                        ; =>    This Inner Loop Header: Depth=3
	global_load_b128 v[40:43], v[1:2], off
	v_dual_mov_b32 v31, v4 :: v_dual_mov_b32 v30, v3
	global_load_b64 v[3:4], v[3:4], off
	v_mov_b32_e32 v27, v9
	s_wait_loadcnt 0x1
	v_mul_f64_e32 v[32:33], v[40:41], v[42:43]
	s_wait_loadcnt 0x0
	v_mul_f64_e32 v[3:4], v[3:4], v[3:4]
	s_delay_alu instid0(VALU_DEP_2) | instskip(NEXT) | instid1(VALU_DEP_1)
	v_mul_f64_e64 v[32:33], v[10:11], |v[32:33]|
	v_cmp_le_f64_e64 s5, |v[3:4]|, v[32:33]
	s_wait_alu 0xfffe
	s_and_b32 vcc_lo, exec_lo, s5
	s_wait_alu 0xfffe
	s_cbranch_vccz .LBB68_156
; %bb.158:                              ;   in Loop: Header=BB68_151 Depth=2
	s_mov_b32 s5, -1
                                        ; implicit-def: $vgpr9
                                        ; implicit-def: $vgpr3_vgpr4
                                        ; implicit-def: $vgpr1_vgpr2
.LBB68_159:                             ;   in Loop: Header=BB68_151 Depth=2
	v_dual_mov_b32 v1, v38 :: v_dual_mov_b32 v2, v34
	v_dual_mov_b32 v32, v34 :: v_dual_mov_b32 v33, v35
	v_mov_b32_e32 v3, v35
	s_wait_alu 0xfffe
	s_xor_b32 s10, s5, -1
	s_mov_b32 s5, -1
.LBB68_160:                             ;   in Loop: Header=BB68_151 Depth=2
	s_wait_alu 0xfffe
	s_and_b32 vcc_lo, exec_lo, s10
	s_wait_alu 0xfffe
	s_cbranch_vccnz .LBB68_189
; %bb.161:                              ;   in Loop: Header=BB68_151 Depth=2
	s_and_not1_b32 vcc_lo, exec_lo, s5
	s_wait_alu 0xfffe
	s_cbranch_vccnz .LBB68_163
.LBB68_162:                             ;   in Loop: Header=BB68_151 Depth=2
	v_dual_mov_b32 v9, v8 :: v_dual_mov_b32 v2, v32
	v_mov_b32_e32 v3, v33
	v_mov_b32_e32 v1, v27
	ds_store_2addr_b32 v8, v27, v34 offset0:5 offset1:7
	global_store_b64 v[30:31], v[8:9], off
.LBB68_163:                             ;   in Loop: Header=BB68_151 Depth=2
	v_lshlrev_b64_e32 v[37:38], 3, v[2:3]
	v_add_nc_u32_e32 v2, 1, v34
	s_mov_b32 s5, exec_lo
	s_delay_alu instid0(VALU_DEP_2) | instskip(SKIP_1) | instid1(VALU_DEP_3)
	v_add_co_u32 v35, vcc_lo, s18, v37
	s_wait_alu 0xfffd
	v_add_co_ci_u32_e64 v36, null, s19, v38, vcc_lo
	global_load_b64 v[45:46], v[35:36], off
	s_wait_loadcnt 0x0
	ds_store_b64 v8, v[45:46]
	v_cmpx_ne_u32_e64 v1, v34
	s_wait_alu 0xfffe
	s_xor_b32 s10, exec_lo, s5
	s_cbranch_execz .LBB68_221
; %bb.164:                              ;   in Loop: Header=BB68_151 Depth=2
	s_mov_b32 s5, exec_lo
	v_cmpx_ne_u32_e64 v1, v2
	s_wait_alu 0xfffe
	s_xor_b32 s5, exec_lo, s5
	s_cbranch_execz .LBB68_193
; %bb.165:                              ;   in Loop: Header=BB68_151 Depth=2
	v_add_co_u32 v3, vcc_lo, s46, v37
	s_wait_alu 0xfffd
	v_add_co_ci_u32_e64 v4, null, s47, v38, vcc_lo
	s_mov_b32 s31, exec_lo
	global_load_b64 v[37:38], v[35:36], off offset:8
	global_load_b64 v[40:41], v[3:4], off
	s_wait_loadcnt 0x1
	v_add_f64_e64 v[37:38], v[37:38], -v[45:46]
	s_wait_loadcnt 0x0
	v_add_f64_e32 v[42:43], v[40:41], v[40:41]
	s_delay_alu instid0(VALU_DEP_1) | instskip(SKIP_1) | instid1(VALU_DEP_2)
	v_div_scale_f64 v[47:48], null, v[42:43], v[42:43], v[37:38]
	v_div_scale_f64 v[53:54], vcc_lo, v[37:38], v[42:43], v[37:38]
	v_rcp_f64_e32 v[49:50], v[47:48]
	s_delay_alu instid0(TRANS32_DEP_1) | instskip(NEXT) | instid1(VALU_DEP_1)
	v_fma_f64 v[51:52], -v[47:48], v[49:50], 1.0
	v_fma_f64 v[49:50], v[49:50], v[51:52], v[49:50]
	s_delay_alu instid0(VALU_DEP_1) | instskip(NEXT) | instid1(VALU_DEP_1)
	v_fma_f64 v[51:52], -v[47:48], v[49:50], 1.0
	v_fma_f64 v[49:50], v[49:50], v[51:52], v[49:50]
	s_delay_alu instid0(VALU_DEP_1) | instskip(NEXT) | instid1(VALU_DEP_1)
	v_mul_f64_e32 v[51:52], v[53:54], v[49:50]
	v_fma_f64 v[47:48], -v[47:48], v[51:52], v[53:54]
	s_wait_alu 0xfffd
	s_delay_alu instid0(VALU_DEP_1) | instskip(NEXT) | instid1(VALU_DEP_1)
	v_div_fmas_f64 v[47:48], v[47:48], v[49:50], v[51:52]
	v_div_fixup_f64 v[37:38], v[47:48], v[42:43], v[37:38]
	s_delay_alu instid0(VALU_DEP_1) | instskip(NEXT) | instid1(VALU_DEP_1)
	v_fma_f64 v[42:43], v[37:38], v[37:38], 1.0
	v_cmp_gt_f64_e32 vcc_lo, 0x10000000, v[42:43]
	s_wait_alu 0xfffd
	v_cndmask_b32_e64 v2, 0, 0x100, vcc_lo
	s_delay_alu instid0(VALU_DEP_1) | instskip(SKIP_1) | instid1(VALU_DEP_2)
	v_ldexp_f64 v[42:43], v[42:43], v2
	v_cndmask_b32_e64 v2, 0, 0xffffff80, vcc_lo
	v_rsq_f64_e32 v[47:48], v[42:43]
	v_cmp_class_f64_e64 vcc_lo, v[42:43], 0x260
	s_delay_alu instid0(TRANS32_DEP_1) | instskip(SKIP_1) | instid1(VALU_DEP_1)
	v_mul_f64_e32 v[49:50], v[42:43], v[47:48]
	v_mul_f64_e32 v[47:48], 0.5, v[47:48]
	v_fma_f64 v[51:52], -v[47:48], v[49:50], 0.5
	s_delay_alu instid0(VALU_DEP_1) | instskip(SKIP_1) | instid1(VALU_DEP_2)
	v_fma_f64 v[49:50], v[49:50], v[51:52], v[49:50]
	v_fma_f64 v[47:48], v[47:48], v[51:52], v[47:48]
	v_fma_f64 v[51:52], -v[49:50], v[49:50], v[42:43]
	s_delay_alu instid0(VALU_DEP_1) | instskip(NEXT) | instid1(VALU_DEP_1)
	v_fma_f64 v[49:50], v[51:52], v[47:48], v[49:50]
	v_fma_f64 v[51:52], -v[49:50], v[49:50], v[42:43]
	s_delay_alu instid0(VALU_DEP_1) | instskip(NEXT) | instid1(VALU_DEP_1)
	v_fma_f64 v[47:48], v[51:52], v[47:48], v[49:50]
	v_ldexp_f64 v[47:48], v[47:48], v2
	s_wait_alu 0xfffd
	s_delay_alu instid0(VALU_DEP_1) | instskip(NEXT) | instid1(VALU_DEP_2)
	v_cndmask_b32_e32 v2, v48, v43, vcc_lo
	v_cndmask_b32_e32 v42, v47, v42, vcc_lo
	v_cmp_nle_f64_e32 vcc_lo, 0, v[37:38]
	s_delay_alu instid0(VALU_DEP_3) | instskip(SKIP_2) | instid1(VALU_DEP_1)
	v_and_b32_e32 v9, 0x7fffffff, v2
	v_or_b32_e32 v2, 0x80000000, v2
	s_wait_alu 0xfffd
	v_cndmask_b32_e32 v43, v9, v2, vcc_lo
	v_ashrrev_i32_e32 v2, 31, v1
	v_mov_b32_e32 v9, v8
	s_delay_alu instid0(VALU_DEP_2) | instskip(SKIP_2) | instid1(VALU_DEP_3)
	v_lshlrev_b64_e32 v[47:48], 3, v[1:2]
	v_add_nc_u32_e32 v2, 1, v39
	v_add_f64_e32 v[37:38], v[37:38], v[42:43]
	v_add_co_u32 v43, vcc_lo, s18, v47
	s_wait_alu 0xfffd
	s_delay_alu instid0(VALU_DEP_4) | instskip(SKIP_4) | instid1(VALU_DEP_1)
	v_add_co_ci_u32_e64 v44, null, s19, v48, vcc_lo
	global_load_b64 v[49:50], v[43:44], off
	ds_store_b32 v8, v2 offset:36
	ds_store_b64 v8, v[8:9]
	v_div_scale_f64 v[51:52], null, v[37:38], v[37:38], v[40:41]
	v_rcp_f64_e32 v[53:54], v[51:52]
	s_delay_alu instid0(TRANS32_DEP_1) | instskip(NEXT) | instid1(VALU_DEP_1)
	v_fma_f64 v[55:56], -v[51:52], v[53:54], 1.0
	v_fma_f64 v[53:54], v[53:54], v[55:56], v[53:54]
	s_delay_alu instid0(VALU_DEP_1) | instskip(NEXT) | instid1(VALU_DEP_1)
	v_fma_f64 v[55:56], -v[51:52], v[53:54], 1.0
	v_fma_f64 v[53:54], v[53:54], v[55:56], v[53:54]
	v_div_scale_f64 v[55:56], vcc_lo, v[40:41], v[37:38], v[40:41]
	s_delay_alu instid0(VALU_DEP_1) | instskip(NEXT) | instid1(VALU_DEP_1)
	v_mul_f64_e32 v[61:62], v[55:56], v[53:54]
	v_fma_f64 v[51:52], -v[51:52], v[61:62], v[55:56]
	s_wait_alu 0xfffd
	s_delay_alu instid0(VALU_DEP_1) | instskip(SKIP_2) | instid1(VALU_DEP_2)
	v_div_fmas_f64 v[51:52], v[51:52], v[53:54], v[61:62]
	s_wait_loadcnt 0x0
	v_add_f64_e64 v[53:54], v[49:50], -v[45:46]
	v_div_fixup_f64 v[37:38], v[51:52], v[37:38], v[40:41]
	v_mov_b32_e32 v39, 0
	v_mov_b32_e32 v40, 0
	s_delay_alu instid0(VALU_DEP_3)
	v_add_f64_e32 v[37:38], v[53:54], v[37:38]
	v_cmpx_gt_i32_e64 v1, v34
	s_cbranch_execz .LBB68_192
; %bb.166:                              ;   in Loop: Header=BB68_151 Depth=2
	v_add_co_u32 v39, vcc_lo, s46, v47
	s_wait_alu 0xfffd
	v_add_co_ci_u32_e64 v40, null, s47, v48, vcc_lo
	v_mov_b32_e32 v51, 0
	v_dual_mov_b32 v52, 0 :: v_dual_mov_b32 v41, 0
	global_load_b64 v[45:46], v[39:40], off offset:-8
	v_mov_b32_e32 v42, 0x3ff00000
	s_mov_b32 s33, exec_lo
	s_wait_loadcnt 0x0
	v_cmpx_neq_f64_e32 0, v[45:46]
	s_cbranch_execz .LBB68_174
; %bb.167:                              ;   in Loop: Header=BB68_151 Depth=2
	v_mov_b32_e32 v41, 0
	v_dual_mov_b32 v42, 0 :: v_dual_mov_b32 v51, 0
	v_mov_b32_e32 v52, 0x3ff00000
	s_mov_b32 s39, exec_lo
	v_cmpx_neq_f64_e32 0, v[37:38]
	s_cbranch_execz .LBB68_173
; %bb.168:                              ;   in Loop: Header=BB68_151 Depth=2
	v_cmp_ngt_f64_e64 s41, |v[45:46]|, |v[37:38]|
                                        ; implicit-def: $vgpr51_vgpr52
                                        ; implicit-def: $vgpr41_vgpr42
	s_and_saveexec_b32 s76, s41
	s_delay_alu instid0(SALU_CYCLE_1)
	s_xor_b32 s41, exec_lo, s76
	s_cbranch_execz .LBB68_170
; %bb.169:                              ;   in Loop: Header=BB68_151 Depth=2
	v_div_scale_f64 v[39:40], null, v[37:38], v[37:38], -v[45:46]
	v_div_scale_f64 v[53:54], vcc_lo, -v[45:46], v[37:38], -v[45:46]
	s_delay_alu instid0(VALU_DEP_2) | instskip(NEXT) | instid1(TRANS32_DEP_1)
	v_rcp_f64_e32 v[41:42], v[39:40]
	v_fma_f64 v[51:52], -v[39:40], v[41:42], 1.0
	s_delay_alu instid0(VALU_DEP_1) | instskip(NEXT) | instid1(VALU_DEP_1)
	v_fma_f64 v[41:42], v[41:42], v[51:52], v[41:42]
	v_fma_f64 v[51:52], -v[39:40], v[41:42], 1.0
	s_delay_alu instid0(VALU_DEP_1) | instskip(NEXT) | instid1(VALU_DEP_1)
	v_fma_f64 v[41:42], v[41:42], v[51:52], v[41:42]
	v_mul_f64_e32 v[51:52], v[53:54], v[41:42]
	s_delay_alu instid0(VALU_DEP_1) | instskip(SKIP_1) | instid1(VALU_DEP_1)
	v_fma_f64 v[39:40], -v[39:40], v[51:52], v[53:54]
	s_wait_alu 0xfffd
	v_div_fmas_f64 v[39:40], v[39:40], v[41:42], v[51:52]
	s_delay_alu instid0(VALU_DEP_1) | instskip(NEXT) | instid1(VALU_DEP_1)
	v_div_fixup_f64 v[37:38], v[39:40], v[37:38], -v[45:46]
	v_fma_f64 v[39:40], v[37:38], v[37:38], 1.0
	s_delay_alu instid0(VALU_DEP_1) | instskip(SKIP_2) | instid1(VALU_DEP_1)
	v_cmp_gt_f64_e32 vcc_lo, 0x10000000, v[39:40]
	s_wait_alu 0xfffd
	v_cndmask_b32_e64 v2, 0, 0x100, vcc_lo
	v_ldexp_f64 v[39:40], v[39:40], v2
	v_cndmask_b32_e64 v2, 0, 0xffffff80, vcc_lo
	s_delay_alu instid0(VALU_DEP_2) | instskip(SKIP_1) | instid1(TRANS32_DEP_1)
	v_rsq_f64_e32 v[41:42], v[39:40]
	v_cmp_class_f64_e64 vcc_lo, v[39:40], 0x260
	v_mul_f64_e32 v[51:52], v[39:40], v[41:42]
	v_mul_f64_e32 v[41:42], 0.5, v[41:42]
	s_delay_alu instid0(VALU_DEP_1) | instskip(NEXT) | instid1(VALU_DEP_1)
	v_fma_f64 v[53:54], -v[41:42], v[51:52], 0.5
	v_fma_f64 v[51:52], v[51:52], v[53:54], v[51:52]
	v_fma_f64 v[41:42], v[41:42], v[53:54], v[41:42]
	s_delay_alu instid0(VALU_DEP_2) | instskip(NEXT) | instid1(VALU_DEP_1)
	v_fma_f64 v[53:54], -v[51:52], v[51:52], v[39:40]
	v_fma_f64 v[51:52], v[53:54], v[41:42], v[51:52]
	s_delay_alu instid0(VALU_DEP_1) | instskip(NEXT) | instid1(VALU_DEP_1)
	v_fma_f64 v[53:54], -v[51:52], v[51:52], v[39:40]
	v_fma_f64 v[41:42], v[53:54], v[41:42], v[51:52]
	s_delay_alu instid0(VALU_DEP_1) | instskip(SKIP_1) | instid1(VALU_DEP_1)
	v_ldexp_f64 v[41:42], v[41:42], v2
	s_wait_alu 0xfffd
	v_dual_cndmask_b32 v40, v42, v40 :: v_dual_cndmask_b32 v39, v41, v39
	s_delay_alu instid0(VALU_DEP_1) | instskip(NEXT) | instid1(VALU_DEP_1)
	v_div_scale_f64 v[41:42], null, v[39:40], v[39:40], 1.0
	v_rcp_f64_e32 v[51:52], v[41:42]
	s_delay_alu instid0(TRANS32_DEP_1) | instskip(NEXT) | instid1(VALU_DEP_1)
	v_fma_f64 v[53:54], -v[41:42], v[51:52], 1.0
	v_fma_f64 v[51:52], v[51:52], v[53:54], v[51:52]
	s_delay_alu instid0(VALU_DEP_1) | instskip(NEXT) | instid1(VALU_DEP_1)
	v_fma_f64 v[53:54], -v[41:42], v[51:52], 1.0
	v_fma_f64 v[51:52], v[51:52], v[53:54], v[51:52]
	v_div_scale_f64 v[53:54], vcc_lo, 1.0, v[39:40], 1.0
	s_delay_alu instid0(VALU_DEP_1) | instskip(NEXT) | instid1(VALU_DEP_1)
	v_mul_f64_e32 v[55:56], v[53:54], v[51:52]
	v_fma_f64 v[41:42], -v[41:42], v[55:56], v[53:54]
	s_wait_alu 0xfffd
	s_delay_alu instid0(VALU_DEP_1) | instskip(NEXT) | instid1(VALU_DEP_1)
	v_div_fmas_f64 v[41:42], v[41:42], v[51:52], v[55:56]
	v_div_fixup_f64 v[41:42], v[41:42], v[39:40], 1.0
	s_delay_alu instid0(VALU_DEP_1)
	v_mul_f64_e32 v[51:52], v[37:38], v[41:42]
                                        ; implicit-def: $vgpr37_vgpr38
.LBB68_170:                             ;   in Loop: Header=BB68_151 Depth=2
	s_wait_alu 0xfffe
	s_and_not1_saveexec_b32 s41, s41
	s_cbranch_execz .LBB68_172
; %bb.171:                              ;   in Loop: Header=BB68_151 Depth=2
	v_div_scale_f64 v[39:40], null, v[45:46], v[45:46], -v[37:38]
	v_div_scale_f64 v[53:54], vcc_lo, -v[37:38], v[45:46], -v[37:38]
	s_delay_alu instid0(VALU_DEP_2) | instskip(NEXT) | instid1(TRANS32_DEP_1)
	v_rcp_f64_e32 v[41:42], v[39:40]
	v_fma_f64 v[51:52], -v[39:40], v[41:42], 1.0
	s_delay_alu instid0(VALU_DEP_1) | instskip(NEXT) | instid1(VALU_DEP_1)
	v_fma_f64 v[41:42], v[41:42], v[51:52], v[41:42]
	v_fma_f64 v[51:52], -v[39:40], v[41:42], 1.0
	s_delay_alu instid0(VALU_DEP_1) | instskip(NEXT) | instid1(VALU_DEP_1)
	v_fma_f64 v[41:42], v[41:42], v[51:52], v[41:42]
	v_mul_f64_e32 v[51:52], v[53:54], v[41:42]
	s_delay_alu instid0(VALU_DEP_1) | instskip(SKIP_1) | instid1(VALU_DEP_1)
	v_fma_f64 v[39:40], -v[39:40], v[51:52], v[53:54]
	s_wait_alu 0xfffd
	v_div_fmas_f64 v[39:40], v[39:40], v[41:42], v[51:52]
	s_delay_alu instid0(VALU_DEP_1) | instskip(NEXT) | instid1(VALU_DEP_1)
	v_div_fixup_f64 v[37:38], v[39:40], v[45:46], -v[37:38]
	v_fma_f64 v[39:40], v[37:38], v[37:38], 1.0
	s_delay_alu instid0(VALU_DEP_1) | instskip(SKIP_2) | instid1(VALU_DEP_1)
	v_cmp_gt_f64_e32 vcc_lo, 0x10000000, v[39:40]
	s_wait_alu 0xfffd
	v_cndmask_b32_e64 v2, 0, 0x100, vcc_lo
	v_ldexp_f64 v[39:40], v[39:40], v2
	v_cndmask_b32_e64 v2, 0, 0xffffff80, vcc_lo
	s_delay_alu instid0(VALU_DEP_2) | instskip(SKIP_1) | instid1(TRANS32_DEP_1)
	v_rsq_f64_e32 v[41:42], v[39:40]
	v_cmp_class_f64_e64 vcc_lo, v[39:40], 0x260
	v_mul_f64_e32 v[51:52], v[39:40], v[41:42]
	v_mul_f64_e32 v[41:42], 0.5, v[41:42]
	s_delay_alu instid0(VALU_DEP_1) | instskip(NEXT) | instid1(VALU_DEP_1)
	v_fma_f64 v[53:54], -v[41:42], v[51:52], 0.5
	v_fma_f64 v[51:52], v[51:52], v[53:54], v[51:52]
	v_fma_f64 v[41:42], v[41:42], v[53:54], v[41:42]
	s_delay_alu instid0(VALU_DEP_2) | instskip(NEXT) | instid1(VALU_DEP_1)
	v_fma_f64 v[53:54], -v[51:52], v[51:52], v[39:40]
	v_fma_f64 v[51:52], v[53:54], v[41:42], v[51:52]
	s_delay_alu instid0(VALU_DEP_1) | instskip(NEXT) | instid1(VALU_DEP_1)
	v_fma_f64 v[53:54], -v[51:52], v[51:52], v[39:40]
	v_fma_f64 v[41:42], v[53:54], v[41:42], v[51:52]
	s_delay_alu instid0(VALU_DEP_1) | instskip(SKIP_1) | instid1(VALU_DEP_1)
	v_ldexp_f64 v[41:42], v[41:42], v2
	s_wait_alu 0xfffd
	v_dual_cndmask_b32 v40, v42, v40 :: v_dual_cndmask_b32 v39, v41, v39
	s_delay_alu instid0(VALU_DEP_1) | instskip(NEXT) | instid1(VALU_DEP_1)
	v_div_scale_f64 v[41:42], null, v[39:40], v[39:40], 1.0
	v_rcp_f64_e32 v[51:52], v[41:42]
	s_delay_alu instid0(TRANS32_DEP_1) | instskip(NEXT) | instid1(VALU_DEP_1)
	v_fma_f64 v[53:54], -v[41:42], v[51:52], 1.0
	v_fma_f64 v[51:52], v[51:52], v[53:54], v[51:52]
	s_delay_alu instid0(VALU_DEP_1) | instskip(NEXT) | instid1(VALU_DEP_1)
	v_fma_f64 v[53:54], -v[41:42], v[51:52], 1.0
	v_fma_f64 v[51:52], v[51:52], v[53:54], v[51:52]
	v_div_scale_f64 v[53:54], vcc_lo, 1.0, v[39:40], 1.0
	s_delay_alu instid0(VALU_DEP_1) | instskip(NEXT) | instid1(VALU_DEP_1)
	v_mul_f64_e32 v[55:56], v[53:54], v[51:52]
	v_fma_f64 v[41:42], -v[41:42], v[55:56], v[53:54]
	s_wait_alu 0xfffd
	s_delay_alu instid0(VALU_DEP_1) | instskip(NEXT) | instid1(VALU_DEP_1)
	v_div_fmas_f64 v[41:42], v[41:42], v[51:52], v[55:56]
	v_div_fixup_f64 v[51:52], v[41:42], v[39:40], 1.0
	s_delay_alu instid0(VALU_DEP_1)
	v_mul_f64_e32 v[41:42], v[37:38], v[51:52]
.LBB68_172:                             ;   in Loop: Header=BB68_151 Depth=2
	s_wait_alu 0xfffe
	s_or_b32 exec_lo, exec_lo, s41
.LBB68_173:                             ;   in Loop: Header=BB68_151 Depth=2
	s_wait_alu 0xfffe
	s_or_b32 exec_lo, exec_lo, s39
.LBB68_174:                             ;   in Loop: Header=BB68_151 Depth=2
	s_delay_alu instid0(SALU_CYCLE_1)
	s_or_b32 exec_lo, exec_lo, s33
	global_load_b64 v[37:38], v[43:44], off offset:-8
	v_add_f64_e32 v[39:40], v[41:42], v[41:42]
	s_mov_b32 s33, exec_lo
	s_wait_loadcnt 0x0
	v_add_f64_e64 v[37:38], v[37:38], -v[49:50]
	s_delay_alu instid0(VALU_DEP_1) | instskip(NEXT) | instid1(VALU_DEP_1)
	v_mul_f64_e32 v[37:38], v[51:52], v[37:38]
	v_fma_f64 v[37:38], v[45:46], v[39:40], -v[37:38]
	s_delay_alu instid0(VALU_DEP_1)
	v_mul_f64_e64 v[39:40], v[37:38], -v[51:52]
	v_fma_f64 v[49:50], v[37:38], -v[51:52], v[49:50]
	v_fma_f64 v[37:38], v[41:42], v[37:38], -v[45:46]
	v_add_co_u32 v46, vcc_lo, s50, v47
	s_wait_alu 0xfffd
	v_add_co_ci_u32_e64 v47, null, s51, v48, vcc_lo
	v_add_nc_u32_e32 v45, -1, v1
	s_delay_alu instid0(VALU_DEP_3) | instskip(SKIP_1) | instid1(VALU_DEP_3)
	v_add_co_u32 v2, vcc_lo, v46, -8
	s_wait_alu 0xfffd
	v_add_co_ci_u32_e64 v9, null, -1, v47, vcc_lo
	s_delay_alu instid0(VALU_DEP_2) | instskip(SKIP_1) | instid1(VALU_DEP_2)
	v_add_co_u32 v53, vcc_lo, v2, s56
	s_wait_alu 0xfffd
	v_add_co_ci_u32_e64 v54, null, s57, v9, vcc_lo
	ds_store_b64 v8, v[39:40]
	global_store_b64 v[43:44], v[49:50], off
	s_clause 0x1
	global_store_b64 v[46:47], v[41:42], off offset:-8
	global_store_b64 v[53:54], v[51:52], off offset:-8
	v_cmpx_gt_i32_e64 v45, v34
	s_cbranch_execz .LBB68_191
; %bb.175:                              ;   in Loop: Header=BB68_151 Depth=2
	v_ashrrev_i32_e32 v46, 31, v45
	v_xor_b32_e32 v52, 0x80000000, v52
	s_mov_b32 s39, -1
	s_mov_b32 s41, 0
	s_mov_b64 s[80:81], s[64:65]
	v_lshlrev_b64_e32 v[43:44], 3, v[45:46]
	s_mov_b64 s[82:83], s[18:19]
	s_mov_b64 s[84:85], s[62:63]
	;; [unrolled: 1-line block ×3, first 2 shown]
	s_branch .LBB68_177
.LBB68_176:                             ;   in Loop: Header=BB68_177 Depth=3
	v_add_co_u32 v61, vcc_lo, s82, v43
	s_wait_alu 0xfffd
	v_add_co_ci_u32_e64 v62, null, s83, v44, vcc_lo
	v_mul_f64_e32 v[41:42], v[41:42], v[45:46]
	v_add_f64_e32 v[45:46], v[55:56], v[55:56]
	s_add_co_i32 s39, s39, -1
	global_load_b128 v[47:50], v[61:62], off offset:-8
	s_wait_alu 0xfffe
	v_dual_mov_b32 v51, v53 :: v_dual_add_nc_u32 v2, s39, v1
	v_xor_b32_e32 v52, 0x80000000, v54
	s_add_nc_u64 s[82:83], s[82:83], -8
	s_add_nc_u64 s[80:81], s[80:81], -8
	s_wait_loadcnt 0x0
	v_add_f64_e64 v[37:38], v[49:50], -v[39:40]
	s_delay_alu instid0(VALU_DEP_1) | instskip(NEXT) | instid1(VALU_DEP_1)
	v_add_f64_e64 v[39:40], v[47:48], -v[37:38]
	v_mul_f64_e32 v[39:40], v[53:54], v[39:40]
	s_delay_alu instid0(VALU_DEP_1) | instskip(NEXT) | instid1(VALU_DEP_1)
	v_fma_f64 v[45:46], v[41:42], v[45:46], -v[39:40]
	v_fma_f64 v[47:48], v[45:46], -v[53:54], v[37:38]
	v_mul_f64_e64 v[39:40], v[45:46], -v[53:54]
	v_fma_f64 v[37:38], v[55:56], v[45:46], -v[41:42]
	v_add_co_u32 v45, vcc_lo, s84, v43
	s_wait_alu 0xfffd
	v_add_co_ci_u32_e64 v46, null, s85, v44, vcc_lo
	v_add_co_u32 v49, vcc_lo, s86, v43
	s_wait_alu 0xfffd
	v_add_co_ci_u32_e64 v50, null, s87, v44, vcc_lo
	v_cmp_le_i32_e32 vcc_lo, v2, v34
	v_dual_mov_b32 v41, v55 :: v_dual_mov_b32 v42, v56
	s_add_nc_u64 s[86:87], s[86:87], -8
	s_add_nc_u64 s[84:85], s[84:85], -8
	s_or_b32 s41, vcc_lo, s41
	global_store_b64 v[61:62], v[47:48], off
	global_store_b64 v[45:46], v[55:56], off
	;; [unrolled: 1-line block ×3, first 2 shown]
	s_wait_alu 0xfffe
	s_and_not1_b32 exec_lo, exec_lo, s41
	s_cbranch_execz .LBB68_190
.LBB68_177:                             ;   Parent Loop BB68_7 Depth=1
                                        ;     Parent Loop BB68_151 Depth=2
                                        ; =>    This Inner Loop Header: Depth=3
	s_wait_alu 0xfffe
	v_add_co_u32 v47, vcc_lo, s80, v43
	s_wait_alu 0xfffd
	v_add_co_ci_u32_e64 v48, null, s81, v44, vcc_lo
	v_mov_b32_e32 v53, 0
	v_dual_mov_b32 v54, 0 :: v_dual_mov_b32 v55, 0
	global_load_b64 v[45:46], v[47:48], off
	v_mov_b32_e32 v56, 0x3ff00000
	s_mov_b32 s76, exec_lo
	s_wait_loadcnt 0x0
	v_mul_f64_e32 v[49:50], v[51:52], v[45:46]
	s_delay_alu instid0(VALU_DEP_1)
	v_cmpx_neq_f64_e32 0, v[49:50]
	s_cbranch_execz .LBB68_187
; %bb.178:                              ;   in Loop: Header=BB68_177 Depth=3
	v_xor_b32_e32 v52, 0x80000000, v50
	v_mov_b32_e32 v51, v49
	s_mov_b32 s88, exec_lo
                                        ; implicit-def: $vgpr53_vgpr54
                                        ; implicit-def: $vgpr55_vgpr56
	v_cmpx_neq_f64_e32 0, v[37:38]
	s_wait_alu 0xfffe
	s_xor_b32 s88, exec_lo, s88
	s_cbranch_execz .LBB68_184
; %bb.179:                              ;   in Loop: Header=BB68_177 Depth=3
	v_cmp_ngt_f64_e64 s89, |v[49:50]|, |v[37:38]|
                                        ; implicit-def: $vgpr53_vgpr54
                                        ; implicit-def: $vgpr55_vgpr56
	s_and_saveexec_b32 s90, s89
	s_wait_alu 0xfffe
	s_xor_b32 s89, exec_lo, s90
	s_cbranch_execz .LBB68_181
; %bb.180:                              ;   in Loop: Header=BB68_177 Depth=3
	v_div_scale_f64 v[51:52], null, v[37:38], v[37:38], -v[49:50]
	v_div_scale_f64 v[61:62], vcc_lo, -v[49:50], v[37:38], -v[49:50]
	s_delay_alu instid0(VALU_DEP_2) | instskip(NEXT) | instid1(TRANS32_DEP_1)
	v_rcp_f64_e32 v[53:54], v[51:52]
	v_fma_f64 v[55:56], -v[51:52], v[53:54], 1.0
	s_delay_alu instid0(VALU_DEP_1) | instskip(NEXT) | instid1(VALU_DEP_1)
	v_fma_f64 v[53:54], v[53:54], v[55:56], v[53:54]
	v_fma_f64 v[55:56], -v[51:52], v[53:54], 1.0
	s_delay_alu instid0(VALU_DEP_1) | instskip(NEXT) | instid1(VALU_DEP_1)
	v_fma_f64 v[53:54], v[53:54], v[55:56], v[53:54]
	v_mul_f64_e32 v[55:56], v[61:62], v[53:54]
	s_delay_alu instid0(VALU_DEP_1) | instskip(SKIP_1) | instid1(VALU_DEP_1)
	v_fma_f64 v[51:52], -v[51:52], v[55:56], v[61:62]
	s_wait_alu 0xfffd
	v_div_fmas_f64 v[51:52], v[51:52], v[53:54], v[55:56]
	s_delay_alu instid0(VALU_DEP_1) | instskip(NEXT) | instid1(VALU_DEP_1)
	v_div_fixup_f64 v[51:52], v[51:52], v[37:38], -v[49:50]
	v_fma_f64 v[53:54], v[51:52], v[51:52], 1.0
	s_delay_alu instid0(VALU_DEP_1) | instskip(SKIP_2) | instid1(VALU_DEP_1)
	v_cmp_gt_f64_e32 vcc_lo, 0x10000000, v[53:54]
	s_wait_alu 0xfffd
	v_cndmask_b32_e64 v2, 0, 0x100, vcc_lo
	v_ldexp_f64 v[53:54], v[53:54], v2
	v_cndmask_b32_e64 v2, 0, 0xffffff80, vcc_lo
	s_delay_alu instid0(VALU_DEP_2) | instskip(SKIP_1) | instid1(TRANS32_DEP_1)
	v_rsq_f64_e32 v[55:56], v[53:54]
	v_cmp_class_f64_e64 vcc_lo, v[53:54], 0x260
	v_mul_f64_e32 v[61:62], v[53:54], v[55:56]
	v_mul_f64_e32 v[55:56], 0.5, v[55:56]
	s_delay_alu instid0(VALU_DEP_1) | instskip(NEXT) | instid1(VALU_DEP_1)
	v_fma_f64 v[63:64], -v[55:56], v[61:62], 0.5
	v_fma_f64 v[61:62], v[61:62], v[63:64], v[61:62]
	v_fma_f64 v[55:56], v[55:56], v[63:64], v[55:56]
	s_delay_alu instid0(VALU_DEP_2) | instskip(NEXT) | instid1(VALU_DEP_1)
	v_fma_f64 v[63:64], -v[61:62], v[61:62], v[53:54]
	v_fma_f64 v[61:62], v[63:64], v[55:56], v[61:62]
	s_delay_alu instid0(VALU_DEP_1) | instskip(NEXT) | instid1(VALU_DEP_1)
	v_fma_f64 v[63:64], -v[61:62], v[61:62], v[53:54]
	v_fma_f64 v[55:56], v[63:64], v[55:56], v[61:62]
	s_delay_alu instid0(VALU_DEP_1) | instskip(SKIP_1) | instid1(VALU_DEP_1)
	v_ldexp_f64 v[55:56], v[55:56], v2
	s_wait_alu 0xfffd
	v_dual_cndmask_b32 v54, v56, v54 :: v_dual_cndmask_b32 v53, v55, v53
	s_delay_alu instid0(VALU_DEP_1) | instskip(NEXT) | instid1(VALU_DEP_1)
	v_div_scale_f64 v[55:56], null, v[53:54], v[53:54], 1.0
	v_rcp_f64_e32 v[61:62], v[55:56]
	s_delay_alu instid0(TRANS32_DEP_1) | instskip(NEXT) | instid1(VALU_DEP_1)
	v_fma_f64 v[63:64], -v[55:56], v[61:62], 1.0
	v_fma_f64 v[61:62], v[61:62], v[63:64], v[61:62]
	s_delay_alu instid0(VALU_DEP_1) | instskip(NEXT) | instid1(VALU_DEP_1)
	v_fma_f64 v[63:64], -v[55:56], v[61:62], 1.0
	v_fma_f64 v[61:62], v[61:62], v[63:64], v[61:62]
	v_div_scale_f64 v[63:64], vcc_lo, 1.0, v[53:54], 1.0
	s_delay_alu instid0(VALU_DEP_1) | instskip(NEXT) | instid1(VALU_DEP_1)
	v_mul_f64_e32 v[65:66], v[63:64], v[61:62]
	v_fma_f64 v[55:56], -v[55:56], v[65:66], v[63:64]
	s_wait_alu 0xfffd
	s_delay_alu instid0(VALU_DEP_1) | instskip(NEXT) | instid1(VALU_DEP_1)
	v_div_fmas_f64 v[55:56], v[55:56], v[61:62], v[65:66]
	v_div_fixup_f64 v[55:56], v[55:56], v[53:54], 1.0
	s_delay_alu instid0(VALU_DEP_1)
	v_mul_f64_e32 v[53:54], v[51:52], v[55:56]
.LBB68_181:                             ;   in Loop: Header=BB68_177 Depth=3
	s_wait_alu 0xfffe
	s_and_not1_saveexec_b32 s89, s89
	s_cbranch_execz .LBB68_183
; %bb.182:                              ;   in Loop: Header=BB68_177 Depth=3
	v_div_scale_f64 v[51:52], null, v[49:50], v[49:50], -v[37:38]
	v_div_scale_f64 v[61:62], vcc_lo, -v[37:38], v[49:50], -v[37:38]
	s_delay_alu instid0(VALU_DEP_2) | instskip(NEXT) | instid1(TRANS32_DEP_1)
	v_rcp_f64_e32 v[53:54], v[51:52]
	v_fma_f64 v[55:56], -v[51:52], v[53:54], 1.0
	s_delay_alu instid0(VALU_DEP_1) | instskip(NEXT) | instid1(VALU_DEP_1)
	v_fma_f64 v[53:54], v[53:54], v[55:56], v[53:54]
	v_fma_f64 v[55:56], -v[51:52], v[53:54], 1.0
	s_delay_alu instid0(VALU_DEP_1) | instskip(NEXT) | instid1(VALU_DEP_1)
	v_fma_f64 v[53:54], v[53:54], v[55:56], v[53:54]
	v_mul_f64_e32 v[55:56], v[61:62], v[53:54]
	s_delay_alu instid0(VALU_DEP_1) | instskip(SKIP_1) | instid1(VALU_DEP_1)
	v_fma_f64 v[51:52], -v[51:52], v[55:56], v[61:62]
	s_wait_alu 0xfffd
	v_div_fmas_f64 v[51:52], v[51:52], v[53:54], v[55:56]
	s_delay_alu instid0(VALU_DEP_1) | instskip(NEXT) | instid1(VALU_DEP_1)
	v_div_fixup_f64 v[51:52], v[51:52], v[49:50], -v[37:38]
	v_fma_f64 v[53:54], v[51:52], v[51:52], 1.0
	s_delay_alu instid0(VALU_DEP_1) | instskip(SKIP_2) | instid1(VALU_DEP_1)
	v_cmp_gt_f64_e32 vcc_lo, 0x10000000, v[53:54]
	s_wait_alu 0xfffd
	v_cndmask_b32_e64 v2, 0, 0x100, vcc_lo
	v_ldexp_f64 v[53:54], v[53:54], v2
	v_cndmask_b32_e64 v2, 0, 0xffffff80, vcc_lo
	s_delay_alu instid0(VALU_DEP_2) | instskip(SKIP_1) | instid1(TRANS32_DEP_1)
	v_rsq_f64_e32 v[55:56], v[53:54]
	v_cmp_class_f64_e64 vcc_lo, v[53:54], 0x260
	v_mul_f64_e32 v[61:62], v[53:54], v[55:56]
	v_mul_f64_e32 v[55:56], 0.5, v[55:56]
	s_delay_alu instid0(VALU_DEP_1) | instskip(NEXT) | instid1(VALU_DEP_1)
	v_fma_f64 v[63:64], -v[55:56], v[61:62], 0.5
	v_fma_f64 v[61:62], v[61:62], v[63:64], v[61:62]
	v_fma_f64 v[55:56], v[55:56], v[63:64], v[55:56]
	s_delay_alu instid0(VALU_DEP_2) | instskip(NEXT) | instid1(VALU_DEP_1)
	v_fma_f64 v[63:64], -v[61:62], v[61:62], v[53:54]
	v_fma_f64 v[61:62], v[63:64], v[55:56], v[61:62]
	s_delay_alu instid0(VALU_DEP_1) | instskip(NEXT) | instid1(VALU_DEP_1)
	v_fma_f64 v[63:64], -v[61:62], v[61:62], v[53:54]
	v_fma_f64 v[55:56], v[63:64], v[55:56], v[61:62]
	s_delay_alu instid0(VALU_DEP_1) | instskip(SKIP_1) | instid1(VALU_DEP_1)
	v_ldexp_f64 v[55:56], v[55:56], v2
	s_wait_alu 0xfffd
	v_dual_cndmask_b32 v54, v56, v54 :: v_dual_cndmask_b32 v53, v55, v53
	s_delay_alu instid0(VALU_DEP_1) | instskip(NEXT) | instid1(VALU_DEP_1)
	v_div_scale_f64 v[55:56], null, v[53:54], v[53:54], 1.0
	v_rcp_f64_e32 v[61:62], v[55:56]
	s_delay_alu instid0(TRANS32_DEP_1) | instskip(NEXT) | instid1(VALU_DEP_1)
	v_fma_f64 v[63:64], -v[55:56], v[61:62], 1.0
	v_fma_f64 v[61:62], v[61:62], v[63:64], v[61:62]
	s_delay_alu instid0(VALU_DEP_1) | instskip(NEXT) | instid1(VALU_DEP_1)
	v_fma_f64 v[63:64], -v[55:56], v[61:62], 1.0
	v_fma_f64 v[61:62], v[61:62], v[63:64], v[61:62]
	v_div_scale_f64 v[63:64], vcc_lo, 1.0, v[53:54], 1.0
	s_delay_alu instid0(VALU_DEP_1) | instskip(NEXT) | instid1(VALU_DEP_1)
	v_mul_f64_e32 v[65:66], v[63:64], v[61:62]
	v_fma_f64 v[55:56], -v[55:56], v[65:66], v[63:64]
	s_wait_alu 0xfffd
	s_delay_alu instid0(VALU_DEP_1) | instskip(NEXT) | instid1(VALU_DEP_1)
	v_div_fmas_f64 v[55:56], v[55:56], v[61:62], v[65:66]
	v_div_fixup_f64 v[53:54], v[55:56], v[53:54], 1.0
	s_delay_alu instid0(VALU_DEP_1)
	v_mul_f64_e32 v[55:56], v[51:52], v[53:54]
.LBB68_183:                             ;   in Loop: Header=BB68_177 Depth=3
	s_wait_alu 0xfffe
	s_or_b32 exec_lo, exec_lo, s89
	s_delay_alu instid0(VALU_DEP_1) | instskip(NEXT) | instid1(VALU_DEP_1)
	v_mul_f64_e32 v[49:50], v[49:50], v[53:54]
	v_fma_f64 v[51:52], v[37:38], v[55:56], -v[49:50]
.LBB68_184:                             ;   in Loop: Header=BB68_177 Depth=3
	s_wait_alu 0xfffe
	s_and_not1_saveexec_b32 s88, s88
; %bb.185:                              ;   in Loop: Header=BB68_177 Depth=3
	v_mov_b32_e32 v55, 0
	v_dual_mov_b32 v56, 0 :: v_dual_mov_b32 v53, 0
	v_mov_b32_e32 v54, 0x3ff00000
; %bb.186:                              ;   in Loop: Header=BB68_177 Depth=3
	s_wait_alu 0xfffe
	s_or_b32 exec_lo, exec_lo, s88
	s_delay_alu instid0(VALU_DEP_4)
	v_dual_mov_b32 v37, v51 :: v_dual_mov_b32 v38, v52
.LBB68_187:                             ;   in Loop: Header=BB68_177 Depth=3
	s_or_b32 exec_lo, exec_lo, s76
	s_cmp_eq_u32 s39, 0
	s_cbranch_scc1 .LBB68_176
; %bb.188:                              ;   in Loop: Header=BB68_177 Depth=3
	global_store_b64 v[47:48], v[37:38], off offset:8
	s_branch .LBB68_176
.LBB68_189:                             ;   in Loop: Header=BB68_151 Depth=2
	ds_store_2addr_b32 v8, v1, v34 offset0:5 offset1:7
	s_cbranch_execz .LBB68_162
	s_branch .LBB68_163
.LBB68_190:                             ;   in Loop: Header=BB68_151 Depth=2
	s_or_b32 exec_lo, exec_lo, s41
	ds_store_b64 v8, v[39:40]
.LBB68_191:                             ;   in Loop: Header=BB68_151 Depth=2
	s_or_b32 exec_lo, exec_lo, s33
	global_load_b64 v[45:46], v[35:36], off
.LBB68_192:                             ;   in Loop: Header=BB68_151 Depth=2
	s_wait_alu 0xfffe
	s_or_b32 exec_lo, exec_lo, s31
	s_wait_loadcnt 0x0
	v_add_f64_e64 v[1:2], v[45:46], -v[39:40]
                                        ; implicit-def: $vgpr34
                                        ; implicit-def: $vgpr45_vgpr46
	global_store_b64 v[35:36], v[1:2], off
	global_store_b64 v[3:4], v[37:38], off
                                        ; implicit-def: $vgpr37_vgpr38
                                        ; implicit-def: $vgpr35_vgpr36
.LBB68_193:                             ;   in Loop: Header=BB68_151 Depth=2
	s_wait_alu 0xfffe
	s_and_not1_saveexec_b32 s31, s5
	s_cbranch_execz .LBB68_230
; %bb.194:                              ;   in Loop: Header=BB68_151 Depth=2
	v_add_co_u32 v39, vcc_lo, s46, v37
	s_wait_alu 0xfffd
	v_add_co_ci_u32_e64 v40, null, s47, v38, vcc_lo
                                        ; implicit-def: $vgpr49_vgpr50
	global_load_b64 v[1:2], v[35:36], off offset:8
	global_load_b64 v[47:48], v[39:40], off
	s_wait_loadcnt 0x1
	v_add_f64_e64 v[43:44], v[45:46], -v[1:2]
	s_wait_loadcnt 0x0
	v_add_f64_e32 v[41:42], v[47:48], v[47:48]
	s_delay_alu instid0(VALU_DEP_1) | instskip(SKIP_1) | instid1(SALU_CYCLE_1)
	v_cmp_ngt_f64_e64 s5, |v[43:44]|, |v[41:42]|
	s_and_saveexec_b32 s33, s5
	s_xor_b32 s5, exec_lo, s33
	s_cbranch_execz .LBB68_200
; %bb.195:                              ;   in Loop: Header=BB68_151 Depth=2
	v_cmp_nlt_f64_e64 s33, |v[43:44]|, |v[41:42]|
                                        ; implicit-def: $vgpr49_vgpr50
	s_and_saveexec_b32 s39, s33
	s_wait_alu 0xfffe
	s_xor_b32 s33, exec_lo, s39
	s_cbranch_execz .LBB68_197
; %bb.196:                              ;   in Loop: Header=BB68_151 Depth=2
	v_mul_f64_e64 v[49:50], |v[41:42]|, s[78:79]
.LBB68_197:                             ;   in Loop: Header=BB68_151 Depth=2
	s_and_not1_saveexec_b32 s33, s33
	s_cbranch_execz .LBB68_199
; %bb.198:                              ;   in Loop: Header=BB68_151 Depth=2
	v_dual_mov_b32 v3, v43 :: v_dual_and_b32 v4, 0x7fffffff, v44
	v_dual_mov_b32 v49, v41 :: v_dual_and_b32 v50, 0x7fffffff, v42
	s_delay_alu instid0(VALU_DEP_1) | instskip(SKIP_1) | instid1(VALU_DEP_2)
	v_div_scale_f64 v[51:52], null, v[49:50], v[49:50], v[3:4]
	v_div_scale_f64 v[3:4], vcc_lo, v[3:4], v[49:50], v[3:4]
	v_rcp_f64_e32 v[53:54], v[51:52]
	s_delay_alu instid0(TRANS32_DEP_1) | instskip(NEXT) | instid1(VALU_DEP_1)
	v_fma_f64 v[55:56], -v[51:52], v[53:54], 1.0
	v_fma_f64 v[53:54], v[53:54], v[55:56], v[53:54]
	s_delay_alu instid0(VALU_DEP_1) | instskip(NEXT) | instid1(VALU_DEP_1)
	v_fma_f64 v[55:56], -v[51:52], v[53:54], 1.0
	v_fma_f64 v[49:50], v[53:54], v[55:56], v[53:54]
	s_delay_alu instid0(VALU_DEP_1) | instskip(NEXT) | instid1(VALU_DEP_1)
	v_mul_f64_e32 v[53:54], v[3:4], v[49:50]
	v_fma_f64 v[3:4], -v[51:52], v[53:54], v[3:4]
	s_wait_alu 0xfffd
	s_delay_alu instid0(VALU_DEP_1) | instskip(NEXT) | instid1(VALU_DEP_1)
	v_div_fmas_f64 v[3:4], v[3:4], v[49:50], v[53:54]
	v_div_fixup_f64 v[3:4], v[3:4], |v[41:42]|, |v[43:44]|
	s_delay_alu instid0(VALU_DEP_1) | instskip(NEXT) | instid1(VALU_DEP_1)
	v_fma_f64 v[3:4], v[3:4], v[3:4], 1.0
	v_cmp_gt_f64_e32 vcc_lo, 0x10000000, v[3:4]
	s_wait_alu 0xfffd
	v_cndmask_b32_e64 v9, 0, 0x100, vcc_lo
	s_delay_alu instid0(VALU_DEP_1) | instskip(SKIP_1) | instid1(VALU_DEP_2)
	v_ldexp_f64 v[3:4], v[3:4], v9
	v_cndmask_b32_e64 v9, 0, 0xffffff80, vcc_lo
	v_rsq_f64_e32 v[49:50], v[3:4]
	v_cmp_class_f64_e64 vcc_lo, v[3:4], 0x260
	s_delay_alu instid0(TRANS32_DEP_1) | instskip(SKIP_1) | instid1(VALU_DEP_1)
	v_mul_f64_e32 v[51:52], v[3:4], v[49:50]
	v_mul_f64_e32 v[49:50], 0.5, v[49:50]
	v_fma_f64 v[53:54], -v[49:50], v[51:52], 0.5
	s_delay_alu instid0(VALU_DEP_1) | instskip(SKIP_1) | instid1(VALU_DEP_2)
	v_fma_f64 v[51:52], v[51:52], v[53:54], v[51:52]
	v_fma_f64 v[49:50], v[49:50], v[53:54], v[49:50]
	v_fma_f64 v[53:54], -v[51:52], v[51:52], v[3:4]
	s_delay_alu instid0(VALU_DEP_1) | instskip(NEXT) | instid1(VALU_DEP_1)
	v_fma_f64 v[51:52], v[53:54], v[49:50], v[51:52]
	v_fma_f64 v[53:54], -v[51:52], v[51:52], v[3:4]
	s_delay_alu instid0(VALU_DEP_1) | instskip(NEXT) | instid1(VALU_DEP_1)
	v_fma_f64 v[49:50], v[53:54], v[49:50], v[51:52]
	v_ldexp_f64 v[49:50], v[49:50], v9
	s_wait_alu 0xfffd
	s_delay_alu instid0(VALU_DEP_1) | instskip(NEXT) | instid1(VALU_DEP_1)
	v_dual_cndmask_b32 v4, v50, v4 :: v_dual_cndmask_b32 v3, v49, v3
	v_mul_f64_e64 v[49:50], |v[41:42]|, v[3:4]
.LBB68_199:                             ;   in Loop: Header=BB68_151 Depth=2
	s_or_b32 exec_lo, exec_lo, s33
.LBB68_200:                             ;   in Loop: Header=BB68_151 Depth=2
	s_wait_alu 0xfffe
	s_and_not1_saveexec_b32 s5, s5
	s_cbranch_execz .LBB68_202
; %bb.201:                              ;   in Loop: Header=BB68_151 Depth=2
	v_dual_mov_b32 v3, v41 :: v_dual_and_b32 v4, 0x7fffffff, v42
	v_dual_mov_b32 v49, v43 :: v_dual_and_b32 v50, 0x7fffffff, v44
	s_delay_alu instid0(VALU_DEP_1) | instskip(SKIP_1) | instid1(VALU_DEP_2)
	v_div_scale_f64 v[51:52], null, v[49:50], v[49:50], v[3:4]
	v_div_scale_f64 v[3:4], vcc_lo, v[3:4], v[49:50], v[3:4]
	v_rcp_f64_e32 v[53:54], v[51:52]
	s_delay_alu instid0(TRANS32_DEP_1) | instskip(NEXT) | instid1(VALU_DEP_1)
	v_fma_f64 v[55:56], -v[51:52], v[53:54], 1.0
	v_fma_f64 v[53:54], v[53:54], v[55:56], v[53:54]
	s_delay_alu instid0(VALU_DEP_1) | instskip(NEXT) | instid1(VALU_DEP_1)
	v_fma_f64 v[55:56], -v[51:52], v[53:54], 1.0
	v_fma_f64 v[49:50], v[53:54], v[55:56], v[53:54]
	s_delay_alu instid0(VALU_DEP_1) | instskip(NEXT) | instid1(VALU_DEP_1)
	v_mul_f64_e32 v[53:54], v[3:4], v[49:50]
	v_fma_f64 v[3:4], -v[51:52], v[53:54], v[3:4]
	s_wait_alu 0xfffd
	s_delay_alu instid0(VALU_DEP_1) | instskip(NEXT) | instid1(VALU_DEP_1)
	v_div_fmas_f64 v[3:4], v[3:4], v[49:50], v[53:54]
	v_div_fixup_f64 v[3:4], v[3:4], |v[43:44]|, |v[41:42]|
	s_delay_alu instid0(VALU_DEP_1) | instskip(NEXT) | instid1(VALU_DEP_1)
	v_fma_f64 v[3:4], v[3:4], v[3:4], 1.0
	v_cmp_gt_f64_e32 vcc_lo, 0x10000000, v[3:4]
	s_wait_alu 0xfffd
	v_cndmask_b32_e64 v9, 0, 0x100, vcc_lo
	s_delay_alu instid0(VALU_DEP_1) | instskip(SKIP_1) | instid1(VALU_DEP_2)
	v_ldexp_f64 v[3:4], v[3:4], v9
	v_cndmask_b32_e64 v9, 0, 0xffffff80, vcc_lo
	v_rsq_f64_e32 v[49:50], v[3:4]
	v_cmp_class_f64_e64 vcc_lo, v[3:4], 0x260
	s_delay_alu instid0(TRANS32_DEP_1) | instskip(SKIP_1) | instid1(VALU_DEP_1)
	v_mul_f64_e32 v[51:52], v[3:4], v[49:50]
	v_mul_f64_e32 v[49:50], 0.5, v[49:50]
	v_fma_f64 v[53:54], -v[49:50], v[51:52], 0.5
	s_delay_alu instid0(VALU_DEP_1) | instskip(SKIP_1) | instid1(VALU_DEP_2)
	v_fma_f64 v[51:52], v[51:52], v[53:54], v[51:52]
	v_fma_f64 v[49:50], v[49:50], v[53:54], v[49:50]
	v_fma_f64 v[53:54], -v[51:52], v[51:52], v[3:4]
	s_delay_alu instid0(VALU_DEP_1) | instskip(NEXT) | instid1(VALU_DEP_1)
	v_fma_f64 v[51:52], v[53:54], v[49:50], v[51:52]
	v_fma_f64 v[53:54], -v[51:52], v[51:52], v[3:4]
	s_delay_alu instid0(VALU_DEP_1) | instskip(NEXT) | instid1(VALU_DEP_1)
	v_fma_f64 v[49:50], v[53:54], v[49:50], v[51:52]
	v_ldexp_f64 v[49:50], v[49:50], v9
	s_wait_alu 0xfffd
	s_delay_alu instid0(VALU_DEP_1) | instskip(NEXT) | instid1(VALU_DEP_1)
	v_dual_cndmask_b32 v4, v50, v4 :: v_dual_cndmask_b32 v3, v49, v3
	v_mul_f64_e64 v[49:50], |v[43:44]|, v[3:4]
.LBB68_202:                             ;   in Loop: Header=BB68_151 Depth=2
	s_wait_alu 0xfffe
	s_or_b32 exec_lo, exec_lo, s5
	v_cmp_gt_f64_e64 vcc_lo, |v[45:46]|, |v[1:2]|
	v_add_f64_e32 v[53:54], v[45:46], v[1:2]
	s_mov_b32 s33, exec_lo
	s_wait_alu 0xfffd
	v_dual_cndmask_b32 v52, v46, v2 :: v_dual_cndmask_b32 v51, v45, v1
	v_dual_cndmask_b32 v46, v2, v46 :: v_dual_cndmask_b32 v45, v1, v45
                                        ; implicit-def: $vgpr3_vgpr4
	s_delay_alu instid0(VALU_DEP_3)
	v_cmpx_ngt_f64_e32 0, v[53:54]
	s_xor_b32 s33, exec_lo, s33
	s_cbranch_execz .LBB68_208
; %bb.203:                              ;   in Loop: Header=BB68_151 Depth=2
	s_mov_b32 s5, exec_lo
                                        ; implicit-def: $vgpr3_vgpr4
	v_cmpx_nlt_f64_e32 0, v[53:54]
	s_wait_alu 0xfffe
	s_xor_b32 s5, exec_lo, s5
	s_cbranch_execz .LBB68_205
; %bb.204:                              ;   in Loop: Header=BB68_151 Depth=2
	v_mul_f64_e32 v[1:2], 0.5, v[49:50]
	v_mul_f64_e32 v[3:4], -0.5, v[49:50]
                                        ; implicit-def: $vgpr53_vgpr54
                                        ; implicit-def: $vgpr45_vgpr46
                                        ; implicit-def: $vgpr47_vgpr48
                                        ; implicit-def: $vgpr51_vgpr52
.LBB68_205:                             ;   in Loop: Header=BB68_151 Depth=2
	s_wait_alu 0xfffe
	s_and_not1_saveexec_b32 s39, s5
	s_cbranch_execz .LBB68_207
; %bb.206:                              ;   in Loop: Header=BB68_151 Depth=2
	v_add_f64_e32 v[1:2], v[53:54], v[49:50]
	s_delay_alu instid0(VALU_DEP_1) | instskip(NEXT) | instid1(VALU_DEP_1)
	v_mul_f64_e32 v[1:2], 0.5, v[1:2]
	v_div_scale_f64 v[3:4], null, v[1:2], v[1:2], v[45:46]
	v_div_scale_f64 v[53:54], null, v[1:2], v[1:2], v[47:48]
	v_div_scale_f64 v[67:68], vcc_lo, v[45:46], v[1:2], v[45:46]
	s_delay_alu instid0(VALU_DEP_3) | instskip(NEXT) | instid1(VALU_DEP_2)
	v_rcp_f64_e32 v[55:56], v[3:4]
	v_rcp_f64_e32 v[61:62], v[53:54]
	s_delay_alu instid0(TRANS32_DEP_2) | instskip(NEXT) | instid1(TRANS32_DEP_1)
	v_fma_f64 v[63:64], -v[3:4], v[55:56], 1.0
	v_fma_f64 v[65:66], -v[53:54], v[61:62], 1.0
	s_delay_alu instid0(VALU_DEP_2) | instskip(NEXT) | instid1(VALU_DEP_2)
	v_fma_f64 v[55:56], v[55:56], v[63:64], v[55:56]
	v_fma_f64 v[61:62], v[61:62], v[65:66], v[61:62]
	s_delay_alu instid0(VALU_DEP_2) | instskip(NEXT) | instid1(VALU_DEP_2)
	v_fma_f64 v[63:64], -v[3:4], v[55:56], 1.0
	v_fma_f64 v[65:66], -v[53:54], v[61:62], 1.0
	s_delay_alu instid0(VALU_DEP_2) | instskip(SKIP_1) | instid1(VALU_DEP_3)
	v_fma_f64 v[55:56], v[55:56], v[63:64], v[55:56]
	v_div_scale_f64 v[63:64], s5, v[47:48], v[1:2], v[47:48]
	v_fma_f64 v[61:62], v[61:62], v[65:66], v[61:62]
	s_delay_alu instid0(VALU_DEP_3) | instskip(NEXT) | instid1(VALU_DEP_2)
	v_mul_f64_e32 v[65:66], v[67:68], v[55:56]
	v_mul_f64_e32 v[69:70], v[63:64], v[61:62]
	s_delay_alu instid0(VALU_DEP_2) | instskip(NEXT) | instid1(VALU_DEP_2)
	v_fma_f64 v[3:4], -v[3:4], v[65:66], v[67:68]
	v_fma_f64 v[53:54], -v[53:54], v[69:70], v[63:64]
	s_wait_alu 0xfffd
	s_delay_alu instid0(VALU_DEP_2) | instskip(SKIP_2) | instid1(VALU_DEP_2)
	v_div_fmas_f64 v[3:4], v[3:4], v[55:56], v[65:66]
	s_mov_b32 vcc_lo, s5
	s_wait_alu 0xfffe
	v_div_fmas_f64 v[53:54], v[53:54], v[61:62], v[69:70]
	s_delay_alu instid0(VALU_DEP_2) | instskip(NEXT) | instid1(VALU_DEP_2)
	v_div_fixup_f64 v[3:4], v[3:4], v[1:2], v[45:46]
	v_div_fixup_f64 v[53:54], v[53:54], v[1:2], v[47:48]
	s_delay_alu instid0(VALU_DEP_1) | instskip(NEXT) | instid1(VALU_DEP_1)
	v_mul_f64_e32 v[45:46], v[47:48], v[53:54]
	v_fma_f64 v[3:4], v[51:52], v[3:4], -v[45:46]
.LBB68_207:                             ;   in Loop: Header=BB68_151 Depth=2
	s_wait_alu 0xfffe
	s_or_b32 exec_lo, exec_lo, s39
                                        ; implicit-def: $vgpr53_vgpr54
                                        ; implicit-def: $vgpr45_vgpr46
                                        ; implicit-def: $vgpr47_vgpr48
                                        ; implicit-def: $vgpr51_vgpr52
.LBB68_208:                             ;   in Loop: Header=BB68_151 Depth=2
	s_or_saveexec_b32 s33, s33
	v_mov_b32_e32 v9, 1
	s_xor_b32 exec_lo, exec_lo, s33
	s_cbranch_execz .LBB68_210
; %bb.209:                              ;   in Loop: Header=BB68_151 Depth=2
	v_add_f64_e64 v[1:2], v[53:54], -v[49:50]
	v_mov_b32_e32 v9, -1
	s_delay_alu instid0(VALU_DEP_2) | instskip(NEXT) | instid1(VALU_DEP_1)
	v_mul_f64_e32 v[1:2], 0.5, v[1:2]
	v_div_scale_f64 v[3:4], null, v[1:2], v[1:2], v[45:46]
	v_div_scale_f64 v[53:54], null, v[1:2], v[1:2], v[47:48]
	v_div_scale_f64 v[67:68], vcc_lo, v[45:46], v[1:2], v[45:46]
	s_delay_alu instid0(VALU_DEP_3) | instskip(NEXT) | instid1(VALU_DEP_2)
	v_rcp_f64_e32 v[55:56], v[3:4]
	v_rcp_f64_e32 v[61:62], v[53:54]
	s_delay_alu instid0(TRANS32_DEP_2) | instskip(NEXT) | instid1(TRANS32_DEP_1)
	v_fma_f64 v[63:64], -v[3:4], v[55:56], 1.0
	v_fma_f64 v[65:66], -v[53:54], v[61:62], 1.0
	s_delay_alu instid0(VALU_DEP_2) | instskip(NEXT) | instid1(VALU_DEP_2)
	v_fma_f64 v[55:56], v[55:56], v[63:64], v[55:56]
	v_fma_f64 v[61:62], v[61:62], v[65:66], v[61:62]
	s_delay_alu instid0(VALU_DEP_2) | instskip(NEXT) | instid1(VALU_DEP_2)
	v_fma_f64 v[63:64], -v[3:4], v[55:56], 1.0
	v_fma_f64 v[65:66], -v[53:54], v[61:62], 1.0
	s_delay_alu instid0(VALU_DEP_2) | instskip(SKIP_1) | instid1(VALU_DEP_3)
	v_fma_f64 v[55:56], v[55:56], v[63:64], v[55:56]
	v_div_scale_f64 v[63:64], s5, v[47:48], v[1:2], v[47:48]
	v_fma_f64 v[61:62], v[61:62], v[65:66], v[61:62]
	s_delay_alu instid0(VALU_DEP_3) | instskip(NEXT) | instid1(VALU_DEP_2)
	v_mul_f64_e32 v[65:66], v[67:68], v[55:56]
	v_mul_f64_e32 v[69:70], v[63:64], v[61:62]
	s_delay_alu instid0(VALU_DEP_2) | instskip(NEXT) | instid1(VALU_DEP_2)
	v_fma_f64 v[3:4], -v[3:4], v[65:66], v[67:68]
	v_fma_f64 v[53:54], -v[53:54], v[69:70], v[63:64]
	s_wait_alu 0xfffd
	s_delay_alu instid0(VALU_DEP_2) | instskip(SKIP_2) | instid1(VALU_DEP_2)
	v_div_fmas_f64 v[3:4], v[3:4], v[55:56], v[65:66]
	s_mov_b32 vcc_lo, s5
	s_wait_alu 0xfffe
	v_div_fmas_f64 v[53:54], v[53:54], v[61:62], v[69:70]
	s_delay_alu instid0(VALU_DEP_2) | instskip(NEXT) | instid1(VALU_DEP_2)
	v_div_fixup_f64 v[3:4], v[3:4], v[1:2], v[45:46]
	v_div_fixup_f64 v[53:54], v[53:54], v[1:2], v[47:48]
	s_delay_alu instid0(VALU_DEP_1) | instskip(NEXT) | instid1(VALU_DEP_1)
	v_mul_f64_e32 v[45:46], v[47:48], v[53:54]
	v_fma_f64 v[3:4], v[51:52], v[3:4], -v[45:46]
.LBB68_210:                             ;   in Loop: Header=BB68_151 Depth=2
	s_or_b32 exec_lo, exec_lo, s33
	s_delay_alu instid0(SALU_CYCLE_1)
	s_mov_b32 s5, exec_lo
                                        ; implicit-def: $vgpr45_vgpr46
	v_cmpx_le_f64_e32 0, v[43:44]
	s_wait_alu 0xfffe
	s_xor_b32 s5, exec_lo, s5
	s_cbranch_execz .LBB68_212
; %bb.211:                              ;   in Loop: Header=BB68_151 Depth=2
	v_add_f64_e32 v[45:46], v[43:44], v[49:50]
                                        ; implicit-def: $vgpr49_vgpr50
                                        ; implicit-def: $vgpr43_vgpr44
.LBB68_212:                             ;   in Loop: Header=BB68_151 Depth=2
	s_wait_alu 0xfffe
	s_or_saveexec_b32 s5, s5
	v_mov_b32_e32 v51, 1
	s_wait_alu 0xfffe
	s_xor_b32 exec_lo, exec_lo, s5
	s_cbranch_execz .LBB68_214
; %bb.213:                              ;   in Loop: Header=BB68_151 Depth=2
	v_add_f64_e64 v[45:46], v[43:44], -v[49:50]
	v_mov_b32_e32 v51, -1
.LBB68_214:                             ;   in Loop: Header=BB68_151 Depth=2
	s_or_b32 exec_lo, exec_lo, s5
	s_delay_alu instid0(VALU_DEP_2) | instskip(SKIP_1) | instid1(SALU_CYCLE_1)
	v_cmp_ngt_f64_e64 s5, |v[45:46]|, |v[41:42]|
                                        ; implicit-def: $vgpr47_vgpr48
                                        ; implicit-def: $vgpr43_vgpr44
	s_and_saveexec_b32 s33, s5
	s_xor_b32 s5, exec_lo, s33
	s_cbranch_execz .LBB68_218
; %bb.215:                              ;   in Loop: Header=BB68_151 Depth=2
	v_mov_b32_e32 v43, 0
	v_dual_mov_b32 v44, 0 :: v_dual_mov_b32 v47, 0
	v_mov_b32_e32 v48, 0x3ff00000
	s_mov_b32 s33, exec_lo
	v_cmpx_neq_f64_e32 0, v[41:42]
	s_cbranch_execz .LBB68_217
; %bb.216:                              ;   in Loop: Header=BB68_151 Depth=2
	v_div_scale_f64 v[43:44], null, v[41:42], v[41:42], -v[45:46]
	v_div_scale_f64 v[52:53], vcc_lo, -v[45:46], v[41:42], -v[45:46]
	s_delay_alu instid0(VALU_DEP_2) | instskip(NEXT) | instid1(TRANS32_DEP_1)
	v_rcp_f64_e32 v[47:48], v[43:44]
	v_fma_f64 v[49:50], -v[43:44], v[47:48], 1.0
	s_delay_alu instid0(VALU_DEP_1) | instskip(NEXT) | instid1(VALU_DEP_1)
	v_fma_f64 v[47:48], v[47:48], v[49:50], v[47:48]
	v_fma_f64 v[49:50], -v[43:44], v[47:48], 1.0
	s_delay_alu instid0(VALU_DEP_1) | instskip(NEXT) | instid1(VALU_DEP_1)
	v_fma_f64 v[47:48], v[47:48], v[49:50], v[47:48]
	v_mul_f64_e32 v[49:50], v[52:53], v[47:48]
	s_delay_alu instid0(VALU_DEP_1) | instskip(SKIP_1) | instid1(VALU_DEP_1)
	v_fma_f64 v[43:44], -v[43:44], v[49:50], v[52:53]
	s_wait_alu 0xfffd
	v_div_fmas_f64 v[43:44], v[43:44], v[47:48], v[49:50]
	s_delay_alu instid0(VALU_DEP_1) | instskip(NEXT) | instid1(VALU_DEP_1)
	v_div_fixup_f64 v[41:42], v[43:44], v[41:42], -v[45:46]
	v_fma_f64 v[43:44], v[41:42], v[41:42], 1.0
	s_delay_alu instid0(VALU_DEP_1) | instskip(SKIP_2) | instid1(VALU_DEP_1)
	v_cmp_gt_f64_e32 vcc_lo, 0x10000000, v[43:44]
	s_wait_alu 0xfffd
	v_cndmask_b32_e64 v45, 0, 0x100, vcc_lo
	v_ldexp_f64 v[43:44], v[43:44], v45
	s_delay_alu instid0(VALU_DEP_1) | instskip(NEXT) | instid1(TRANS32_DEP_1)
	v_rsq_f64_e32 v[45:46], v[43:44]
	v_mul_f64_e32 v[47:48], v[43:44], v[45:46]
	v_mul_f64_e32 v[45:46], 0.5, v[45:46]
	s_delay_alu instid0(VALU_DEP_1) | instskip(NEXT) | instid1(VALU_DEP_1)
	v_fma_f64 v[49:50], -v[45:46], v[47:48], 0.5
	v_fma_f64 v[47:48], v[47:48], v[49:50], v[47:48]
	v_fma_f64 v[45:46], v[45:46], v[49:50], v[45:46]
	s_delay_alu instid0(VALU_DEP_2) | instskip(NEXT) | instid1(VALU_DEP_1)
	v_fma_f64 v[49:50], -v[47:48], v[47:48], v[43:44]
	v_fma_f64 v[47:48], v[49:50], v[45:46], v[47:48]
	s_delay_alu instid0(VALU_DEP_1) | instskip(NEXT) | instid1(VALU_DEP_1)
	v_fma_f64 v[49:50], -v[47:48], v[47:48], v[43:44]
	v_fma_f64 v[45:46], v[49:50], v[45:46], v[47:48]
	v_cndmask_b32_e64 v47, 0, 0xffffff80, vcc_lo
	v_cmp_class_f64_e64 vcc_lo, v[43:44], 0x260
	s_delay_alu instid0(VALU_DEP_2) | instskip(SKIP_1) | instid1(VALU_DEP_1)
	v_ldexp_f64 v[45:46], v[45:46], v47
	s_wait_alu 0xfffd
	v_dual_cndmask_b32 v44, v46, v44 :: v_dual_cndmask_b32 v43, v45, v43
	s_delay_alu instid0(VALU_DEP_1) | instskip(NEXT) | instid1(VALU_DEP_1)
	v_div_scale_f64 v[45:46], null, v[43:44], v[43:44], 1.0
	v_rcp_f64_e32 v[47:48], v[45:46]
	s_delay_alu instid0(TRANS32_DEP_1) | instskip(NEXT) | instid1(VALU_DEP_1)
	v_fma_f64 v[49:50], -v[45:46], v[47:48], 1.0
	v_fma_f64 v[47:48], v[47:48], v[49:50], v[47:48]
	s_delay_alu instid0(VALU_DEP_1) | instskip(NEXT) | instid1(VALU_DEP_1)
	v_fma_f64 v[49:50], -v[45:46], v[47:48], 1.0
	v_fma_f64 v[47:48], v[47:48], v[49:50], v[47:48]
	v_div_scale_f64 v[49:50], vcc_lo, 1.0, v[43:44], 1.0
	s_delay_alu instid0(VALU_DEP_1) | instskip(NEXT) | instid1(VALU_DEP_1)
	v_mul_f64_e32 v[52:53], v[49:50], v[47:48]
	v_fma_f64 v[45:46], -v[45:46], v[52:53], v[49:50]
	s_wait_alu 0xfffd
	s_delay_alu instid0(VALU_DEP_1) | instskip(NEXT) | instid1(VALU_DEP_1)
	v_div_fmas_f64 v[45:46], v[45:46], v[47:48], v[52:53]
	v_div_fixup_f64 v[47:48], v[45:46], v[43:44], 1.0
	s_delay_alu instid0(VALU_DEP_1)
	v_mul_f64_e32 v[43:44], v[41:42], v[47:48]
.LBB68_217:                             ;   in Loop: Header=BB68_151 Depth=2
	s_or_b32 exec_lo, exec_lo, s33
                                        ; implicit-def: $vgpr45_vgpr46
                                        ; implicit-def: $vgpr41_vgpr42
.LBB68_218:                             ;   in Loop: Header=BB68_151 Depth=2
	s_wait_alu 0xfffe
	s_and_not1_saveexec_b32 s5, s5
	s_cbranch_execz .LBB68_220
; %bb.219:                              ;   in Loop: Header=BB68_151 Depth=2
	v_div_scale_f64 v[43:44], null, v[45:46], v[45:46], -v[41:42]
	v_div_scale_f64 v[52:53], vcc_lo, -v[41:42], v[45:46], -v[41:42]
	s_delay_alu instid0(VALU_DEP_2) | instskip(NEXT) | instid1(TRANS32_DEP_1)
	v_rcp_f64_e32 v[47:48], v[43:44]
	v_fma_f64 v[49:50], -v[43:44], v[47:48], 1.0
	s_delay_alu instid0(VALU_DEP_1) | instskip(NEXT) | instid1(VALU_DEP_1)
	v_fma_f64 v[47:48], v[47:48], v[49:50], v[47:48]
	v_fma_f64 v[49:50], -v[43:44], v[47:48], 1.0
	s_delay_alu instid0(VALU_DEP_1) | instskip(NEXT) | instid1(VALU_DEP_1)
	v_fma_f64 v[47:48], v[47:48], v[49:50], v[47:48]
	v_mul_f64_e32 v[49:50], v[52:53], v[47:48]
	s_delay_alu instid0(VALU_DEP_1) | instskip(SKIP_1) | instid1(VALU_DEP_1)
	v_fma_f64 v[43:44], -v[43:44], v[49:50], v[52:53]
	s_wait_alu 0xfffd
	v_div_fmas_f64 v[43:44], v[43:44], v[47:48], v[49:50]
	s_delay_alu instid0(VALU_DEP_1) | instskip(NEXT) | instid1(VALU_DEP_1)
	v_div_fixup_f64 v[41:42], v[43:44], v[45:46], -v[41:42]
	v_fma_f64 v[43:44], v[41:42], v[41:42], 1.0
	s_delay_alu instid0(VALU_DEP_1) | instskip(SKIP_2) | instid1(VALU_DEP_1)
	v_cmp_gt_f64_e32 vcc_lo, 0x10000000, v[43:44]
	s_wait_alu 0xfffd
	v_cndmask_b32_e64 v45, 0, 0x100, vcc_lo
	v_ldexp_f64 v[43:44], v[43:44], v45
	s_delay_alu instid0(VALU_DEP_1) | instskip(NEXT) | instid1(TRANS32_DEP_1)
	v_rsq_f64_e32 v[45:46], v[43:44]
	v_mul_f64_e32 v[47:48], v[43:44], v[45:46]
	v_mul_f64_e32 v[45:46], 0.5, v[45:46]
	s_delay_alu instid0(VALU_DEP_1) | instskip(NEXT) | instid1(VALU_DEP_1)
	v_fma_f64 v[49:50], -v[45:46], v[47:48], 0.5
	v_fma_f64 v[47:48], v[47:48], v[49:50], v[47:48]
	v_fma_f64 v[45:46], v[45:46], v[49:50], v[45:46]
	s_delay_alu instid0(VALU_DEP_2) | instskip(NEXT) | instid1(VALU_DEP_1)
	v_fma_f64 v[49:50], -v[47:48], v[47:48], v[43:44]
	v_fma_f64 v[47:48], v[49:50], v[45:46], v[47:48]
	s_delay_alu instid0(VALU_DEP_1) | instskip(NEXT) | instid1(VALU_DEP_1)
	v_fma_f64 v[49:50], -v[47:48], v[47:48], v[43:44]
	v_fma_f64 v[45:46], v[49:50], v[45:46], v[47:48]
	v_cndmask_b32_e64 v47, 0, 0xffffff80, vcc_lo
	v_cmp_class_f64_e64 vcc_lo, v[43:44], 0x260
	s_delay_alu instid0(VALU_DEP_2) | instskip(SKIP_1) | instid1(VALU_DEP_1)
	v_ldexp_f64 v[45:46], v[45:46], v47
	s_wait_alu 0xfffd
	v_dual_cndmask_b32 v44, v46, v44 :: v_dual_cndmask_b32 v43, v45, v43
	s_delay_alu instid0(VALU_DEP_1) | instskip(NEXT) | instid1(VALU_DEP_1)
	v_div_scale_f64 v[45:46], null, v[43:44], v[43:44], 1.0
	v_rcp_f64_e32 v[47:48], v[45:46]
	s_delay_alu instid0(TRANS32_DEP_1) | instskip(NEXT) | instid1(VALU_DEP_1)
	v_fma_f64 v[49:50], -v[45:46], v[47:48], 1.0
	v_fma_f64 v[47:48], v[47:48], v[49:50], v[47:48]
	s_delay_alu instid0(VALU_DEP_1) | instskip(NEXT) | instid1(VALU_DEP_1)
	v_fma_f64 v[49:50], -v[45:46], v[47:48], 1.0
	v_fma_f64 v[47:48], v[47:48], v[49:50], v[47:48]
	v_div_scale_f64 v[49:50], vcc_lo, 1.0, v[43:44], 1.0
	s_delay_alu instid0(VALU_DEP_1) | instskip(NEXT) | instid1(VALU_DEP_1)
	v_mul_f64_e32 v[52:53], v[49:50], v[47:48]
	v_fma_f64 v[45:46], -v[45:46], v[52:53], v[49:50]
	s_wait_alu 0xfffd
	s_delay_alu instid0(VALU_DEP_1) | instskip(NEXT) | instid1(VALU_DEP_1)
	v_div_fmas_f64 v[45:46], v[45:46], v[47:48], v[52:53]
	v_div_fixup_f64 v[43:44], v[45:46], v[43:44], 1.0
	s_delay_alu instid0(VALU_DEP_1)
	v_mul_f64_e32 v[47:48], v[41:42], v[43:44]
.LBB68_220:                             ;   in Loop: Header=BB68_151 Depth=2
	s_wait_alu 0xfffe
	s_or_b32 exec_lo, exec_lo, s5
	v_cmp_eq_u32_e32 vcc_lo, v9, v51
	s_delay_alu instid0(VALU_DEP_2)
	v_xor_b32_e32 v9, 0x80000000, v44
	v_add_co_u32 v37, s5, s50, v37
	s_wait_alu 0xf1ff
	v_add_co_ci_u32_e64 v38, null, s51, v38, s5
	s_wait_alu 0xfffd
	v_dual_cndmask_b32 v42, v44, v48 :: v_dual_cndmask_b32 v41, v43, v47
	v_dual_cndmask_b32 v44, v48, v9 :: v_dual_cndmask_b32 v43, v47, v43
	v_add_co_u32 v45, vcc_lo, v37, s56
	v_dual_mov_b32 v9, v8 :: v_dual_add_nc_u32 v34, 2, v34
	s_wait_alu 0xfffd
	v_add_co_ci_u32_e64 v46, null, s57, v38, vcc_lo
	s_clause 0x1
	global_store_b64 v[37:38], v[43:44], off
	global_store_b64 v[45:46], v[41:42], off offset:-8
	global_store_b128 v[35:36], v[1:4], off
	global_store_b64 v[39:40], v[8:9], off
	ds_store_b32 v8, v34 offset:16
	s_or_b32 exec_lo, exec_lo, s31
                                        ; implicit-def: $vgpr2
.LBB68_221:                             ;   in Loop: Header=BB68_151 Depth=2
	s_wait_alu 0xfffe
	s_and_not1_saveexec_b32 s5, s10
.LBB68_222:                             ;   in Loop: Header=BB68_151 Depth=2
	ds_store_b32 v8, v2 offset:16
.LBB68_223:                             ;   in Loop: Header=BB68_151 Depth=2
	s_wait_alu 0xfffe
	s_or_b32 exec_lo, exec_lo, s5
.LBB68_224:                             ;   in Loop: Header=BB68_151 Depth=2
	s_wait_alu 0xfffe
	s_or_b32 exec_lo, exec_lo, s7
	s_wait_storecnt 0x0
	s_wait_loadcnt_dscnt 0x0
	s_barrier_signal -1
	s_barrier_wait -1
	global_inv scope:SCOPE_SE
	ds_load_b64 v[1:2], v8 offset:16
	s_wait_dscnt 0x0
	v_readfirstlane_b32 s5, v2
	s_wait_alu 0xf1ff
	s_delay_alu instid0(VALU_DEP_1)
	v_cmp_eq_u32_e32 vcc_lo, s5, v1
	v_mov_b32_e32 v34, s5
	s_cbranch_vccnz .LBB68_150
; %bb.225:                              ;   in Loop: Header=BB68_151 Depth=2
	s_and_saveexec_b32 s7, s2
	s_cbranch_execz .LBB68_149
; %bb.226:                              ;   in Loop: Header=BB68_151 Depth=2
	ds_load_b32 v1, v8 offset:28
	v_mov_b32_e32 v38, v6
	s_mov_b32 s31, 0
	s_wait_dscnt 0x0
	v_readfirstlane_b32 s10, v1
	v_ashrrev_i32_e32 v2, 31, v1
	s_sub_co_i32 s80, s5, s10
	s_mul_i32 s82, s10, s11
	s_wait_alu 0xfffe
	s_ashr_i32 s81, s80, 31
	s_ashr_i32 s83, s82, 31
	s_wait_alu 0xfffe
	s_mul_u64 s[84:85], s[80:81], s[52:53]
	s_lshl_b64 s[86:87], s[82:83], 4
	s_wait_alu 0xfffe
	s_lshl_b64 s[84:85], s[84:85], 4
	s_cmp_gt_i32 s80, 0
	v_lshlrev_b64_e32 v[1:2], 3, v[1:2]
	s_cselect_b32 s10, -1, 0
	s_add_co_i32 s76, s80, -1
	s_add_nc_u64 s[82:83], s[48:49], s[86:87]
	s_lshl_b64 s[88:89], s[76:77], 3
	s_mul_u64 s[90:91], s[68:69], s[76:77]
	s_wait_alu 0xfffe
	v_add_co_u32 v1, vcc_lo, v1, s88
	s_add_nc_u64 s[86:87], s[90:91], s[86:87]
	s_wait_alu 0xfffd
	v_add_co_ci_u32_e64 v2, null, s89, v2, vcc_lo
	s_wait_alu 0xfffe
	v_add_co_u32 v34, vcc_lo, v7, s86
	s_wait_alu 0xfffd
	v_add_co_ci_u32_e64 v35, null, s87, v57, vcc_lo
	v_add_co_u32 v36, vcc_lo, s50, v1
	s_wait_alu 0xfffd
	v_add_co_ci_u32_e64 v37, null, s51, v2, vcc_lo
	s_add_nc_u64 s[84:85], s[82:83], s[84:85]
	s_branch .LBB68_228
.LBB68_227:                             ;   in Loop: Header=BB68_228 Depth=3
	v_add_nc_u32_e32 v38, s38, v38
	v_add_co_u32 v34, s5, v34, s70
	s_wait_alu 0xf1ff
	v_add_co_ci_u32_e64 v35, null, s71, v35, s5
	s_delay_alu instid0(VALU_DEP_3)
	v_cmp_le_i32_e32 vcc_lo, s6, v38
	s_wait_loadcnt 0x0
	global_store_b128 v[39:40], v[1:4], off
	s_or_b32 s31, vcc_lo, s31
	s_wait_alu 0xfffe
	s_and_not1_b32 exec_lo, exec_lo, s31
	s_cbranch_execz .LBB68_149
.LBB68_228:                             ;   Parent Loop BB68_7 Depth=1
                                        ;     Parent Loop BB68_151 Depth=2
                                        ; =>    This Loop Header: Depth=3
                                        ;         Child Loop BB68_229 Depth 4
	v_ashrrev_i32_e32 v39, 31, v38
	v_dual_mov_b32 v42, v35 :: v_dual_mov_b32 v41, v34
	v_dual_mov_b32 v44, v37 :: v_dual_mov_b32 v43, v36
	s_delay_alu instid0(VALU_DEP_3) | instskip(SKIP_2) | instid1(VALU_DEP_1)
	v_lshlrev_b64_e32 v[39:40], 4, v[38:39]
	s_mov_b32 s76, s80
	s_wait_alu 0xfffe
	v_add_co_u32 v1, vcc_lo, s84, v39
	s_wait_alu 0xfffd
	s_delay_alu instid0(VALU_DEP_2)
	v_add_co_ci_u32_e64 v2, null, s85, v40, vcc_lo
	v_add_co_u32 v39, vcc_lo, s82, v39
	s_wait_alu 0xfffd
	v_add_co_ci_u32_e64 v40, null, s83, v40, vcc_lo
	global_load_b128 v[1:4], v[1:2], off
	s_and_not1_b32 vcc_lo, exec_lo, s10
	s_wait_alu 0xfffe
	s_cbranch_vccnz .LBB68_227
.LBB68_229:                             ;   Parent Loop BB68_7 Depth=1
                                        ;     Parent Loop BB68_151 Depth=2
                                        ;       Parent Loop BB68_228 Depth=3
                                        ; =>      This Inner Loop Header: Depth=4
	v_add_co_u32 v49, vcc_lo, v43, s66
	s_wait_alu 0xfffd
	v_add_co_ci_u32_e64 v50, null, s67, v44, vcc_lo
	s_mul_u64 s[86:87], s[76:77], s[52:53]
	s_add_co_i32 s33, s76, -1
	global_load_b128 v[45:48], v[41:42], off offset:-8
	s_clause 0x1
	global_load_b64 v[49:50], v[49:50], off
	global_load_b64 v[51:52], v[43:44], off
	v_add_co_u32 v43, vcc_lo, v43, -8
	s_wait_alu 0xfffe
	s_lshl_b64 s[86:87], s[86:87], 4
	s_wait_alu 0xfffd
	v_add_co_ci_u32_e64 v44, null, -1, v44, vcc_lo
	v_add_co_u32 v41, vcc_lo, v41, s72
	s_wait_alu 0xfffd
	v_add_co_ci_u32_e64 v42, null, s73, v42, vcc_lo
	s_cmp_eq_u32 s33, 0
	s_mov_b32 s76, s33
	s_wait_loadcnt 0x1
	v_mul_f64_e32 v[55:56], v[49:50], v[47:48]
	s_wait_loadcnt 0x0
	v_mul_f64_e32 v[53:54], v[51:52], v[45:46]
	v_mul_f64_e32 v[45:46], v[49:50], v[45:46]
	;; [unrolled: 1-line block ×3, first 2 shown]
	s_delay_alu instid0(VALU_DEP_4) | instskip(NEXT) | instid1(VALU_DEP_3)
	v_fma_f64 v[47:48], v[3:4], v[51:52], -v[55:56]
	v_fma_f64 v[45:46], v[1:2], v[51:52], -v[45:46]
	v_fma_f64 v[1:2], v[1:2], v[49:50], v[53:54]
	s_delay_alu instid0(VALU_DEP_4)
	v_fma_f64 v[3:4], v[3:4], v[49:50], v[61:62]
	s_wait_alu 0xfffe
	v_add_co_u32 v49, s5, v39, s86
	s_wait_alu 0xf1ff
	v_add_co_ci_u32_e64 v50, null, s87, v40, s5
	global_store_b128 v[49:50], v[45:48], off
	s_cbranch_scc0 .LBB68_229
	s_branch .LBB68_227
.LBB68_230:                             ;   in Loop: Header=BB68_151 Depth=2
	s_wait_alu 0xfffe
	s_or_b32 exec_lo, exec_lo, s31
                                        ; implicit-def: $vgpr2
	s_and_not1_saveexec_b32 s5, s10
	s_cbranch_execnz .LBB68_222
	s_branch .LBB68_223
.LBB68_231:
	s_mov_b32 s3, exec_lo
	v_cmpx_gt_i32_e64 s40, v6
	s_cbranch_execz .LBB68_237
; %bb.232:
	v_ashrrev_i32_e32 v7, 31, v6
	s_lshl_b64 s[26:27], s[42:43], 3
	v_mov_b32_e32 v3, 0
	s_wait_alu 0xfffe
	s_add_nc_u64 s[20:21], s[20:21], s[26:27]
	s_lshl_b64 s[24:25], s[36:37], 2
	v_lshlrev_b64_e32 v[1:2], 3, v[6:7]
	s_ashr_i32 s39, s38, 31
	s_wait_alu 0xfffe
	s_add_nc_u64 s[14:15], s[14:15], s[24:25]
	s_mov_b32 s5, 0
	s_delay_alu instid0(VALU_DEP_1)
	v_add_co_u32 v1, vcc_lo, s20, v1
	s_wait_alu 0xfffd
	v_add_co_ci_u32_e64 v2, null, s21, v2, vcc_lo
	s_lshl_b64 s[20:21], s[38:39], 3
	s_branch .LBB68_234
.LBB68_233:                             ;   in Loop: Header=BB68_234 Depth=1
	s_wait_alu 0xfffe
	s_or_b32 exec_lo, exec_lo, s2
	v_add_nc_u32_e32 v6, s38, v6
	v_add_co_u32 v1, s2, v1, s20
	s_wait_alu 0xf1ff
	v_add_co_ci_u32_e64 v2, null, s21, v2, s2
	s_delay_alu instid0(VALU_DEP_3)
	v_cmp_le_i32_e32 vcc_lo, s40, v6
	s_or_b32 s5, vcc_lo, s5
	s_wait_alu 0xfffe
	s_and_not1_b32 exec_lo, exec_lo, s5
	s_cbranch_execz .LBB68_237
.LBB68_234:                             ; =>This Inner Loop Header: Depth=1
	global_load_b64 v[7:8], v[1:2], off
	s_mov_b32 s2, exec_lo
	s_wait_loadcnt 0x0
	v_cmpx_neq_f64_e32 0, v[7:8]
	s_cbranch_execz .LBB68_233
; %bb.235:                              ;   in Loop: Header=BB68_234 Depth=1
	s_mov_b32 s7, exec_lo
	s_wait_alu 0xfffe
	v_mbcnt_lo_u32_b32 v4, s7, 0
	s_delay_alu instid0(VALU_DEP_1)
	v_cmp_eq_u32_e32 vcc_lo, 0, v4
	s_and_b32 s10, exec_lo, vcc_lo
	s_wait_alu 0xfffe
	s_mov_b32 exec_lo, s10
	s_cbranch_execz .LBB68_233
; %bb.236:                              ;   in Loop: Header=BB68_234 Depth=1
	s_bcnt1_i32_b32 s7, s7
	s_wait_alu 0xfffe
	v_mov_b32_e32 v4, s7
	global_atomic_add_u32 v3, v4, s[14:15] scope:SCOPE_DEV
	s_branch .LBB68_233
.LBB68_237:
	s_wait_alu 0xfffe
	s_or_b32 exec_lo, exec_lo, s3
	s_cmp_lt_i32 s6, 2
	s_cbranch_scc1 .LBB68_250
; %bb.238:
	s_load_b64 s[0:1], s[0:1], 0x4
	v_bfe_u32 v1, v0, 10, 10
	v_bfe_u32 v0, v0, 20, 10
	s_lshl_b64 s[2:3], s[22:23], 4
	v_mov_b32_e32 v7, 0
	s_wait_kmcnt 0x0
	s_lshr_b32 s0, s0, 16
	v_mul_u32_u24_e32 v1, s1, v1
	s_wait_alu 0xfffe
	s_mul_i32 s0, s0, s1
	s_wait_alu 0xfffe
	v_mul_lo_u32 v2, s0, v5
	s_lshl_b64 s[0:1], s[12:13], 4
	s_add_nc_u64 s[12:13], s[16:17], s[34:35]
	s_wait_alu 0xfffe
	s_add_nc_u64 s[2:3], s[0:1], s[2:3]
	s_add_nc_u64 s[0:1], s[12:13], 8
	s_wait_alu 0xfffe
	s_add_nc_u64 s[2:3], s[8:9], s[2:3]
	s_mov_b32 s8, 1
	v_add3_u32 v0, v2, v1, v0
	s_delay_alu instid0(VALU_DEP_1)
	v_lshl_add_u32 v6, v0, 4, 48
	s_branch .LBB68_240
.LBB68_239:                             ;   in Loop: Header=BB68_240 Depth=1
	s_add_co_i32 s8, s8, 1
	s_add_nc_u64 s[0:1], s[0:1], 8
	s_wait_alu 0xfffe
	s_cmp_lg_u32 s8, s6
	s_wait_storecnt 0x0
	s_wait_loadcnt_dscnt 0x0
	s_barrier_signal -1
	s_barrier_wait -1
	global_inv scope:SCOPE_SE
	s_cbranch_scc0 .LBB68_250
.LBB68_240:                             ; =>This Loop Header: Depth=1
                                        ;     Child Loop BB68_243 Depth 2
                                        ;     Child Loop BB68_249 Depth 2
	s_and_saveexec_b32 s5, s4
	s_cbranch_execz .LBB68_247
; %bb.241:                              ;   in Loop: Header=BB68_240 Depth=1
	s_ashr_i32 s9, s8, 31
	s_add_co_i32 s7, s8, -1
	s_wait_alu 0xfffe
	s_lshl_b64 s[12:13], s[8:9], 3
	v_dual_mov_b32 v4, s7 :: v_dual_mov_b32 v5, s7
	s_add_nc_u64 s[12:13], s[18:19], s[12:13]
	s_mov_b64 s[16:17], s[0:1]
	global_load_b64 v[0:1], v7, s[12:13] offset:-8
	s_mov_b32 s14, s7
	s_mov_b32 s9, s8
	s_wait_loadcnt 0x0
	v_dual_mov_b32 v3, v1 :: v_dual_mov_b32 v2, v0
	ds_store_2addr_b64 v7, v[0:1], v[4:5] offset1:2
	s_branch .LBB68_243
.LBB68_242:                             ;   in Loop: Header=BB68_243 Depth=2
	s_wait_alu 0xfffe
	s_add_co_i32 s9, s9, 1
	s_add_nc_u64 s[16:17], s[16:17], 8
	s_wait_alu 0xfffe
	s_cmp_eq_u32 s6, s9
	s_cbranch_scc1 .LBB68_245
.LBB68_243:                             ;   Parent Loop BB68_240 Depth=1
                                        ; =>  This Inner Loop Header: Depth=2
	global_load_b64 v[4:5], v7, s[16:17]
	s_wait_loadcnt 0x0
	v_cmp_nlt_f64_e32 vcc_lo, v[4:5], v[2:3]
	s_cbranch_vccnz .LBB68_242
; %bb.244:                              ;   in Loop: Header=BB68_243 Depth=2
	v_mov_b32_e32 v2, v4
	s_wait_alu 0xfffe
	v_dual_mov_b32 v8, s9 :: v_dual_mov_b32 v3, v5
	s_mov_b32 s14, s9
	ds_store_b32 v7, v8 offset:20
	ds_store_b64 v7, v[4:5]
	s_branch .LBB68_242
.LBB68_245:                             ;   in Loop: Header=BB68_240 Depth=1
	s_cmp_lg_u32 s14, s7
	s_cbranch_scc0 .LBB68_247
; %bb.246:                              ;   in Loop: Header=BB68_240 Depth=1
	s_ashr_i32 s15, s14, 31
	s_delay_alu instid0(SALU_CYCLE_1) | instskip(NEXT) | instid1(SALU_CYCLE_1)
	s_lshl_b64 s[14:15], s[14:15], 3
	s_add_nc_u64 s[14:15], s[18:19], s[14:15]
	s_clause 0x1
	global_store_b64 v7, v[0:1], s[14:15]
	global_store_b64 v7, v[2:3], s[12:13] offset:-8
.LBB68_247:                             ;   in Loop: Header=BB68_240 Depth=1
	s_wait_alu 0xfffe
	s_or_b32 exec_lo, exec_lo, s5
	s_wait_storecnt 0x0
	s_wait_loadcnt_dscnt 0x0
	s_barrier_signal -1
	s_barrier_wait -1
	global_inv scope:SCOPE_SE
	ds_load_b64 v[0:1], v7 offset:16
	s_wait_dscnt 0x0
	v_readfirstlane_b32 s5, v0
	v_readfirstlane_b32 s7, v1
	s_cmp_eq_u32 s7, s5
	s_cbranch_scc1 .LBB68_239
; %bb.248:                              ;   in Loop: Header=BB68_240 Depth=1
	s_mul_i32 s12, s7, s11
	s_mul_i32 s14, s5, s11
	s_ashr_i32 s13, s12, 31
	s_ashr_i32 s15, s14, 31
	s_lshl_b64 s[12:13], s[12:13], 4
	s_lshl_b64 s[14:15], s[14:15], 4
	s_add_nc_u64 s[12:13], s[2:3], s[12:13]
	s_add_nc_u64 s[14:15], s[2:3], s[14:15]
	s_mov_b32 s5, s6
.LBB68_249:                             ;   Parent Loop BB68_240 Depth=1
                                        ; =>  This Inner Loop Header: Depth=2
	s_clause 0x1
	global_load_b128 v[0:3], v7, s[12:13]
	global_load_b128 v[8:11], v7, s[14:15]
	s_wait_alu 0xfffe
	s_add_co_i32 s5, s5, -1
	s_wait_loadcnt 0x1
	global_store_b128 v7, v[0:3], s[14:15]
	s_wait_loadcnt 0x0
	global_store_b128 v7, v[8:11], s[12:13]
	s_wait_alu 0xfffe
	s_cmp_lg_u32 s5, 0
	s_add_nc_u64 s[12:13], s[12:13], 16
	s_add_nc_u64 s[14:15], s[14:15], 16
	ds_store_2addr_b64 v6, v[8:9], v[10:11] offset1:1
	s_cbranch_scc1 .LBB68_249
	s_branch .LBB68_239
.LBB68_250:
	s_endpgm
	.section	.rodata,"a",@progbits
	.p2align	6, 0x0
	.amdhsa_kernel _ZN9rocsolver6v33100L12steqr_kernelI19rocblas_complex_numIdEdPS3_EEviPT0_lS6_lT1_iilPiS6_iS5_S5_S5_
		.amdhsa_group_segment_fixed_size 16432
		.amdhsa_private_segment_fixed_size 0
		.amdhsa_kernarg_size 368
		.amdhsa_user_sgpr_count 4
		.amdhsa_user_sgpr_dispatch_ptr 1
		.amdhsa_user_sgpr_queue_ptr 0
		.amdhsa_user_sgpr_kernarg_segment_ptr 1
		.amdhsa_user_sgpr_dispatch_id 0
		.amdhsa_user_sgpr_private_segment_size 0
		.amdhsa_wavefront_size32 1
		.amdhsa_uses_dynamic_stack 0
		.amdhsa_enable_private_segment 0
		.amdhsa_system_sgpr_workgroup_id_x 1
		.amdhsa_system_sgpr_workgroup_id_y 1
		.amdhsa_system_sgpr_workgroup_id_z 0
		.amdhsa_system_sgpr_workgroup_info 0
		.amdhsa_system_vgpr_workitem_id 2
		.amdhsa_next_free_vgpr 71
		.amdhsa_next_free_sgpr 92
		.amdhsa_reserve_vcc 1
		.amdhsa_float_round_mode_32 0
		.amdhsa_float_round_mode_16_64 0
		.amdhsa_float_denorm_mode_32 3
		.amdhsa_float_denorm_mode_16_64 3
		.amdhsa_fp16_overflow 0
		.amdhsa_workgroup_processor_mode 1
		.amdhsa_memory_ordered 1
		.amdhsa_forward_progress 1
		.amdhsa_inst_pref_size 145
		.amdhsa_round_robin_scheduling 0
		.amdhsa_exception_fp_ieee_invalid_op 0
		.amdhsa_exception_fp_denorm_src 0
		.amdhsa_exception_fp_ieee_div_zero 0
		.amdhsa_exception_fp_ieee_overflow 0
		.amdhsa_exception_fp_ieee_underflow 0
		.amdhsa_exception_fp_ieee_inexact 0
		.amdhsa_exception_int_div_zero 0
	.end_amdhsa_kernel
	.section	.text._ZN9rocsolver6v33100L12steqr_kernelI19rocblas_complex_numIdEdPS3_EEviPT0_lS6_lT1_iilPiS6_iS5_S5_S5_,"axG",@progbits,_ZN9rocsolver6v33100L12steqr_kernelI19rocblas_complex_numIdEdPS3_EEviPT0_lS6_lT1_iilPiS6_iS5_S5_S5_,comdat
.Lfunc_end68:
	.size	_ZN9rocsolver6v33100L12steqr_kernelI19rocblas_complex_numIdEdPS3_EEviPT0_lS6_lT1_iilPiS6_iS5_S5_S5_, .Lfunc_end68-_ZN9rocsolver6v33100L12steqr_kernelI19rocblas_complex_numIdEdPS3_EEviPT0_lS6_lT1_iilPiS6_iS5_S5_S5_
                                        ; -- End function
	.set _ZN9rocsolver6v33100L12steqr_kernelI19rocblas_complex_numIdEdPS3_EEviPT0_lS6_lT1_iilPiS6_iS5_S5_S5_.num_vgpr, 71
	.set _ZN9rocsolver6v33100L12steqr_kernelI19rocblas_complex_numIdEdPS3_EEviPT0_lS6_lT1_iilPiS6_iS5_S5_S5_.num_agpr, 0
	.set _ZN9rocsolver6v33100L12steqr_kernelI19rocblas_complex_numIdEdPS3_EEviPT0_lS6_lT1_iilPiS6_iS5_S5_S5_.numbered_sgpr, 92
	.set _ZN9rocsolver6v33100L12steqr_kernelI19rocblas_complex_numIdEdPS3_EEviPT0_lS6_lT1_iilPiS6_iS5_S5_S5_.num_named_barrier, 0
	.set _ZN9rocsolver6v33100L12steqr_kernelI19rocblas_complex_numIdEdPS3_EEviPT0_lS6_lT1_iilPiS6_iS5_S5_S5_.private_seg_size, 0
	.set _ZN9rocsolver6v33100L12steqr_kernelI19rocblas_complex_numIdEdPS3_EEviPT0_lS6_lT1_iilPiS6_iS5_S5_S5_.uses_vcc, 1
	.set _ZN9rocsolver6v33100L12steqr_kernelI19rocblas_complex_numIdEdPS3_EEviPT0_lS6_lT1_iilPiS6_iS5_S5_S5_.uses_flat_scratch, 0
	.set _ZN9rocsolver6v33100L12steqr_kernelI19rocblas_complex_numIdEdPS3_EEviPT0_lS6_lT1_iilPiS6_iS5_S5_S5_.has_dyn_sized_stack, 0
	.set _ZN9rocsolver6v33100L12steqr_kernelI19rocblas_complex_numIdEdPS3_EEviPT0_lS6_lT1_iilPiS6_iS5_S5_S5_.has_recursion, 0
	.set _ZN9rocsolver6v33100L12steqr_kernelI19rocblas_complex_numIdEdPS3_EEviPT0_lS6_lT1_iilPiS6_iS5_S5_S5_.has_indirect_call, 0
	.section	.AMDGPU.csdata,"",@progbits
; Kernel info:
; codeLenInByte = 18436
; TotalNumSgprs: 94
; NumVgprs: 71
; ScratchSize: 0
; MemoryBound: 0
; FloatMode: 240
; IeeeMode: 1
; LDSByteSize: 16432 bytes/workgroup (compile time only)
; SGPRBlocks: 0
; VGPRBlocks: 8
; NumSGPRsForWavesPerEU: 94
; NumVGPRsForWavesPerEU: 71
; Occupancy: 16
; WaveLimiterHint : 0
; COMPUTE_PGM_RSRC2:SCRATCH_EN: 0
; COMPUTE_PGM_RSRC2:USER_SGPR: 4
; COMPUTE_PGM_RSRC2:TRAP_HANDLER: 0
; COMPUTE_PGM_RSRC2:TGID_X_EN: 1
; COMPUTE_PGM_RSRC2:TGID_Y_EN: 1
; COMPUTE_PGM_RSRC2:TGID_Z_EN: 0
; COMPUTE_PGM_RSRC2:TIDIG_COMP_CNT: 2
	.section	.text._ZN9rocsolver6v33100L8copy_matI19rocblas_complex_numIdEdLb0EPS3_TnNSt9enable_ifIX18rocblas_is_complexIT_EEiE4typeELi0EEEvNS0_17copymat_directionEiiT2_iilPT0_13rocblas_fill_17rocblas_diagonal_,"axG",@progbits,_ZN9rocsolver6v33100L8copy_matI19rocblas_complex_numIdEdLb0EPS3_TnNSt9enable_ifIX18rocblas_is_complexIT_EEiE4typeELi0EEEvNS0_17copymat_directionEiiT2_iilPT0_13rocblas_fill_17rocblas_diagonal_,comdat
	.globl	_ZN9rocsolver6v33100L8copy_matI19rocblas_complex_numIdEdLb0EPS3_TnNSt9enable_ifIX18rocblas_is_complexIT_EEiE4typeELi0EEEvNS0_17copymat_directionEiiT2_iilPT0_13rocblas_fill_17rocblas_diagonal_ ; -- Begin function _ZN9rocsolver6v33100L8copy_matI19rocblas_complex_numIdEdLb0EPS3_TnNSt9enable_ifIX18rocblas_is_complexIT_EEiE4typeELi0EEEvNS0_17copymat_directionEiiT2_iilPT0_13rocblas_fill_17rocblas_diagonal_
	.p2align	8
	.type	_ZN9rocsolver6v33100L8copy_matI19rocblas_complex_numIdEdLb0EPS3_TnNSt9enable_ifIX18rocblas_is_complexIT_EEiE4typeELi0EEEvNS0_17copymat_directionEiiT2_iilPT0_13rocblas_fill_17rocblas_diagonal_,@function
_ZN9rocsolver6v33100L8copy_matI19rocblas_complex_numIdEdLb0EPS3_TnNSt9enable_ifIX18rocblas_is_complexIT_EEiE4typeELi0EEEvNS0_17copymat_directionEiiT2_iilPT0_13rocblas_fill_17rocblas_diagonal_: ; @_ZN9rocsolver6v33100L8copy_matI19rocblas_complex_numIdEdLb0EPS3_TnNSt9enable_ifIX18rocblas_is_complexIT_EEiE4typeELi0EEEvNS0_17copymat_directionEiiT2_iilPT0_13rocblas_fill_17rocblas_diagonal_
; %bb.0:
	s_clause 0x1
	s_load_b32 s2, s[0:1], 0x44
	s_load_b96 s[8:10], s[0:1], 0x0
	v_and_b32_e32 v1, 0x3ff, v0
	v_bfe_u32 v2, v0, 10, 10
	s_and_b32 s3, ttmp7, 0xffff
	s_wait_kmcnt 0x0
	s_lshr_b32 s4, s2, 16
	s_and_b32 s2, s2, 0xffff
	s_delay_alu instid0(SALU_CYCLE_1) | instskip(SKIP_1) | instid1(VALU_DEP_2)
	v_mad_co_u64_u32 v[0:1], null, ttmp9, s2, v[1:2]
	v_mad_co_u64_u32 v[1:2], null, s3, s4, v[2:3]
	v_cmp_gt_u32_e32 vcc_lo, s9, v0
	s_delay_alu instid0(VALU_DEP_2)
	v_cmp_gt_u32_e64 s2, s10, v1
	s_and_b32 s2, s2, vcc_lo
	s_wait_alu 0xfffe
	s_and_saveexec_b32 s3, s2
	s_cbranch_execz .LBB69_16
; %bb.1:
	s_load_b64 s[4:5], s[0:1], 0x30
	s_mov_b32 s12, s9
	s_wait_kmcnt 0x0
	s_cmp_lt_i32 s4, 0x7a
	s_cbranch_scc1 .LBB69_4
; %bb.2:
	s_cmp_gt_i32 s4, 0x7a
	s_cbranch_scc0 .LBB69_5
; %bb.3:
	s_cmp_lg_u32 s4, 0x7b
	s_mov_b32 s3, -1
	s_cselect_b32 s6, -1, 0
	s_cbranch_execz .LBB69_6
	s_branch .LBB69_7
.LBB69_4:
	s_mov_b32 s6, 0
	s_mov_b32 s3, 0
	s_cbranch_execnz .LBB69_8
	s_branch .LBB69_10
.LBB69_5:
	s_mov_b32 s3, 0
	s_mov_b32 s6, 0
.LBB69_6:
	v_cmp_gt_u32_e32 vcc_lo, v0, v1
	v_cmp_le_u32_e64 s2, v0, v1
	s_wait_alu 0xfffe
	s_and_not1_b32 s3, s3, exec_lo
	s_and_not1_b32 s6, s6, exec_lo
	s_and_b32 s7, vcc_lo, exec_lo
	s_and_b32 s2, s2, exec_lo
	s_wait_alu 0xfffe
	s_or_b32 s3, s3, s7
	s_or_b32 s6, s6, s2
.LBB69_7:
	s_branch .LBB69_10
.LBB69_8:
	s_cmp_eq_u32 s4, 0x79
	s_mov_b32 s6, -1
	s_cbranch_scc0 .LBB69_10
; %bb.9:
	v_cmp_gt_u32_e32 vcc_lo, v1, v0
	v_cmp_le_u32_e64 s2, v1, v0
	s_wait_alu 0xfffe
	s_and_not1_b32 s3, s3, exec_lo
	s_and_b32 s4, vcc_lo, exec_lo
	s_or_not1_b32 s6, s2, exec_lo
	s_wait_alu 0xfffe
	s_or_b32 s3, s3, s4
.LBB69_10:
	s_and_saveexec_b32 s2, s6
; %bb.11:
	v_cmp_eq_u32_e32 vcc_lo, v0, v1
	s_cmp_eq_u32 s5, 0x83
	s_cselect_b32 s4, -1, 0
	s_wait_alu 0xfffe
	s_and_not1_b32 s3, s3, exec_lo
	s_and_b32 s4, s4, vcc_lo
	s_wait_alu 0xfffe
	s_and_b32 s4, s4, exec_lo
	s_wait_alu 0xfffe
	s_or_b32 s3, s3, s4
; %bb.12:
	s_or_b32 exec_lo, exec_lo, s2
	s_wait_alu 0xfffe
	s_and_b32 exec_lo, exec_lo, s3
	s_cbranch_execz .LBB69_16
; %bb.13:
	s_load_b256 s[0:7], s[0:1], 0x10
	s_mov_b32 s15, 0
	s_lshr_b32 s14, ttmp7, 16
	s_ashr_i32 s13, s9, 31
	s_ashr_i32 s11, s10, 31
	s_mul_u64 s[16:17], s[12:13], s[14:15]
	s_wait_kmcnt 0x0
	v_mad_co_u64_u32 v[3:4], null, v1, s3, v[0:1]
	v_mov_b32_e32 v4, 0
	s_mul_u64 s[4:5], s[4:5], s[14:15]
	s_ashr_i32 s3, s2, 31
	s_wait_alu 0xfffe
	s_lshl_b64 s[4:5], s[4:5], 4
	s_lshl_b64 s[2:3], s[2:3], 4
	s_wait_alu 0xfffe
	s_add_nc_u64 s[0:1], s[0:1], s[4:5]
	v_lshlrev_b64_e32 v[2:3], 4, v[3:4]
	s_wait_alu 0xfffe
	s_add_nc_u64 s[0:1], s[0:1], s[2:3]
	s_mul_u64 s[4:5], s[16:17], s[10:11]
	s_wait_alu 0xfffe
	s_delay_alu instid0(VALU_DEP_1) | instskip(NEXT) | instid1(VALU_DEP_1)
	v_add_co_u32 v2, vcc_lo, s0, v2
	v_add_co_ci_u32_e64 v3, null, s1, v3, vcc_lo
	s_lshl_b64 s[0:1], s[4:5], 3
	s_cmp_lg_u32 s8, 0
	s_wait_alu 0xfffe
	s_add_nc_u64 s[0:1], s[6:7], s[0:1]
	s_cbranch_scc0 .LBB69_17
; %bb.14:
	v_mad_co_u64_u32 v[5:6], null, v1, s12, v[0:1]
	v_mov_b32_e32 v6, v4
	s_delay_alu instid0(VALU_DEP_1) | instskip(SKIP_1) | instid1(VALU_DEP_1)
	v_lshlrev_b64_e32 v[4:5], 3, v[5:6]
	s_wait_alu 0xfffe
	v_add_co_u32 v4, vcc_lo, s0, v4
	s_wait_alu 0xfffd
	s_delay_alu instid0(VALU_DEP_2)
	v_add_co_ci_u32_e64 v5, null, s1, v5, vcc_lo
	global_load_b64 v[4:5], v[4:5], off
	s_wait_loadcnt 0x0
	global_store_b64 v[2:3], v[4:5], off offset:8
	s_and_not1_b32 vcc_lo, exec_lo, s15
	s_wait_alu 0xfffe
	s_cbranch_vccnz .LBB69_16
.LBB69_15:
	global_load_b64 v[2:3], v[2:3], off offset:8
	v_mad_co_u64_u32 v[0:1], null, v1, s12, v[0:1]
	v_mov_b32_e32 v1, 0
	s_delay_alu instid0(VALU_DEP_1) | instskip(SKIP_1) | instid1(VALU_DEP_1)
	v_lshlrev_b64_e32 v[0:1], 3, v[0:1]
	s_wait_alu 0xfffe
	v_add_co_u32 v0, vcc_lo, s0, v0
	s_wait_alu 0xfffd
	s_delay_alu instid0(VALU_DEP_2)
	v_add_co_ci_u32_e64 v1, null, s1, v1, vcc_lo
	s_wait_loadcnt 0x0
	global_store_b64 v[0:1], v[2:3], off
.LBB69_16:
	s_endpgm
.LBB69_17:
	s_branch .LBB69_15
	.section	.rodata,"a",@progbits
	.p2align	6, 0x0
	.amdhsa_kernel _ZN9rocsolver6v33100L8copy_matI19rocblas_complex_numIdEdLb0EPS3_TnNSt9enable_ifIX18rocblas_is_complexIT_EEiE4typeELi0EEEvNS0_17copymat_directionEiiT2_iilPT0_13rocblas_fill_17rocblas_diagonal_
		.amdhsa_group_segment_fixed_size 0
		.amdhsa_private_segment_fixed_size 0
		.amdhsa_kernarg_size 312
		.amdhsa_user_sgpr_count 2
		.amdhsa_user_sgpr_dispatch_ptr 0
		.amdhsa_user_sgpr_queue_ptr 0
		.amdhsa_user_sgpr_kernarg_segment_ptr 1
		.amdhsa_user_sgpr_dispatch_id 0
		.amdhsa_user_sgpr_private_segment_size 0
		.amdhsa_wavefront_size32 1
		.amdhsa_uses_dynamic_stack 0
		.amdhsa_enable_private_segment 0
		.amdhsa_system_sgpr_workgroup_id_x 1
		.amdhsa_system_sgpr_workgroup_id_y 1
		.amdhsa_system_sgpr_workgroup_id_z 1
		.amdhsa_system_sgpr_workgroup_info 0
		.amdhsa_system_vgpr_workitem_id 1
		.amdhsa_next_free_vgpr 7
		.amdhsa_next_free_sgpr 18
		.amdhsa_reserve_vcc 1
		.amdhsa_float_round_mode_32 0
		.amdhsa_float_round_mode_16_64 0
		.amdhsa_float_denorm_mode_32 3
		.amdhsa_float_denorm_mode_16_64 3
		.amdhsa_fp16_overflow 0
		.amdhsa_workgroup_processor_mode 1
		.amdhsa_memory_ordered 1
		.amdhsa_forward_progress 1
		.amdhsa_inst_pref_size 6
		.amdhsa_round_robin_scheduling 0
		.amdhsa_exception_fp_ieee_invalid_op 0
		.amdhsa_exception_fp_denorm_src 0
		.amdhsa_exception_fp_ieee_div_zero 0
		.amdhsa_exception_fp_ieee_overflow 0
		.amdhsa_exception_fp_ieee_underflow 0
		.amdhsa_exception_fp_ieee_inexact 0
		.amdhsa_exception_int_div_zero 0
	.end_amdhsa_kernel
	.section	.text._ZN9rocsolver6v33100L8copy_matI19rocblas_complex_numIdEdLb0EPS3_TnNSt9enable_ifIX18rocblas_is_complexIT_EEiE4typeELi0EEEvNS0_17copymat_directionEiiT2_iilPT0_13rocblas_fill_17rocblas_diagonal_,"axG",@progbits,_ZN9rocsolver6v33100L8copy_matI19rocblas_complex_numIdEdLb0EPS3_TnNSt9enable_ifIX18rocblas_is_complexIT_EEiE4typeELi0EEEvNS0_17copymat_directionEiiT2_iilPT0_13rocblas_fill_17rocblas_diagonal_,comdat
.Lfunc_end69:
	.size	_ZN9rocsolver6v33100L8copy_matI19rocblas_complex_numIdEdLb0EPS3_TnNSt9enable_ifIX18rocblas_is_complexIT_EEiE4typeELi0EEEvNS0_17copymat_directionEiiT2_iilPT0_13rocblas_fill_17rocblas_diagonal_, .Lfunc_end69-_ZN9rocsolver6v33100L8copy_matI19rocblas_complex_numIdEdLb0EPS3_TnNSt9enable_ifIX18rocblas_is_complexIT_EEiE4typeELi0EEEvNS0_17copymat_directionEiiT2_iilPT0_13rocblas_fill_17rocblas_diagonal_
                                        ; -- End function
	.set _ZN9rocsolver6v33100L8copy_matI19rocblas_complex_numIdEdLb0EPS3_TnNSt9enable_ifIX18rocblas_is_complexIT_EEiE4typeELi0EEEvNS0_17copymat_directionEiiT2_iilPT0_13rocblas_fill_17rocblas_diagonal_.num_vgpr, 7
	.set _ZN9rocsolver6v33100L8copy_matI19rocblas_complex_numIdEdLb0EPS3_TnNSt9enable_ifIX18rocblas_is_complexIT_EEiE4typeELi0EEEvNS0_17copymat_directionEiiT2_iilPT0_13rocblas_fill_17rocblas_diagonal_.num_agpr, 0
	.set _ZN9rocsolver6v33100L8copy_matI19rocblas_complex_numIdEdLb0EPS3_TnNSt9enable_ifIX18rocblas_is_complexIT_EEiE4typeELi0EEEvNS0_17copymat_directionEiiT2_iilPT0_13rocblas_fill_17rocblas_diagonal_.numbered_sgpr, 18
	.set _ZN9rocsolver6v33100L8copy_matI19rocblas_complex_numIdEdLb0EPS3_TnNSt9enable_ifIX18rocblas_is_complexIT_EEiE4typeELi0EEEvNS0_17copymat_directionEiiT2_iilPT0_13rocblas_fill_17rocblas_diagonal_.num_named_barrier, 0
	.set _ZN9rocsolver6v33100L8copy_matI19rocblas_complex_numIdEdLb0EPS3_TnNSt9enable_ifIX18rocblas_is_complexIT_EEiE4typeELi0EEEvNS0_17copymat_directionEiiT2_iilPT0_13rocblas_fill_17rocblas_diagonal_.private_seg_size, 0
	.set _ZN9rocsolver6v33100L8copy_matI19rocblas_complex_numIdEdLb0EPS3_TnNSt9enable_ifIX18rocblas_is_complexIT_EEiE4typeELi0EEEvNS0_17copymat_directionEiiT2_iilPT0_13rocblas_fill_17rocblas_diagonal_.uses_vcc, 1
	.set _ZN9rocsolver6v33100L8copy_matI19rocblas_complex_numIdEdLb0EPS3_TnNSt9enable_ifIX18rocblas_is_complexIT_EEiE4typeELi0EEEvNS0_17copymat_directionEiiT2_iilPT0_13rocblas_fill_17rocblas_diagonal_.uses_flat_scratch, 0
	.set _ZN9rocsolver6v33100L8copy_matI19rocblas_complex_numIdEdLb0EPS3_TnNSt9enable_ifIX18rocblas_is_complexIT_EEiE4typeELi0EEEvNS0_17copymat_directionEiiT2_iilPT0_13rocblas_fill_17rocblas_diagonal_.has_dyn_sized_stack, 0
	.set _ZN9rocsolver6v33100L8copy_matI19rocblas_complex_numIdEdLb0EPS3_TnNSt9enable_ifIX18rocblas_is_complexIT_EEiE4typeELi0EEEvNS0_17copymat_directionEiiT2_iilPT0_13rocblas_fill_17rocblas_diagonal_.has_recursion, 0
	.set _ZN9rocsolver6v33100L8copy_matI19rocblas_complex_numIdEdLb0EPS3_TnNSt9enable_ifIX18rocblas_is_complexIT_EEiE4typeELi0EEEvNS0_17copymat_directionEiiT2_iilPT0_13rocblas_fill_17rocblas_diagonal_.has_indirect_call, 0
	.section	.AMDGPU.csdata,"",@progbits
; Kernel info:
; codeLenInByte = 668
; TotalNumSgprs: 20
; NumVgprs: 7
; ScratchSize: 0
; MemoryBound: 0
; FloatMode: 240
; IeeeMode: 1
; LDSByteSize: 0 bytes/workgroup (compile time only)
; SGPRBlocks: 0
; VGPRBlocks: 0
; NumSGPRsForWavesPerEU: 20
; NumVGPRsForWavesPerEU: 7
; Occupancy: 16
; WaveLimiterHint : 0
; COMPUTE_PGM_RSRC2:SCRATCH_EN: 0
; COMPUTE_PGM_RSRC2:USER_SGPR: 2
; COMPUTE_PGM_RSRC2:TRAP_HANDLER: 0
; COMPUTE_PGM_RSRC2:TGID_X_EN: 1
; COMPUTE_PGM_RSRC2:TGID_Y_EN: 1
; COMPUTE_PGM_RSRC2:TGID_Z_EN: 1
; COMPUTE_PGM_RSRC2:TIDIG_COMP_CNT: 1
	.section	.text._ZN9rocsolver6v33100L8set_zeroI19rocblas_complex_numIdEPS3_EEviiT0_iil13rocblas_fill_,"axG",@progbits,_ZN9rocsolver6v33100L8set_zeroI19rocblas_complex_numIdEPS3_EEviiT0_iil13rocblas_fill_,comdat
	.globl	_ZN9rocsolver6v33100L8set_zeroI19rocblas_complex_numIdEPS3_EEviiT0_iil13rocblas_fill_ ; -- Begin function _ZN9rocsolver6v33100L8set_zeroI19rocblas_complex_numIdEPS3_EEviiT0_iil13rocblas_fill_
	.p2align	8
	.type	_ZN9rocsolver6v33100L8set_zeroI19rocblas_complex_numIdEPS3_EEviiT0_iil13rocblas_fill_,@function
_ZN9rocsolver6v33100L8set_zeroI19rocblas_complex_numIdEPS3_EEviiT0_iil13rocblas_fill_: ; @_ZN9rocsolver6v33100L8set_zeroI19rocblas_complex_numIdEPS3_EEviiT0_iil13rocblas_fill_
; %bb.0:
	s_clause 0x1
	s_load_b32 s4, s[0:1], 0x34
	s_load_b64 s[2:3], s[0:1], 0x0
	v_and_b32_e32 v1, 0x3ff, v0
	v_bfe_u32 v2, v0, 10, 10
	s_and_b32 s5, ttmp7, 0xffff
	s_wait_kmcnt 0x0
	s_lshr_b32 s6, s4, 16
	s_and_b32 s4, s4, 0xffff
	s_delay_alu instid0(SALU_CYCLE_1) | instskip(SKIP_1) | instid1(VALU_DEP_2)
	v_mad_co_u64_u32 v[0:1], null, ttmp9, s4, v[1:2]
	v_mad_co_u64_u32 v[1:2], null, s5, s6, v[2:3]
	v_cmp_gt_u32_e32 vcc_lo, s2, v0
	s_delay_alu instid0(VALU_DEP_2)
	v_cmp_gt_u32_e64 s2, s3, v1
	s_and_b32 s2, vcc_lo, s2
	s_wait_alu 0xfffe
	s_and_saveexec_b32 s3, s2
	s_cbranch_execz .LBB70_12
; %bb.1:
	s_load_b32 s3, s[0:1], 0x20
	s_wait_kmcnt 0x0
	s_cmp_lt_i32 s3, 0x7a
	s_cbranch_scc1 .LBB70_4
; %bb.2:
	s_cmp_gt_i32 s3, 0x7a
	s_cbranch_scc0 .LBB70_5
; %bb.3:
	s_cmp_eq_u32 s3, 0x7b
	s_cselect_b32 s2, -1, 0
	s_cbranch_execz .LBB70_6
	s_branch .LBB70_7
.LBB70_4:
	s_mov_b32 s2, 0
	s_cbranch_execnz .LBB70_8
	s_branch .LBB70_10
.LBB70_5:
	s_mov_b32 s2, 0
.LBB70_6:
	v_cmp_gt_u32_e32 vcc_lo, v1, v0
	s_wait_alu 0xfffe
	s_and_not1_b32 s2, s2, exec_lo
	s_and_b32 s4, vcc_lo, exec_lo
	s_wait_alu 0xfffe
	s_or_b32 s2, s2, s4
.LBB70_7:
	s_branch .LBB70_10
.LBB70_8:
	s_cmp_eq_u32 s3, 0x79
	s_cbranch_scc0 .LBB70_10
; %bb.9:
	v_cmp_gt_u32_e32 vcc_lo, v0, v1
	s_wait_alu 0xfffe
	s_and_not1_b32 s2, s2, exec_lo
	s_and_b32 s3, vcc_lo, exec_lo
	s_wait_alu 0xfffe
	s_or_b32 s2, s2, s3
.LBB70_10:
	s_wait_alu 0xfffe
	s_and_b32 exec_lo, exec_lo, s2
	s_cbranch_execz .LBB70_12
; %bb.11:
	s_clause 0x1
	s_load_b128 s[4:7], s[0:1], 0x8
	s_load_b64 s[0:1], s[0:1], 0x18
	s_mov_b32 s3, 0
	s_lshr_b32 s2, ttmp7, 16
	s_wait_kmcnt 0x0
	v_mad_co_u64_u32 v[0:1], null, v1, s7, v[0:1]
	v_mov_b32_e32 v1, 0
	s_wait_alu 0xfffe
	s_mul_u64 s[0:1], s[0:1], s[2:3]
	s_ashr_i32 s7, s6, 31
	s_wait_alu 0xfffe
	s_lshl_b64 s[0:1], s[0:1], 4
	s_lshl_b64 s[2:3], s[6:7], 4
	s_wait_alu 0xfffe
	s_add_nc_u64 s[0:1], s[4:5], s[0:1]
	v_lshlrev_b64_e32 v[3:4], 4, v[0:1]
	s_wait_alu 0xfffe
	s_add_nc_u64 s[0:1], s[0:1], s[2:3]
	v_mov_b32_e32 v2, v1
	v_mov_b32_e32 v0, v1
	s_wait_alu 0xfffe
	v_add_co_u32 v5, vcc_lo, s0, v3
	s_delay_alu instid0(VALU_DEP_1)
	v_add_co_ci_u32_e64 v6, null, s1, v4, vcc_lo
	v_mov_b32_e32 v3, v1
	global_store_b128 v[5:6], v[0:3], off
.LBB70_12:
	s_endpgm
	.section	.rodata,"a",@progbits
	.p2align	6, 0x0
	.amdhsa_kernel _ZN9rocsolver6v33100L8set_zeroI19rocblas_complex_numIdEPS3_EEviiT0_iil13rocblas_fill_
		.amdhsa_group_segment_fixed_size 0
		.amdhsa_private_segment_fixed_size 0
		.amdhsa_kernarg_size 296
		.amdhsa_user_sgpr_count 2
		.amdhsa_user_sgpr_dispatch_ptr 0
		.amdhsa_user_sgpr_queue_ptr 0
		.amdhsa_user_sgpr_kernarg_segment_ptr 1
		.amdhsa_user_sgpr_dispatch_id 0
		.amdhsa_user_sgpr_private_segment_size 0
		.amdhsa_wavefront_size32 1
		.amdhsa_uses_dynamic_stack 0
		.amdhsa_enable_private_segment 0
		.amdhsa_system_sgpr_workgroup_id_x 1
		.amdhsa_system_sgpr_workgroup_id_y 1
		.amdhsa_system_sgpr_workgroup_id_z 1
		.amdhsa_system_sgpr_workgroup_info 0
		.amdhsa_system_vgpr_workitem_id 1
		.amdhsa_next_free_vgpr 7
		.amdhsa_next_free_sgpr 8
		.amdhsa_reserve_vcc 1
		.amdhsa_float_round_mode_32 0
		.amdhsa_float_round_mode_16_64 0
		.amdhsa_float_denorm_mode_32 3
		.amdhsa_float_denorm_mode_16_64 3
		.amdhsa_fp16_overflow 0
		.amdhsa_workgroup_processor_mode 1
		.amdhsa_memory_ordered 1
		.amdhsa_forward_progress 1
		.amdhsa_inst_pref_size 4
		.amdhsa_round_robin_scheduling 0
		.amdhsa_exception_fp_ieee_invalid_op 0
		.amdhsa_exception_fp_denorm_src 0
		.amdhsa_exception_fp_ieee_div_zero 0
		.amdhsa_exception_fp_ieee_overflow 0
		.amdhsa_exception_fp_ieee_underflow 0
		.amdhsa_exception_fp_ieee_inexact 0
		.amdhsa_exception_int_div_zero 0
	.end_amdhsa_kernel
	.section	.text._ZN9rocsolver6v33100L8set_zeroI19rocblas_complex_numIdEPS3_EEviiT0_iil13rocblas_fill_,"axG",@progbits,_ZN9rocsolver6v33100L8set_zeroI19rocblas_complex_numIdEPS3_EEviiT0_iil13rocblas_fill_,comdat
.Lfunc_end70:
	.size	_ZN9rocsolver6v33100L8set_zeroI19rocblas_complex_numIdEPS3_EEviiT0_iil13rocblas_fill_, .Lfunc_end70-_ZN9rocsolver6v33100L8set_zeroI19rocblas_complex_numIdEPS3_EEviiT0_iil13rocblas_fill_
                                        ; -- End function
	.set _ZN9rocsolver6v33100L8set_zeroI19rocblas_complex_numIdEPS3_EEviiT0_iil13rocblas_fill_.num_vgpr, 7
	.set _ZN9rocsolver6v33100L8set_zeroI19rocblas_complex_numIdEPS3_EEviiT0_iil13rocblas_fill_.num_agpr, 0
	.set _ZN9rocsolver6v33100L8set_zeroI19rocblas_complex_numIdEPS3_EEviiT0_iil13rocblas_fill_.numbered_sgpr, 8
	.set _ZN9rocsolver6v33100L8set_zeroI19rocblas_complex_numIdEPS3_EEviiT0_iil13rocblas_fill_.num_named_barrier, 0
	.set _ZN9rocsolver6v33100L8set_zeroI19rocblas_complex_numIdEPS3_EEviiT0_iil13rocblas_fill_.private_seg_size, 0
	.set _ZN9rocsolver6v33100L8set_zeroI19rocblas_complex_numIdEPS3_EEviiT0_iil13rocblas_fill_.uses_vcc, 1
	.set _ZN9rocsolver6v33100L8set_zeroI19rocblas_complex_numIdEPS3_EEviiT0_iil13rocblas_fill_.uses_flat_scratch, 0
	.set _ZN9rocsolver6v33100L8set_zeroI19rocblas_complex_numIdEPS3_EEviiT0_iil13rocblas_fill_.has_dyn_sized_stack, 0
	.set _ZN9rocsolver6v33100L8set_zeroI19rocblas_complex_numIdEPS3_EEviiT0_iil13rocblas_fill_.has_recursion, 0
	.set _ZN9rocsolver6v33100L8set_zeroI19rocblas_complex_numIdEPS3_EEviiT0_iil13rocblas_fill_.has_indirect_call, 0
	.section	.AMDGPU.csdata,"",@progbits
; Kernel info:
; codeLenInByte = 400
; TotalNumSgprs: 10
; NumVgprs: 7
; ScratchSize: 0
; MemoryBound: 0
; FloatMode: 240
; IeeeMode: 1
; LDSByteSize: 0 bytes/workgroup (compile time only)
; SGPRBlocks: 0
; VGPRBlocks: 0
; NumSGPRsForWavesPerEU: 10
; NumVGPRsForWavesPerEU: 7
; Occupancy: 16
; WaveLimiterHint : 0
; COMPUTE_PGM_RSRC2:SCRATCH_EN: 0
; COMPUTE_PGM_RSRC2:USER_SGPR: 2
; COMPUTE_PGM_RSRC2:TRAP_HANDLER: 0
; COMPUTE_PGM_RSRC2:TGID_X_EN: 1
; COMPUTE_PGM_RSRC2:TGID_Y_EN: 1
; COMPUTE_PGM_RSRC2:TGID_Z_EN: 1
; COMPUTE_PGM_RSRC2:TIDIG_COMP_CNT: 1
	.section	.text._ZN9rocsolver6v33100L8copy_matI19rocblas_complex_numIdEdLb1EPS3_TnNSt9enable_ifIX18rocblas_is_complexIT_EEiE4typeELi0EEEvNS0_17copymat_directionEiiT2_iilPT0_13rocblas_fill_17rocblas_diagonal_,"axG",@progbits,_ZN9rocsolver6v33100L8copy_matI19rocblas_complex_numIdEdLb1EPS3_TnNSt9enable_ifIX18rocblas_is_complexIT_EEiE4typeELi0EEEvNS0_17copymat_directionEiiT2_iilPT0_13rocblas_fill_17rocblas_diagonal_,comdat
	.globl	_ZN9rocsolver6v33100L8copy_matI19rocblas_complex_numIdEdLb1EPS3_TnNSt9enable_ifIX18rocblas_is_complexIT_EEiE4typeELi0EEEvNS0_17copymat_directionEiiT2_iilPT0_13rocblas_fill_17rocblas_diagonal_ ; -- Begin function _ZN9rocsolver6v33100L8copy_matI19rocblas_complex_numIdEdLb1EPS3_TnNSt9enable_ifIX18rocblas_is_complexIT_EEiE4typeELi0EEEvNS0_17copymat_directionEiiT2_iilPT0_13rocblas_fill_17rocblas_diagonal_
	.p2align	8
	.type	_ZN9rocsolver6v33100L8copy_matI19rocblas_complex_numIdEdLb1EPS3_TnNSt9enable_ifIX18rocblas_is_complexIT_EEiE4typeELi0EEEvNS0_17copymat_directionEiiT2_iilPT0_13rocblas_fill_17rocblas_diagonal_,@function
_ZN9rocsolver6v33100L8copy_matI19rocblas_complex_numIdEdLb1EPS3_TnNSt9enable_ifIX18rocblas_is_complexIT_EEiE4typeELi0EEEvNS0_17copymat_directionEiiT2_iilPT0_13rocblas_fill_17rocblas_diagonal_: ; @_ZN9rocsolver6v33100L8copy_matI19rocblas_complex_numIdEdLb1EPS3_TnNSt9enable_ifIX18rocblas_is_complexIT_EEiE4typeELi0EEEvNS0_17copymat_directionEiiT2_iilPT0_13rocblas_fill_17rocblas_diagonal_
; %bb.0:
	s_clause 0x1
	s_load_b32 s2, s[0:1], 0x44
	s_load_b96 s[8:10], s[0:1], 0x0
	v_and_b32_e32 v1, 0x3ff, v0
	v_bfe_u32 v2, v0, 10, 10
	s_and_b32 s3, ttmp7, 0xffff
	s_wait_kmcnt 0x0
	s_lshr_b32 s4, s2, 16
	s_and_b32 s2, s2, 0xffff
	s_delay_alu instid0(SALU_CYCLE_1) | instskip(SKIP_1) | instid1(VALU_DEP_2)
	v_mad_co_u64_u32 v[0:1], null, ttmp9, s2, v[1:2]
	v_mad_co_u64_u32 v[1:2], null, s3, s4, v[2:3]
	v_cmp_gt_u32_e32 vcc_lo, s9, v0
	s_delay_alu instid0(VALU_DEP_2)
	v_cmp_gt_u32_e64 s2, s10, v1
	s_and_b32 s2, s2, vcc_lo
	s_wait_alu 0xfffe
	s_and_saveexec_b32 s3, s2
	s_cbranch_execz .LBB71_16
; %bb.1:
	s_load_b64 s[4:5], s[0:1], 0x30
	s_mov_b32 s12, s9
	s_wait_kmcnt 0x0
	s_cmp_lt_i32 s4, 0x7a
	s_cbranch_scc1 .LBB71_4
; %bb.2:
	s_cmp_gt_i32 s4, 0x7a
	s_cbranch_scc0 .LBB71_5
; %bb.3:
	s_cmp_lg_u32 s4, 0x7b
	s_mov_b32 s3, -1
	s_cselect_b32 s6, -1, 0
	s_cbranch_execz .LBB71_6
	s_branch .LBB71_7
.LBB71_4:
	s_mov_b32 s6, 0
	s_mov_b32 s3, 0
	s_cbranch_execnz .LBB71_8
	s_branch .LBB71_10
.LBB71_5:
	s_mov_b32 s3, 0
	s_mov_b32 s6, 0
.LBB71_6:
	v_cmp_gt_u32_e32 vcc_lo, v0, v1
	v_cmp_le_u32_e64 s2, v0, v1
	s_wait_alu 0xfffe
	s_and_not1_b32 s3, s3, exec_lo
	s_and_not1_b32 s6, s6, exec_lo
	s_and_b32 s7, vcc_lo, exec_lo
	s_and_b32 s2, s2, exec_lo
	s_wait_alu 0xfffe
	s_or_b32 s3, s3, s7
	s_or_b32 s6, s6, s2
.LBB71_7:
	s_branch .LBB71_10
.LBB71_8:
	s_cmp_eq_u32 s4, 0x79
	s_mov_b32 s6, -1
	s_cbranch_scc0 .LBB71_10
; %bb.9:
	v_cmp_gt_u32_e32 vcc_lo, v1, v0
	v_cmp_le_u32_e64 s2, v1, v0
	s_wait_alu 0xfffe
	s_and_not1_b32 s3, s3, exec_lo
	s_and_b32 s4, vcc_lo, exec_lo
	s_or_not1_b32 s6, s2, exec_lo
	s_wait_alu 0xfffe
	s_or_b32 s3, s3, s4
.LBB71_10:
	s_and_saveexec_b32 s2, s6
; %bb.11:
	v_cmp_eq_u32_e32 vcc_lo, v0, v1
	s_cmp_eq_u32 s5, 0x83
	s_cselect_b32 s4, -1, 0
	s_wait_alu 0xfffe
	s_and_not1_b32 s3, s3, exec_lo
	s_and_b32 s4, s4, vcc_lo
	s_wait_alu 0xfffe
	s_and_b32 s4, s4, exec_lo
	s_wait_alu 0xfffe
	s_or_b32 s3, s3, s4
; %bb.12:
	s_or_b32 exec_lo, exec_lo, s2
	s_wait_alu 0xfffe
	s_and_b32 exec_lo, exec_lo, s3
	s_cbranch_execz .LBB71_16
; %bb.13:
	s_load_b256 s[0:7], s[0:1], 0x10
	s_ashr_i32 s13, s9, 31
	s_mov_b32 s15, 0
	s_lshr_b32 s14, ttmp7, 16
	s_ashr_i32 s11, s10, 31
	s_mul_u64 s[16:17], s[12:13], s[14:15]
	s_wait_alu 0xfffe
	s_mul_u64 s[10:11], s[16:17], s[10:11]
	s_wait_alu 0xfffe
	s_lshl_b64 s[10:11], s[10:11], 3
	s_wait_kmcnt 0x0
	s_mul_u64 s[4:5], s[4:5], s[14:15]
	s_ashr_i32 s17, s2, 31
	s_mov_b32 s16, s2
	s_wait_alu 0xfffe
	s_lshl_b64 s[4:5], s[4:5], 4
	s_lshl_b64 s[16:17], s[16:17], 4
	s_wait_alu 0xfffe
	s_add_nc_u64 s[0:1], s[0:1], s[4:5]
	s_cmp_lg_u32 s8, 0
	s_wait_alu 0xfffe
	s_add_nc_u64 s[4:5], s[0:1], s[16:17]
	s_add_nc_u64 s[0:1], s[6:7], s[10:11]
	s_cbranch_scc0 .LBB71_17
; %bb.14:
	v_mad_co_u64_u32 v[2:3], null, v1, s12, v[0:1]
	v_mov_b32_e32 v3, 0
	v_mad_co_u64_u32 v[6:7], null, v1, s3, v[0:1]
	s_delay_alu instid0(VALU_DEP_2) | instskip(NEXT) | instid1(VALU_DEP_4)
	v_mov_b32_e32 v7, v3
	v_lshlrev_b64_e32 v[4:5], 3, v[2:3]
	s_delay_alu instid0(VALU_DEP_2) | instskip(SKIP_1) | instid1(VALU_DEP_2)
	v_lshlrev_b64_e32 v[2:3], 4, v[6:7]
	s_wait_alu 0xfffe
	v_add_co_u32 v4, vcc_lo, s0, v4
	s_delay_alu instid0(VALU_DEP_1) | instskip(NEXT) | instid1(VALU_DEP_3)
	v_add_co_ci_u32_e64 v5, null, s1, v5, vcc_lo
	v_add_co_u32 v2, vcc_lo, s4, v2
	s_wait_alu 0xfffd
	v_add_co_ci_u32_e64 v3, null, s5, v3, vcc_lo
	global_load_b64 v[4:5], v[4:5], off
	s_wait_loadcnt 0x0
	global_store_b64 v[2:3], v[4:5], off
	s_and_not1_b32 vcc_lo, exec_lo, s15
	s_wait_alu 0xfffe
	s_cbranch_vccnz .LBB71_16
.LBB71_15:
	v_mad_co_u64_u32 v[2:3], null, v1, s3, v[0:1]
	v_mov_b32_e32 v3, 0
	v_mad_co_u64_u32 v[0:1], null, v1, s12, v[0:1]
	s_delay_alu instid0(VALU_DEP_2) | instskip(NEXT) | instid1(VALU_DEP_4)
	v_mov_b32_e32 v1, v3
	v_lshlrev_b64_e32 v[4:5], 4, v[2:3]
	s_delay_alu instid0(VALU_DEP_2) | instskip(SKIP_1) | instid1(VALU_DEP_2)
	v_lshlrev_b64_e32 v[0:1], 3, v[0:1]
	s_wait_alu 0xfffe
	v_add_co_u32 v4, vcc_lo, s4, v4
	s_wait_alu 0xfffd
	s_delay_alu instid0(VALU_DEP_3) | instskip(NEXT) | instid1(VALU_DEP_3)
	v_add_co_ci_u32_e64 v5, null, s5, v5, vcc_lo
	v_add_co_u32 v0, vcc_lo, s0, v0
	s_wait_alu 0xfffd
	v_add_co_ci_u32_e64 v1, null, s1, v1, vcc_lo
	global_load_b64 v[4:5], v[4:5], off
	s_wait_loadcnt 0x0
	global_store_b64 v[0:1], v[4:5], off
.LBB71_16:
	s_endpgm
.LBB71_17:
	s_branch .LBB71_15
	.section	.rodata,"a",@progbits
	.p2align	6, 0x0
	.amdhsa_kernel _ZN9rocsolver6v33100L8copy_matI19rocblas_complex_numIdEdLb1EPS3_TnNSt9enable_ifIX18rocblas_is_complexIT_EEiE4typeELi0EEEvNS0_17copymat_directionEiiT2_iilPT0_13rocblas_fill_17rocblas_diagonal_
		.amdhsa_group_segment_fixed_size 0
		.amdhsa_private_segment_fixed_size 0
		.amdhsa_kernarg_size 312
		.amdhsa_user_sgpr_count 2
		.amdhsa_user_sgpr_dispatch_ptr 0
		.amdhsa_user_sgpr_queue_ptr 0
		.amdhsa_user_sgpr_kernarg_segment_ptr 1
		.amdhsa_user_sgpr_dispatch_id 0
		.amdhsa_user_sgpr_private_segment_size 0
		.amdhsa_wavefront_size32 1
		.amdhsa_uses_dynamic_stack 0
		.amdhsa_enable_private_segment 0
		.amdhsa_system_sgpr_workgroup_id_x 1
		.amdhsa_system_sgpr_workgroup_id_y 1
		.amdhsa_system_sgpr_workgroup_id_z 1
		.amdhsa_system_sgpr_workgroup_info 0
		.amdhsa_system_vgpr_workitem_id 1
		.amdhsa_next_free_vgpr 8
		.amdhsa_next_free_sgpr 18
		.amdhsa_reserve_vcc 1
		.amdhsa_float_round_mode_32 0
		.amdhsa_float_round_mode_16_64 0
		.amdhsa_float_denorm_mode_32 3
		.amdhsa_float_denorm_mode_16_64 3
		.amdhsa_fp16_overflow 0
		.amdhsa_workgroup_processor_mode 1
		.amdhsa_memory_ordered 1
		.amdhsa_forward_progress 1
		.amdhsa_inst_pref_size 6
		.amdhsa_round_robin_scheduling 0
		.amdhsa_exception_fp_ieee_invalid_op 0
		.amdhsa_exception_fp_denorm_src 0
		.amdhsa_exception_fp_ieee_div_zero 0
		.amdhsa_exception_fp_ieee_overflow 0
		.amdhsa_exception_fp_ieee_underflow 0
		.amdhsa_exception_fp_ieee_inexact 0
		.amdhsa_exception_int_div_zero 0
	.end_amdhsa_kernel
	.section	.text._ZN9rocsolver6v33100L8copy_matI19rocblas_complex_numIdEdLb1EPS3_TnNSt9enable_ifIX18rocblas_is_complexIT_EEiE4typeELi0EEEvNS0_17copymat_directionEiiT2_iilPT0_13rocblas_fill_17rocblas_diagonal_,"axG",@progbits,_ZN9rocsolver6v33100L8copy_matI19rocblas_complex_numIdEdLb1EPS3_TnNSt9enable_ifIX18rocblas_is_complexIT_EEiE4typeELi0EEEvNS0_17copymat_directionEiiT2_iilPT0_13rocblas_fill_17rocblas_diagonal_,comdat
.Lfunc_end71:
	.size	_ZN9rocsolver6v33100L8copy_matI19rocblas_complex_numIdEdLb1EPS3_TnNSt9enable_ifIX18rocblas_is_complexIT_EEiE4typeELi0EEEvNS0_17copymat_directionEiiT2_iilPT0_13rocblas_fill_17rocblas_diagonal_, .Lfunc_end71-_ZN9rocsolver6v33100L8copy_matI19rocblas_complex_numIdEdLb1EPS3_TnNSt9enable_ifIX18rocblas_is_complexIT_EEiE4typeELi0EEEvNS0_17copymat_directionEiiT2_iilPT0_13rocblas_fill_17rocblas_diagonal_
                                        ; -- End function
	.set _ZN9rocsolver6v33100L8copy_matI19rocblas_complex_numIdEdLb1EPS3_TnNSt9enable_ifIX18rocblas_is_complexIT_EEiE4typeELi0EEEvNS0_17copymat_directionEiiT2_iilPT0_13rocblas_fill_17rocblas_diagonal_.num_vgpr, 8
	.set _ZN9rocsolver6v33100L8copy_matI19rocblas_complex_numIdEdLb1EPS3_TnNSt9enable_ifIX18rocblas_is_complexIT_EEiE4typeELi0EEEvNS0_17copymat_directionEiiT2_iilPT0_13rocblas_fill_17rocblas_diagonal_.num_agpr, 0
	.set _ZN9rocsolver6v33100L8copy_matI19rocblas_complex_numIdEdLb1EPS3_TnNSt9enable_ifIX18rocblas_is_complexIT_EEiE4typeELi0EEEvNS0_17copymat_directionEiiT2_iilPT0_13rocblas_fill_17rocblas_diagonal_.numbered_sgpr, 18
	.set _ZN9rocsolver6v33100L8copy_matI19rocblas_complex_numIdEdLb1EPS3_TnNSt9enable_ifIX18rocblas_is_complexIT_EEiE4typeELi0EEEvNS0_17copymat_directionEiiT2_iilPT0_13rocblas_fill_17rocblas_diagonal_.num_named_barrier, 0
	.set _ZN9rocsolver6v33100L8copy_matI19rocblas_complex_numIdEdLb1EPS3_TnNSt9enable_ifIX18rocblas_is_complexIT_EEiE4typeELi0EEEvNS0_17copymat_directionEiiT2_iilPT0_13rocblas_fill_17rocblas_diagonal_.private_seg_size, 0
	.set _ZN9rocsolver6v33100L8copy_matI19rocblas_complex_numIdEdLb1EPS3_TnNSt9enable_ifIX18rocblas_is_complexIT_EEiE4typeELi0EEEvNS0_17copymat_directionEiiT2_iilPT0_13rocblas_fill_17rocblas_diagonal_.uses_vcc, 1
	.set _ZN9rocsolver6v33100L8copy_matI19rocblas_complex_numIdEdLb1EPS3_TnNSt9enable_ifIX18rocblas_is_complexIT_EEiE4typeELi0EEEvNS0_17copymat_directionEiiT2_iilPT0_13rocblas_fill_17rocblas_diagonal_.uses_flat_scratch, 0
	.set _ZN9rocsolver6v33100L8copy_matI19rocblas_complex_numIdEdLb1EPS3_TnNSt9enable_ifIX18rocblas_is_complexIT_EEiE4typeELi0EEEvNS0_17copymat_directionEiiT2_iilPT0_13rocblas_fill_17rocblas_diagonal_.has_dyn_sized_stack, 0
	.set _ZN9rocsolver6v33100L8copy_matI19rocblas_complex_numIdEdLb1EPS3_TnNSt9enable_ifIX18rocblas_is_complexIT_EEiE4typeELi0EEEvNS0_17copymat_directionEiiT2_iilPT0_13rocblas_fill_17rocblas_diagonal_.has_recursion, 0
	.set _ZN9rocsolver6v33100L8copy_matI19rocblas_complex_numIdEdLb1EPS3_TnNSt9enable_ifIX18rocblas_is_complexIT_EEiE4typeELi0EEEvNS0_17copymat_directionEiiT2_iilPT0_13rocblas_fill_17rocblas_diagonal_.has_indirect_call, 0
	.section	.AMDGPU.csdata,"",@progbits
; Kernel info:
; codeLenInByte = 712
; TotalNumSgprs: 20
; NumVgprs: 8
; ScratchSize: 0
; MemoryBound: 0
; FloatMode: 240
; IeeeMode: 1
; LDSByteSize: 0 bytes/workgroup (compile time only)
; SGPRBlocks: 0
; VGPRBlocks: 0
; NumSGPRsForWavesPerEU: 20
; NumVGPRsForWavesPerEU: 8
; Occupancy: 16
; WaveLimiterHint : 0
; COMPUTE_PGM_RSRC2:SCRATCH_EN: 0
; COMPUTE_PGM_RSRC2:USER_SGPR: 2
; COMPUTE_PGM_RSRC2:TRAP_HANDLER: 0
; COMPUTE_PGM_RSRC2:TGID_X_EN: 1
; COMPUTE_PGM_RSRC2:TGID_Y_EN: 1
; COMPUTE_PGM_RSRC2:TGID_Z_EN: 1
; COMPUTE_PGM_RSRC2:TIDIG_COMP_CNT: 1
	.section	.text._ZN9rocsolver6v33100L11stedc_copyCI19rocblas_complex_numIdEPS3_S4_EEviT0_iilT1_iil,"axG",@progbits,_ZN9rocsolver6v33100L11stedc_copyCI19rocblas_complex_numIdEPS3_S4_EEviT0_iilT1_iil,comdat
	.globl	_ZN9rocsolver6v33100L11stedc_copyCI19rocblas_complex_numIdEPS3_S4_EEviT0_iilT1_iil ; -- Begin function _ZN9rocsolver6v33100L11stedc_copyCI19rocblas_complex_numIdEPS3_S4_EEviT0_iilT1_iil
	.p2align	8
	.type	_ZN9rocsolver6v33100L11stedc_copyCI19rocblas_complex_numIdEPS3_S4_EEviT0_iilT1_iil,@function
_ZN9rocsolver6v33100L11stedc_copyCI19rocblas_complex_numIdEPS3_S4_EEviT0_iilT1_iil: ; @_ZN9rocsolver6v33100L11stedc_copyCI19rocblas_complex_numIdEPS3_S4_EEviT0_iilT1_iil
; %bb.0:
	s_clause 0x1
	s_load_b32 s2, s[0:1], 0x44
	s_load_b32 s22, s[0:1], 0x0
	s_wait_kmcnt 0x0
	s_and_b32 s20, s2, 0xffff
	s_add_co_i32 s4, s22, -1
	s_lshl_b32 s21, s20, 4
	s_abs_i32 s5, s4
	s_cvt_f32_u32 s2, s21
	s_sub_co_i32 s3, 0, s21
	s_ashr_i32 s4, s4, 31
	s_delay_alu instid0(SALU_CYCLE_1) | instskip(NEXT) | instid1(TRANS32_DEP_1)
	v_rcp_iflag_f32_e32 v1, s2
	v_readfirstlane_b32 s2, v1
	s_mul_f32 s2, s2, 0x4f7ffffe
	s_wait_alu 0xfffe
	s_delay_alu instid0(SALU_CYCLE_2) | instskip(SKIP_1) | instid1(SALU_CYCLE_2)
	s_cvt_u32_f32 s2, s2
	s_wait_alu 0xfffe
	s_mul_i32 s3, s3, s2
	s_wait_alu 0xfffe
	s_mul_hi_u32 s3, s2, s3
	s_wait_alu 0xfffe
	s_add_co_i32 s2, s2, s3
	s_wait_alu 0xfffe
	s_mul_hi_u32 s2, s5, s2
	s_wait_alu 0xfffe
	s_mul_i32 s3, s2, s21
	s_wait_alu 0xfffe
	s_sub_co_i32 s3, s5, s3
	s_add_co_i32 s5, s2, 1
	s_wait_alu 0xfffe
	s_sub_co_i32 s6, s3, s21
	s_cmp_ge_u32 s3, s21
	s_cselect_b32 s2, s5, s2
	s_cselect_b32 s3, s6, s3
	s_wait_alu 0xfffe
	s_add_co_i32 s5, s2, 1
	s_cmp_ge_u32 s3, s21
	s_cselect_b32 s2, s5, s2
	s_wait_alu 0xfffe
	s_xor_b32 s2, s2, s4
	s_wait_alu 0xfffe
	s_sub_co_i32 s2, s2, s4
	s_wait_alu 0xfffe
	s_cmp_lt_i32 s2, 0
	s_cbranch_scc1 .LBB72_67
; %bb.1:
	s_clause 0x1
	s_load_b256 s[4:11], s[0:1], 0x8
	s_load_b128 s[12:15], s[0:1], 0x28
	s_mov_b32 s16, ttmp7
	s_ashr_i32 s17, ttmp7, 31
	s_mov_b32 s23, 16
	s_mov_b32 s24, 32
	;; [unrolled: 1-line block ×3, first 2 shown]
	s_movk_i32 s27, 0x50
	s_mov_b32 s26, 64
	s_movk_i32 s28, 0x60
	s_movk_i32 s29, 0x70
	;; [unrolled: 1-line block ×10, first 2 shown]
	s_add_co_i32 s39, s2, 1
	s_wait_kmcnt 0x0
	s_mul_u64 s[8:9], s[8:9], s[16:17]
	s_mul_u64 s[14:15], s[14:15], s[16:17]
	s_ashr_i32 s1, s6, 31
	s_mov_b32 s0, s6
	s_ashr_i32 s19, s12, 31
	s_mov_b32 s18, s12
	s_mul_i32 s6, s7, ttmp9
	s_mul_i32 s12, s13, ttmp9
	s_lshl_b64 s[8:9], s[8:9], 4
	s_lshl_b64 s[14:15], s[14:15], 4
	s_lshl_b64 s[0:1], s[0:1], 4
	s_lshl_b64 s[16:17], s[18:19], 4
	s_ashr_i32 s7, s6, 31
	s_ashr_i32 s13, s12, 31
	s_add_nc_u64 s[4:5], s[4:5], s[8:9]
	s_add_nc_u64 s[8:9], s[10:11], s[14:15]
	s_lshl_b64 s[6:7], s[6:7], 4
	s_lshl_b64 s[10:11], s[12:13], 4
	s_add_nc_u64 s[0:1], s[4:5], s[0:1]
	s_add_nc_u64 s[4:5], s[8:9], s[16:17]
	;; [unrolled: 1-line block ×4, first 2 shown]
	s_lshl_b32 s40, s20, 1
	s_mul_i32 s41, s20, 3
	s_lshl_b32 s42, s20, 2
	s_mul_i32 s43, s20, 5
	s_mul_i32 s44, s20, 6
	;; [unrolled: 1-line block ×3, first 2 shown]
	s_lshl_b32 s46, s20, 3
	s_mul_i32 s47, s20, 9
	s_mul_i32 s48, s20, 10
	;; [unrolled: 1-line block ×7, first 2 shown]
	s_branch .LBB72_3
.LBB72_2:                               ;   in Loop: Header=BB72_3 Depth=1
	s_wait_alu 0xfffe
	s_or_b32 exec_lo, exec_lo, s0
	v_add_nc_u32_e32 v0, s21, v0
	s_add_co_i32 s39, s39, -1
	s_delay_alu instid0(SALU_CYCLE_1)
	s_cmp_eq_u32 s39, 0
	s_cbranch_scc1 .LBB72_67
.LBB72_3:                               ; =>This Inner Loop Header: Depth=1
	s_delay_alu instid0(VALU_DEP_1)
	v_cmp_gt_i32_e32 vcc_lo, s22, v0
	v_ashrrev_i32_e32 v1, 31, v0
	s_and_saveexec_b32 s1, vcc_lo
	s_cbranch_execz .LBB72_5
; %bb.4:                                ;   in Loop: Header=BB72_3 Depth=1
	s_delay_alu instid0(VALU_DEP_1) | instskip(NEXT) | instid1(VALU_DEP_1)
	v_lshlrev_b64_e32 v[2:3], 4, v[0:1]
	v_add_co_u32 v2, s0, s16, v2
	s_wait_alu 0xf1ff
	s_delay_alu instid0(VALU_DEP_2)
	v_add_co_ci_u32_e64 v3, null, s17, v3, s0
	global_load_b128 v[2:5], v[2:3], off
	s_wait_loadcnt 0x0
	scratch_store_b128 off, v[2:5], off
.LBB72_5:                               ;   in Loop: Header=BB72_3 Depth=1
	s_wait_alu 0xfffe
	s_or_b32 exec_lo, exec_lo, s1
	v_add_nc_u32_e32 v2, s20, v0
	s_delay_alu instid0(VALU_DEP_1)
	v_cmp_gt_i32_e64 s0, s22, v2
	v_ashrrev_i32_e32 v3, 31, v2
	s_and_saveexec_b32 s2, s0
	s_cbranch_execz .LBB72_7
; %bb.6:                                ;   in Loop: Header=BB72_3 Depth=1
	s_delay_alu instid0(VALU_DEP_1) | instskip(NEXT) | instid1(VALU_DEP_1)
	v_lshlrev_b64_e32 v[4:5], 4, v[2:3]
	v_add_co_u32 v4, s1, s16, v4
	s_wait_alu 0xf1ff
	s_delay_alu instid0(VALU_DEP_2)
	v_add_co_ci_u32_e64 v5, null, s17, v5, s1
	global_load_b128 v[4:7], v[4:5], off
	s_wait_loadcnt 0x0
	scratch_store_b128 off, v[4:7], s23
.LBB72_7:                               ;   in Loop: Header=BB72_3 Depth=1
	s_wait_alu 0xfffe
	s_or_b32 exec_lo, exec_lo, s2
	v_add_nc_u32_e32 v6, s20, v2
	v_add_nc_u32_e32 v4, s40, v0
	s_delay_alu instid0(VALU_DEP_2) | instskip(NEXT) | instid1(VALU_DEP_2)
	v_cmp_gt_i32_e64 s1, s22, v6
	v_ashrrev_i32_e32 v5, 31, v4
	s_and_saveexec_b32 s3, s1
	s_cbranch_execz .LBB72_9
; %bb.8:                                ;   in Loop: Header=BB72_3 Depth=1
	s_delay_alu instid0(VALU_DEP_1) | instskip(NEXT) | instid1(VALU_DEP_1)
	v_lshlrev_b64_e32 v[7:8], 4, v[4:5]
	v_add_co_u32 v7, s2, s16, v7
	s_wait_alu 0xf1ff
	s_delay_alu instid0(VALU_DEP_2)
	v_add_co_ci_u32_e64 v8, null, s17, v8, s2
	global_load_b128 v[7:10], v[7:8], off
	s_wait_loadcnt 0x0
	scratch_store_b128 off, v[7:10], s24
.LBB72_9:                               ;   in Loop: Header=BB72_3 Depth=1
	s_wait_alu 0xfffe
	s_or_b32 exec_lo, exec_lo, s3
	v_add_nc_u32_e32 v8, s20, v6
	v_add_nc_u32_e32 v6, s41, v0
	s_delay_alu instid0(VALU_DEP_2) | instskip(NEXT) | instid1(VALU_DEP_2)
	v_cmp_gt_i32_e64 s2, s22, v8
	v_ashrrev_i32_e32 v7, 31, v6
	s_and_saveexec_b32 s4, s2
	s_cbranch_execz .LBB72_11
; %bb.10:                               ;   in Loop: Header=BB72_3 Depth=1
	s_delay_alu instid0(VALU_DEP_1) | instskip(NEXT) | instid1(VALU_DEP_1)
	v_lshlrev_b64_e32 v[9:10], 4, v[6:7]
	v_add_co_u32 v9, s3, s16, v9
	s_wait_alu 0xf1ff
	s_delay_alu instid0(VALU_DEP_2)
	v_add_co_ci_u32_e64 v10, null, s17, v10, s3
	global_load_b128 v[9:12], v[9:10], off
	s_wait_loadcnt 0x0
	scratch_store_b128 off, v[9:12], s25
.LBB72_11:                              ;   in Loop: Header=BB72_3 Depth=1
	s_wait_alu 0xfffe
	s_or_b32 exec_lo, exec_lo, s4
	v_add_nc_u32_e32 v10, s20, v8
	v_add_nc_u32_e32 v8, s42, v0
	s_delay_alu instid0(VALU_DEP_2) | instskip(NEXT) | instid1(VALU_DEP_2)
	v_cmp_gt_i32_e64 s3, s22, v10
	v_ashrrev_i32_e32 v9, 31, v8
	s_and_saveexec_b32 s5, s3
	s_cbranch_execz .LBB72_13
; %bb.12:                               ;   in Loop: Header=BB72_3 Depth=1
	s_delay_alu instid0(VALU_DEP_1) | instskip(NEXT) | instid1(VALU_DEP_1)
	v_lshlrev_b64_e32 v[11:12], 4, v[8:9]
	v_add_co_u32 v11, s4, s16, v11
	s_wait_alu 0xf1ff
	s_delay_alu instid0(VALU_DEP_2)
	v_add_co_ci_u32_e64 v12, null, s17, v12, s4
	global_load_b128 v[11:14], v[11:12], off
	s_wait_loadcnt 0x0
	scratch_store_b128 off, v[11:14], s26
.LBB72_13:                              ;   in Loop: Header=BB72_3 Depth=1
	s_wait_alu 0xfffe
	s_or_b32 exec_lo, exec_lo, s5
	v_add_nc_u32_e32 v12, s20, v10
	v_add_nc_u32_e32 v10, s43, v0
	s_delay_alu instid0(VALU_DEP_2) | instskip(NEXT) | instid1(VALU_DEP_2)
	v_cmp_gt_i32_e64 s4, s22, v12
	v_ashrrev_i32_e32 v11, 31, v10
	s_and_saveexec_b32 s6, s4
	s_cbranch_execz .LBB72_15
; %bb.14:                               ;   in Loop: Header=BB72_3 Depth=1
	s_delay_alu instid0(VALU_DEP_1) | instskip(NEXT) | instid1(VALU_DEP_1)
	v_lshlrev_b64_e32 v[13:14], 4, v[10:11]
	v_add_co_u32 v13, s5, s16, v13
	s_wait_alu 0xf1ff
	s_delay_alu instid0(VALU_DEP_2)
	v_add_co_ci_u32_e64 v14, null, s17, v14, s5
	global_load_b128 v[13:16], v[13:14], off
	s_wait_loadcnt 0x0
	scratch_store_b128 off, v[13:16], s27
.LBB72_15:                              ;   in Loop: Header=BB72_3 Depth=1
	s_wait_alu 0xfffe
	s_or_b32 exec_lo, exec_lo, s6
	v_add_nc_u32_e32 v14, s20, v12
	v_add_nc_u32_e32 v12, s44, v0
	s_delay_alu instid0(VALU_DEP_2) | instskip(NEXT) | instid1(VALU_DEP_2)
	v_cmp_gt_i32_e64 s5, s22, v14
	v_ashrrev_i32_e32 v13, 31, v12
	s_and_saveexec_b32 s7, s5
	s_cbranch_execz .LBB72_17
; %bb.16:                               ;   in Loop: Header=BB72_3 Depth=1
	s_delay_alu instid0(VALU_DEP_1) | instskip(NEXT) | instid1(VALU_DEP_1)
	v_lshlrev_b64_e32 v[15:16], 4, v[12:13]
	v_add_co_u32 v15, s6, s16, v15
	s_wait_alu 0xf1ff
	s_delay_alu instid0(VALU_DEP_2)
	v_add_co_ci_u32_e64 v16, null, s17, v16, s6
	global_load_b128 v[15:18], v[15:16], off
	s_wait_loadcnt 0x0
	scratch_store_b128 off, v[15:18], s28
.LBB72_17:                              ;   in Loop: Header=BB72_3 Depth=1
	s_wait_alu 0xfffe
	s_or_b32 exec_lo, exec_lo, s7
	v_add_nc_u32_e32 v16, s20, v14
	v_add_nc_u32_e32 v14, s45, v0
	s_delay_alu instid0(VALU_DEP_2) | instskip(NEXT) | instid1(VALU_DEP_2)
	v_cmp_gt_i32_e64 s6, s22, v16
	v_ashrrev_i32_e32 v15, 31, v14
	s_and_saveexec_b32 s8, s6
	s_cbranch_execz .LBB72_19
; %bb.18:                               ;   in Loop: Header=BB72_3 Depth=1
	s_delay_alu instid0(VALU_DEP_1) | instskip(NEXT) | instid1(VALU_DEP_1)
	v_lshlrev_b64_e32 v[17:18], 4, v[14:15]
	v_add_co_u32 v17, s7, s16, v17
	s_wait_alu 0xf1ff
	s_delay_alu instid0(VALU_DEP_2)
	v_add_co_ci_u32_e64 v18, null, s17, v18, s7
	global_load_b128 v[17:20], v[17:18], off
	s_wait_loadcnt 0x0
	scratch_store_b128 off, v[17:20], s29
.LBB72_19:                              ;   in Loop: Header=BB72_3 Depth=1
	s_wait_alu 0xfffe
	s_or_b32 exec_lo, exec_lo, s8
	v_add_nc_u32_e32 v18, s20, v16
	v_add_nc_u32_e32 v16, s46, v0
	s_delay_alu instid0(VALU_DEP_2) | instskip(NEXT) | instid1(VALU_DEP_2)
	v_cmp_gt_i32_e64 s7, s22, v18
	v_ashrrev_i32_e32 v17, 31, v16
	s_and_saveexec_b32 s9, s7
	s_cbranch_execz .LBB72_21
; %bb.20:                               ;   in Loop: Header=BB72_3 Depth=1
	s_delay_alu instid0(VALU_DEP_1) | instskip(NEXT) | instid1(VALU_DEP_1)
	v_lshlrev_b64_e32 v[19:20], 4, v[16:17]
	v_add_co_u32 v19, s8, s16, v19
	s_wait_alu 0xf1ff
	s_delay_alu instid0(VALU_DEP_2)
	v_add_co_ci_u32_e64 v20, null, s17, v20, s8
	global_load_b128 v[19:22], v[19:20], off
	s_wait_loadcnt 0x0
	scratch_store_b128 off, v[19:22], s30
.LBB72_21:                              ;   in Loop: Header=BB72_3 Depth=1
	s_wait_alu 0xfffe
	s_or_b32 exec_lo, exec_lo, s9
	v_add_nc_u32_e32 v20, s20, v18
	v_add_nc_u32_e32 v18, s47, v0
	s_delay_alu instid0(VALU_DEP_2) | instskip(NEXT) | instid1(VALU_DEP_2)
	v_cmp_gt_i32_e64 s8, s22, v20
	v_ashrrev_i32_e32 v19, 31, v18
	s_and_saveexec_b32 s10, s8
	s_cbranch_execz .LBB72_23
; %bb.22:                               ;   in Loop: Header=BB72_3 Depth=1
	s_delay_alu instid0(VALU_DEP_1) | instskip(NEXT) | instid1(VALU_DEP_1)
	v_lshlrev_b64_e32 v[21:22], 4, v[18:19]
	v_add_co_u32 v21, s9, s16, v21
	s_wait_alu 0xf1ff
	s_delay_alu instid0(VALU_DEP_2)
	v_add_co_ci_u32_e64 v22, null, s17, v22, s9
	global_load_b128 v[21:24], v[21:22], off
	s_wait_loadcnt 0x0
	scratch_store_b128 off, v[21:24], s31
.LBB72_23:                              ;   in Loop: Header=BB72_3 Depth=1
	s_wait_alu 0xfffe
	s_or_b32 exec_lo, exec_lo, s10
	v_add_nc_u32_e32 v22, s20, v20
	v_add_nc_u32_e32 v20, s48, v0
	s_delay_alu instid0(VALU_DEP_2) | instskip(NEXT) | instid1(VALU_DEP_2)
	v_cmp_gt_i32_e64 s9, s22, v22
	v_ashrrev_i32_e32 v21, 31, v20
	s_and_saveexec_b32 s11, s9
	s_cbranch_execz .LBB72_25
; %bb.24:                               ;   in Loop: Header=BB72_3 Depth=1
	s_delay_alu instid0(VALU_DEP_1) | instskip(NEXT) | instid1(VALU_DEP_1)
	v_lshlrev_b64_e32 v[23:24], 4, v[20:21]
	v_add_co_u32 v23, s10, s16, v23
	s_wait_alu 0xf1ff
	s_delay_alu instid0(VALU_DEP_2)
	v_add_co_ci_u32_e64 v24, null, s17, v24, s10
	global_load_b128 v[23:26], v[23:24], off
	s_wait_loadcnt 0x0
	scratch_store_b128 off, v[23:26], s33
.LBB72_25:                              ;   in Loop: Header=BB72_3 Depth=1
	s_wait_alu 0xfffe
	s_or_b32 exec_lo, exec_lo, s11
	v_add_nc_u32_e32 v24, s20, v22
	v_add_nc_u32_e32 v22, s49, v0
	s_delay_alu instid0(VALU_DEP_2) | instskip(NEXT) | instid1(VALU_DEP_2)
	v_cmp_gt_i32_e64 s10, s22, v24
	v_ashrrev_i32_e32 v23, 31, v22
	s_and_saveexec_b32 s12, s10
	s_cbranch_execz .LBB72_27
; %bb.26:                               ;   in Loop: Header=BB72_3 Depth=1
	s_delay_alu instid0(VALU_DEP_1) | instskip(NEXT) | instid1(VALU_DEP_1)
	v_lshlrev_b64_e32 v[25:26], 4, v[22:23]
	v_add_co_u32 v25, s11, s16, v25
	s_wait_alu 0xf1ff
	s_delay_alu instid0(VALU_DEP_2)
	v_add_co_ci_u32_e64 v26, null, s17, v26, s11
	global_load_b128 v[25:28], v[25:26], off
	s_wait_loadcnt 0x0
	scratch_store_b128 off, v[25:28], s34
.LBB72_27:                              ;   in Loop: Header=BB72_3 Depth=1
	s_wait_alu 0xfffe
	s_or_b32 exec_lo, exec_lo, s12
	v_add_nc_u32_e32 v26, s20, v24
	v_add_nc_u32_e32 v24, s50, v0
	s_delay_alu instid0(VALU_DEP_2) | instskip(NEXT) | instid1(VALU_DEP_2)
	v_cmp_gt_i32_e64 s11, s22, v26
	v_ashrrev_i32_e32 v25, 31, v24
	s_and_saveexec_b32 s13, s11
	s_cbranch_execz .LBB72_29
; %bb.28:                               ;   in Loop: Header=BB72_3 Depth=1
	s_delay_alu instid0(VALU_DEP_1) | instskip(NEXT) | instid1(VALU_DEP_1)
	v_lshlrev_b64_e32 v[27:28], 4, v[24:25]
	v_add_co_u32 v27, s12, s16, v27
	s_wait_alu 0xf1ff
	s_delay_alu instid0(VALU_DEP_2)
	v_add_co_ci_u32_e64 v28, null, s17, v28, s12
	global_load_b128 v[27:30], v[27:28], off
	s_wait_loadcnt 0x0
	scratch_store_b128 off, v[27:30], s35
.LBB72_29:                              ;   in Loop: Header=BB72_3 Depth=1
	s_wait_alu 0xfffe
	s_or_b32 exec_lo, exec_lo, s13
	v_add_nc_u32_e32 v28, s20, v26
	v_add_nc_u32_e32 v26, s51, v0
	s_delay_alu instid0(VALU_DEP_2) | instskip(NEXT) | instid1(VALU_DEP_2)
	v_cmp_gt_i32_e64 s12, s22, v28
	v_ashrrev_i32_e32 v27, 31, v26
	s_and_saveexec_b32 s14, s12
	s_cbranch_execz .LBB72_31
; %bb.30:                               ;   in Loop: Header=BB72_3 Depth=1
	s_delay_alu instid0(VALU_DEP_1) | instskip(NEXT) | instid1(VALU_DEP_1)
	v_lshlrev_b64_e32 v[29:30], 4, v[26:27]
	v_add_co_u32 v29, s13, s16, v29
	s_wait_alu 0xf1ff
	s_delay_alu instid0(VALU_DEP_2)
	v_add_co_ci_u32_e64 v30, null, s17, v30, s13
	global_load_b128 v[29:32], v[29:30], off
	s_wait_loadcnt 0x0
	scratch_store_b128 off, v[29:32], s36
.LBB72_31:                              ;   in Loop: Header=BB72_3 Depth=1
	s_wait_alu 0xfffe
	s_or_b32 exec_lo, exec_lo, s14
	v_add_nc_u32_e32 v30, s20, v28
	v_add_nc_u32_e32 v28, s52, v0
	s_delay_alu instid0(VALU_DEP_2) | instskip(NEXT) | instid1(VALU_DEP_2)
	v_cmp_gt_i32_e64 s13, s22, v30
	v_ashrrev_i32_e32 v29, 31, v28
	s_and_saveexec_b32 s15, s13
	s_cbranch_execz .LBB72_33
; %bb.32:                               ;   in Loop: Header=BB72_3 Depth=1
	s_delay_alu instid0(VALU_DEP_1) | instskip(NEXT) | instid1(VALU_DEP_1)
	v_lshlrev_b64_e32 v[31:32], 4, v[28:29]
	v_add_co_u32 v31, s14, s16, v31
	s_wait_alu 0xf1ff
	s_delay_alu instid0(VALU_DEP_2)
	v_add_co_ci_u32_e64 v32, null, s17, v32, s14
	global_load_b128 v[31:34], v[31:32], off
	s_wait_loadcnt 0x0
	scratch_store_b128 off, v[31:34], s37
.LBB72_33:                              ;   in Loop: Header=BB72_3 Depth=1
	s_wait_alu 0xfffe
	s_or_b32 exec_lo, exec_lo, s15
	v_add_nc_u32_e32 v31, s20, v30
	v_add_nc_u32_e32 v30, s53, v0
	s_delay_alu instid0(VALU_DEP_2) | instskip(NEXT) | instid1(VALU_DEP_2)
	v_cmp_gt_i32_e64 s14, s22, v31
	v_ashrrev_i32_e32 v31, 31, v30
	s_and_saveexec_b32 s54, s14
	s_cbranch_execnz .LBB72_50
; %bb.34:                               ;   in Loop: Header=BB72_3 Depth=1
	s_or_b32 exec_lo, exec_lo, s54
	s_and_saveexec_b32 s15, vcc_lo
	s_cbranch_execnz .LBB72_51
.LBB72_35:                              ;   in Loop: Header=BB72_3 Depth=1
	s_wait_alu 0xfffe
	s_or_b32 exec_lo, exec_lo, s15
	s_and_saveexec_b32 s15, s0
	s_cbranch_execnz .LBB72_52
.LBB72_36:                              ;   in Loop: Header=BB72_3 Depth=1
	s_wait_alu 0xfffe
	s_or_b32 exec_lo, exec_lo, s15
	s_and_saveexec_b32 s0, s1
	s_cbranch_execnz .LBB72_53
.LBB72_37:                              ;   in Loop: Header=BB72_3 Depth=1
	s_wait_alu 0xfffe
	s_or_b32 exec_lo, exec_lo, s0
	s_and_saveexec_b32 s0, s2
	s_cbranch_execnz .LBB72_54
.LBB72_38:                              ;   in Loop: Header=BB72_3 Depth=1
	s_wait_alu 0xfffe
	s_or_b32 exec_lo, exec_lo, s0
	s_and_saveexec_b32 s0, s3
	s_cbranch_execnz .LBB72_55
.LBB72_39:                              ;   in Loop: Header=BB72_3 Depth=1
	s_wait_alu 0xfffe
	s_or_b32 exec_lo, exec_lo, s0
	s_and_saveexec_b32 s0, s4
	s_cbranch_execnz .LBB72_56
.LBB72_40:                              ;   in Loop: Header=BB72_3 Depth=1
	s_wait_alu 0xfffe
	s_or_b32 exec_lo, exec_lo, s0
	s_and_saveexec_b32 s0, s5
	s_cbranch_execnz .LBB72_57
.LBB72_41:                              ;   in Loop: Header=BB72_3 Depth=1
	s_wait_alu 0xfffe
	s_or_b32 exec_lo, exec_lo, s0
	s_and_saveexec_b32 s0, s6
	s_cbranch_execnz .LBB72_58
.LBB72_42:                              ;   in Loop: Header=BB72_3 Depth=1
	s_wait_alu 0xfffe
	s_or_b32 exec_lo, exec_lo, s0
	s_and_saveexec_b32 s0, s7
	s_cbranch_execnz .LBB72_59
.LBB72_43:                              ;   in Loop: Header=BB72_3 Depth=1
	s_wait_alu 0xfffe
	s_or_b32 exec_lo, exec_lo, s0
	s_and_saveexec_b32 s0, s8
	s_cbranch_execnz .LBB72_60
.LBB72_44:                              ;   in Loop: Header=BB72_3 Depth=1
	s_wait_alu 0xfffe
	s_or_b32 exec_lo, exec_lo, s0
	s_and_saveexec_b32 s0, s9
	s_cbranch_execnz .LBB72_61
.LBB72_45:                              ;   in Loop: Header=BB72_3 Depth=1
	s_wait_alu 0xfffe
	s_or_b32 exec_lo, exec_lo, s0
	s_and_saveexec_b32 s0, s10
	s_cbranch_execnz .LBB72_62
.LBB72_46:                              ;   in Loop: Header=BB72_3 Depth=1
	s_wait_alu 0xfffe
	s_or_b32 exec_lo, exec_lo, s0
	s_and_saveexec_b32 s0, s11
	s_cbranch_execnz .LBB72_63
.LBB72_47:                              ;   in Loop: Header=BB72_3 Depth=1
	s_wait_alu 0xfffe
	s_or_b32 exec_lo, exec_lo, s0
	s_and_saveexec_b32 s0, s12
	s_cbranch_execnz .LBB72_64
.LBB72_48:                              ;   in Loop: Header=BB72_3 Depth=1
	s_wait_alu 0xfffe
	s_or_b32 exec_lo, exec_lo, s0
	s_and_saveexec_b32 s0, s13
	s_cbranch_execnz .LBB72_65
.LBB72_49:                              ;   in Loop: Header=BB72_3 Depth=1
	s_wait_alu 0xfffe
	s_or_b32 exec_lo, exec_lo, s0
	s_and_saveexec_b32 s0, s14
	s_cbranch_execz .LBB72_2
	s_branch .LBB72_66
.LBB72_50:                              ;   in Loop: Header=BB72_3 Depth=1
	s_delay_alu instid0(VALU_DEP_1) | instskip(NEXT) | instid1(VALU_DEP_1)
	v_lshlrev_b64_e32 v[32:33], 4, v[30:31]
	v_add_co_u32 v32, s15, s16, v32
	s_wait_alu 0xf1ff
	s_delay_alu instid0(VALU_DEP_2)
	v_add_co_ci_u32_e64 v33, null, s17, v33, s15
	global_load_b128 v[32:35], v[32:33], off
	s_wait_loadcnt 0x0
	scratch_store_b128 off, v[32:35], s38
	s_or_b32 exec_lo, exec_lo, s54
	s_and_saveexec_b32 s15, vcc_lo
	s_cbranch_execz .LBB72_35
.LBB72_51:                              ;   in Loop: Header=BB72_3 Depth=1
	scratch_load_b128 v[32:35], off, off
	v_lshlrev_b64_e32 v[36:37], 4, v[0:1]
	s_delay_alu instid0(VALU_DEP_1) | instskip(SKIP_1) | instid1(VALU_DEP_2)
	v_add_co_u32 v36, vcc_lo, s18, v36
	s_wait_alu 0xfffd
	v_add_co_ci_u32_e64 v37, null, s19, v37, vcc_lo
	s_wait_loadcnt 0x0
	global_store_b128 v[36:37], v[32:35], off
	s_wait_alu 0xfffe
	s_or_b32 exec_lo, exec_lo, s15
	s_and_saveexec_b32 s15, s0
	s_cbranch_execz .LBB72_36
.LBB72_52:                              ;   in Loop: Header=BB72_3 Depth=1
	scratch_load_b128 v[32:35], off, s23
	v_lshlrev_b64_e32 v[1:2], 4, v[2:3]
	s_delay_alu instid0(VALU_DEP_1) | instskip(SKIP_1) | instid1(VALU_DEP_2)
	v_add_co_u32 v1, vcc_lo, s18, v1
	s_wait_alu 0xfffd
	v_add_co_ci_u32_e64 v2, null, s19, v2, vcc_lo
	s_wait_loadcnt 0x0
	global_store_b128 v[1:2], v[32:35], off
	s_wait_alu 0xfffe
	s_or_b32 exec_lo, exec_lo, s15
	s_and_saveexec_b32 s0, s1
	s_cbranch_execz .LBB72_37
.LBB72_53:                              ;   in Loop: Header=BB72_3 Depth=1
	scratch_load_b128 v[32:35], off, s24
	v_lshlrev_b64_e32 v[1:2], 4, v[4:5]
	s_delay_alu instid0(VALU_DEP_1) | instskip(SKIP_1) | instid1(VALU_DEP_2)
	v_add_co_u32 v1, vcc_lo, s18, v1
	s_wait_alu 0xfffd
	v_add_co_ci_u32_e64 v2, null, s19, v2, vcc_lo
	s_wait_loadcnt 0x0
	global_store_b128 v[1:2], v[32:35], off
	s_wait_alu 0xfffe
	s_or_b32 exec_lo, exec_lo, s0
	s_and_saveexec_b32 s0, s2
	s_cbranch_execz .LBB72_38
.LBB72_54:                              ;   in Loop: Header=BB72_3 Depth=1
	scratch_load_b128 v[1:4], off, s25
	v_lshlrev_b64_e32 v[5:6], 4, v[6:7]
	s_delay_alu instid0(VALU_DEP_1) | instskip(SKIP_1) | instid1(VALU_DEP_2)
	v_add_co_u32 v5, vcc_lo, s18, v5
	s_wait_alu 0xfffd
	v_add_co_ci_u32_e64 v6, null, s19, v6, vcc_lo
	s_wait_loadcnt 0x0
	global_store_b128 v[5:6], v[1:4], off
	s_wait_alu 0xfffe
	s_or_b32 exec_lo, exec_lo, s0
	s_and_saveexec_b32 s0, s3
	s_cbranch_execz .LBB72_39
.LBB72_55:                              ;   in Loop: Header=BB72_3 Depth=1
	scratch_load_b128 v[1:4], off, s26
	v_lshlrev_b64_e32 v[5:6], 4, v[8:9]
	s_delay_alu instid0(VALU_DEP_1) | instskip(SKIP_1) | instid1(VALU_DEP_2)
	v_add_co_u32 v5, vcc_lo, s18, v5
	s_wait_alu 0xfffd
	v_add_co_ci_u32_e64 v6, null, s19, v6, vcc_lo
	s_wait_loadcnt 0x0
	global_store_b128 v[5:6], v[1:4], off
	s_wait_alu 0xfffe
	s_or_b32 exec_lo, exec_lo, s0
	s_and_saveexec_b32 s0, s4
	s_cbranch_execz .LBB72_40
.LBB72_56:                              ;   in Loop: Header=BB72_3 Depth=1
	scratch_load_b128 v[1:4], off, s27
	v_lshlrev_b64_e32 v[5:6], 4, v[10:11]
	s_delay_alu instid0(VALU_DEP_1) | instskip(SKIP_1) | instid1(VALU_DEP_2)
	v_add_co_u32 v5, vcc_lo, s18, v5
	s_wait_alu 0xfffd
	v_add_co_ci_u32_e64 v6, null, s19, v6, vcc_lo
	s_wait_loadcnt 0x0
	global_store_b128 v[5:6], v[1:4], off
	s_wait_alu 0xfffe
	s_or_b32 exec_lo, exec_lo, s0
	s_and_saveexec_b32 s0, s5
	s_cbranch_execz .LBB72_41
.LBB72_57:                              ;   in Loop: Header=BB72_3 Depth=1
	scratch_load_b128 v[1:4], off, s28
	v_lshlrev_b64_e32 v[5:6], 4, v[12:13]
	s_delay_alu instid0(VALU_DEP_1) | instskip(SKIP_1) | instid1(VALU_DEP_2)
	v_add_co_u32 v5, vcc_lo, s18, v5
	s_wait_alu 0xfffd
	v_add_co_ci_u32_e64 v6, null, s19, v6, vcc_lo
	s_wait_loadcnt 0x0
	global_store_b128 v[5:6], v[1:4], off
	s_wait_alu 0xfffe
	s_or_b32 exec_lo, exec_lo, s0
	s_and_saveexec_b32 s0, s6
	s_cbranch_execz .LBB72_42
.LBB72_58:                              ;   in Loop: Header=BB72_3 Depth=1
	scratch_load_b128 v[1:4], off, s29
	v_lshlrev_b64_e32 v[5:6], 4, v[14:15]
	s_delay_alu instid0(VALU_DEP_1) | instskip(SKIP_1) | instid1(VALU_DEP_2)
	v_add_co_u32 v5, vcc_lo, s18, v5
	s_wait_alu 0xfffd
	v_add_co_ci_u32_e64 v6, null, s19, v6, vcc_lo
	s_wait_loadcnt 0x0
	global_store_b128 v[5:6], v[1:4], off
	s_wait_alu 0xfffe
	s_or_b32 exec_lo, exec_lo, s0
	s_and_saveexec_b32 s0, s7
	s_cbranch_execz .LBB72_43
.LBB72_59:                              ;   in Loop: Header=BB72_3 Depth=1
	scratch_load_b128 v[1:4], off, s30
	v_lshlrev_b64_e32 v[5:6], 4, v[16:17]
	s_delay_alu instid0(VALU_DEP_1) | instskip(SKIP_1) | instid1(VALU_DEP_2)
	v_add_co_u32 v5, vcc_lo, s18, v5
	s_wait_alu 0xfffd
	v_add_co_ci_u32_e64 v6, null, s19, v6, vcc_lo
	s_wait_loadcnt 0x0
	global_store_b128 v[5:6], v[1:4], off
	s_wait_alu 0xfffe
	s_or_b32 exec_lo, exec_lo, s0
	s_and_saveexec_b32 s0, s8
	s_cbranch_execz .LBB72_44
.LBB72_60:                              ;   in Loop: Header=BB72_3 Depth=1
	scratch_load_b128 v[1:4], off, s31
	v_lshlrev_b64_e32 v[5:6], 4, v[18:19]
	s_delay_alu instid0(VALU_DEP_1) | instskip(SKIP_1) | instid1(VALU_DEP_2)
	v_add_co_u32 v5, vcc_lo, s18, v5
	s_wait_alu 0xfffd
	v_add_co_ci_u32_e64 v6, null, s19, v6, vcc_lo
	s_wait_loadcnt 0x0
	global_store_b128 v[5:6], v[1:4], off
	s_wait_alu 0xfffe
	s_or_b32 exec_lo, exec_lo, s0
	s_and_saveexec_b32 s0, s9
	s_cbranch_execz .LBB72_45
.LBB72_61:                              ;   in Loop: Header=BB72_3 Depth=1
	scratch_load_b128 v[1:4], off, s33
	v_lshlrev_b64_e32 v[5:6], 4, v[20:21]
	s_delay_alu instid0(VALU_DEP_1) | instskip(SKIP_1) | instid1(VALU_DEP_2)
	v_add_co_u32 v5, vcc_lo, s18, v5
	s_wait_alu 0xfffd
	v_add_co_ci_u32_e64 v6, null, s19, v6, vcc_lo
	s_wait_loadcnt 0x0
	global_store_b128 v[5:6], v[1:4], off
	s_wait_alu 0xfffe
	s_or_b32 exec_lo, exec_lo, s0
	s_and_saveexec_b32 s0, s10
	s_cbranch_execz .LBB72_46
.LBB72_62:                              ;   in Loop: Header=BB72_3 Depth=1
	scratch_load_b128 v[1:4], off, s34
	v_lshlrev_b64_e32 v[5:6], 4, v[22:23]
	s_delay_alu instid0(VALU_DEP_1) | instskip(SKIP_1) | instid1(VALU_DEP_2)
	v_add_co_u32 v5, vcc_lo, s18, v5
	s_wait_alu 0xfffd
	v_add_co_ci_u32_e64 v6, null, s19, v6, vcc_lo
	s_wait_loadcnt 0x0
	global_store_b128 v[5:6], v[1:4], off
	s_wait_alu 0xfffe
	s_or_b32 exec_lo, exec_lo, s0
	s_and_saveexec_b32 s0, s11
	s_cbranch_execz .LBB72_47
.LBB72_63:                              ;   in Loop: Header=BB72_3 Depth=1
	scratch_load_b128 v[1:4], off, s35
	v_lshlrev_b64_e32 v[5:6], 4, v[24:25]
	s_delay_alu instid0(VALU_DEP_1) | instskip(SKIP_1) | instid1(VALU_DEP_2)
	v_add_co_u32 v5, vcc_lo, s18, v5
	s_wait_alu 0xfffd
	v_add_co_ci_u32_e64 v6, null, s19, v6, vcc_lo
	s_wait_loadcnt 0x0
	global_store_b128 v[5:6], v[1:4], off
	s_wait_alu 0xfffe
	s_or_b32 exec_lo, exec_lo, s0
	s_and_saveexec_b32 s0, s12
	s_cbranch_execz .LBB72_48
.LBB72_64:                              ;   in Loop: Header=BB72_3 Depth=1
	scratch_load_b128 v[1:4], off, s36
	v_lshlrev_b64_e32 v[5:6], 4, v[26:27]
	s_delay_alu instid0(VALU_DEP_1) | instskip(SKIP_1) | instid1(VALU_DEP_2)
	v_add_co_u32 v5, vcc_lo, s18, v5
	s_wait_alu 0xfffd
	v_add_co_ci_u32_e64 v6, null, s19, v6, vcc_lo
	s_wait_loadcnt 0x0
	global_store_b128 v[5:6], v[1:4], off
	s_wait_alu 0xfffe
	s_or_b32 exec_lo, exec_lo, s0
	s_and_saveexec_b32 s0, s13
	s_cbranch_execz .LBB72_49
.LBB72_65:                              ;   in Loop: Header=BB72_3 Depth=1
	scratch_load_b128 v[1:4], off, s37
	v_lshlrev_b64_e32 v[5:6], 4, v[28:29]
	s_delay_alu instid0(VALU_DEP_1) | instskip(SKIP_1) | instid1(VALU_DEP_2)
	v_add_co_u32 v5, vcc_lo, s18, v5
	s_wait_alu 0xfffd
	v_add_co_ci_u32_e64 v6, null, s19, v6, vcc_lo
	s_wait_loadcnt 0x0
	global_store_b128 v[5:6], v[1:4], off
	s_wait_alu 0xfffe
	s_or_b32 exec_lo, exec_lo, s0
	s_and_saveexec_b32 s0, s14
	s_cbranch_execz .LBB72_2
.LBB72_66:                              ;   in Loop: Header=BB72_3 Depth=1
	scratch_load_b128 v[1:4], off, s38
	v_lshlrev_b64_e32 v[5:6], 4, v[30:31]
	s_delay_alu instid0(VALU_DEP_1) | instskip(SKIP_1) | instid1(VALU_DEP_2)
	v_add_co_u32 v5, vcc_lo, s18, v5
	s_wait_alu 0xfffd
	v_add_co_ci_u32_e64 v6, null, s19, v6, vcc_lo
	s_wait_loadcnt 0x0
	global_store_b128 v[5:6], v[1:4], off
	s_branch .LBB72_2
.LBB72_67:
	s_endpgm
	.section	.rodata,"a",@progbits
	.p2align	6, 0x0
	.amdhsa_kernel _ZN9rocsolver6v33100L11stedc_copyCI19rocblas_complex_numIdEPS3_S4_EEviT0_iilT1_iil
		.amdhsa_group_segment_fixed_size 0
		.amdhsa_private_segment_fixed_size 272
		.amdhsa_kernarg_size 312
		.amdhsa_user_sgpr_count 2
		.amdhsa_user_sgpr_dispatch_ptr 0
		.amdhsa_user_sgpr_queue_ptr 0
		.amdhsa_user_sgpr_kernarg_segment_ptr 1
		.amdhsa_user_sgpr_dispatch_id 0
		.amdhsa_user_sgpr_private_segment_size 0
		.amdhsa_wavefront_size32 1
		.amdhsa_uses_dynamic_stack 0
		.amdhsa_enable_private_segment 1
		.amdhsa_system_sgpr_workgroup_id_x 1
		.amdhsa_system_sgpr_workgroup_id_y 1
		.amdhsa_system_sgpr_workgroup_id_z 0
		.amdhsa_system_sgpr_workgroup_info 0
		.amdhsa_system_vgpr_workitem_id 0
		.amdhsa_next_free_vgpr 38
		.amdhsa_next_free_sgpr 55
		.amdhsa_reserve_vcc 1
		.amdhsa_float_round_mode_32 0
		.amdhsa_float_round_mode_16_64 0
		.amdhsa_float_denorm_mode_32 3
		.amdhsa_float_denorm_mode_16_64 3
		.amdhsa_fp16_overflow 0
		.amdhsa_workgroup_processor_mode 1
		.amdhsa_memory_ordered 1
		.amdhsa_forward_progress 1
		.amdhsa_inst_pref_size 28
		.amdhsa_round_robin_scheduling 0
		.amdhsa_exception_fp_ieee_invalid_op 0
		.amdhsa_exception_fp_denorm_src 0
		.amdhsa_exception_fp_ieee_div_zero 0
		.amdhsa_exception_fp_ieee_overflow 0
		.amdhsa_exception_fp_ieee_underflow 0
		.amdhsa_exception_fp_ieee_inexact 0
		.amdhsa_exception_int_div_zero 0
	.end_amdhsa_kernel
	.section	.text._ZN9rocsolver6v33100L11stedc_copyCI19rocblas_complex_numIdEPS3_S4_EEviT0_iilT1_iil,"axG",@progbits,_ZN9rocsolver6v33100L11stedc_copyCI19rocblas_complex_numIdEPS3_S4_EEviT0_iilT1_iil,comdat
.Lfunc_end72:
	.size	_ZN9rocsolver6v33100L11stedc_copyCI19rocblas_complex_numIdEPS3_S4_EEviT0_iilT1_iil, .Lfunc_end72-_ZN9rocsolver6v33100L11stedc_copyCI19rocblas_complex_numIdEPS3_S4_EEviT0_iilT1_iil
                                        ; -- End function
	.set _ZN9rocsolver6v33100L11stedc_copyCI19rocblas_complex_numIdEPS3_S4_EEviT0_iilT1_iil.num_vgpr, 38
	.set _ZN9rocsolver6v33100L11stedc_copyCI19rocblas_complex_numIdEPS3_S4_EEviT0_iilT1_iil.num_agpr, 0
	.set _ZN9rocsolver6v33100L11stedc_copyCI19rocblas_complex_numIdEPS3_S4_EEviT0_iilT1_iil.numbered_sgpr, 55
	.set _ZN9rocsolver6v33100L11stedc_copyCI19rocblas_complex_numIdEPS3_S4_EEviT0_iilT1_iil.num_named_barrier, 0
	.set _ZN9rocsolver6v33100L11stedc_copyCI19rocblas_complex_numIdEPS3_S4_EEviT0_iilT1_iil.private_seg_size, 272
	.set _ZN9rocsolver6v33100L11stedc_copyCI19rocblas_complex_numIdEPS3_S4_EEviT0_iilT1_iil.uses_vcc, 1
	.set _ZN9rocsolver6v33100L11stedc_copyCI19rocblas_complex_numIdEPS3_S4_EEviT0_iilT1_iil.uses_flat_scratch, 0
	.set _ZN9rocsolver6v33100L11stedc_copyCI19rocblas_complex_numIdEPS3_S4_EEviT0_iilT1_iil.has_dyn_sized_stack, 0
	.set _ZN9rocsolver6v33100L11stedc_copyCI19rocblas_complex_numIdEPS3_S4_EEviT0_iilT1_iil.has_recursion, 0
	.set _ZN9rocsolver6v33100L11stedc_copyCI19rocblas_complex_numIdEPS3_S4_EEviT0_iilT1_iil.has_indirect_call, 0
	.section	.AMDGPU.csdata,"",@progbits
; Kernel info:
; codeLenInByte = 3464
; TotalNumSgprs: 57
; NumVgprs: 38
; ScratchSize: 272
; MemoryBound: 0
; FloatMode: 240
; IeeeMode: 1
; LDSByteSize: 0 bytes/workgroup (compile time only)
; SGPRBlocks: 0
; VGPRBlocks: 4
; NumSGPRsForWavesPerEU: 57
; NumVGPRsForWavesPerEU: 38
; Occupancy: 16
; WaveLimiterHint : 0
; COMPUTE_PGM_RSRC2:SCRATCH_EN: 1
; COMPUTE_PGM_RSRC2:USER_SGPR: 2
; COMPUTE_PGM_RSRC2:TRAP_HANDLER: 0
; COMPUTE_PGM_RSRC2:TGID_X_EN: 1
; COMPUTE_PGM_RSRC2:TGID_Y_EN: 1
; COMPUTE_PGM_RSRC2:TGID_Z_EN: 0
; COMPUTE_PGM_RSRC2:TIDIG_COMP_CNT: 0
	.section	.text._ZN9rocsolver6v33100L10stedc_sortI19rocblas_complex_numIdEdPS3_S4_EEviPT0_lS6_lT1_iilT2_iil,"axG",@progbits,_ZN9rocsolver6v33100L10stedc_sortI19rocblas_complex_numIdEdPS3_S4_EEviPT0_lS6_lT1_iilT2_iil,comdat
	.globl	_ZN9rocsolver6v33100L10stedc_sortI19rocblas_complex_numIdEdPS3_S4_EEviPT0_lS6_lT1_iilT2_iil ; -- Begin function _ZN9rocsolver6v33100L10stedc_sortI19rocblas_complex_numIdEdPS3_S4_EEviPT0_lS6_lT1_iilT2_iil
	.p2align	8
	.type	_ZN9rocsolver6v33100L10stedc_sortI19rocblas_complex_numIdEdPS3_S4_EEviPT0_lS6_lT1_iilT2_iil,@function
_ZN9rocsolver6v33100L10stedc_sortI19rocblas_complex_numIdEdPS3_S4_EEviPT0_lS6_lT1_iilT2_iil: ; @_ZN9rocsolver6v33100L10stedc_sortI19rocblas_complex_numIdEdPS3_S4_EEviPT0_lS6_lT1_iilT2_iil
; %bb.0:
	s_clause 0x3
	s_load_b32 s4, s[2:3], 0x64
	s_load_b64 s[34:35], s[2:3], 0x28
	s_load_b256 s[20:27], s[2:3], 0x8
	s_load_b32 s41, s[2:3], 0x0
	s_mov_b32 s30, ttmp7
	s_ashr_i32 s31, ttmp7, 31
	s_mov_b32 s28, ttmp9
	s_ashr_i32 s29, ttmp9, 31
	v_and_b32_e32 v33, 0x3ff, v0
	s_lshl_b64 s[36:37], s[28:29], 3
	s_wait_kmcnt 0x0
	s_and_b32 s33, s4, 0xffff
	s_mul_u64 s[6:7], s[22:23], s[30:31]
	s_lshl_b32 s40, s33, 4
	s_add_co_i32 s8, s41, -1
	s_cvt_f32_u32 s4, s40
	s_sub_co_i32 s10, 0, s40
	s_lshl_b64 s[6:7], s[6:7], 3
	s_ashr_i32 s9, s8, 31
	v_rcp_iflag_f32_e32 v1, s4
	s_abs_i32 s8, s8
	s_add_nc_u64 s[38:39], s[20:21], s[6:7]
	s_mov_b32 s4, -1
	s_add_nc_u64 s[6:7], s[38:39], s[36:37]
	s_mul_i32 s29, s33, 3
	s_load_b64 s[22:23], s[6:7], 0x0
	s_mul_i32 s42, s33, 5
	s_mul_i32 s43, s33, 6
	;; [unrolled: 1-line block ×3, first 2 shown]
	v_readfirstlane_b32 s5, v1
	s_mul_i32 s44, s33, 9
	s_mul_i32 s45, s33, 10
	;; [unrolled: 1-line block ×4, first 2 shown]
	s_mul_f32 s5, s5, 0x4f7ffffe
	s_mul_i32 s48, s33, 13
	s_mul_i32 s49, s33, 14
	;; [unrolled: 1-line block ×3, first 2 shown]
	s_wait_alu 0xfffe
	s_cvt_u32_f32 s5, s5
	s_wait_alu 0xfffe
	s_delay_alu instid0(SALU_CYCLE_2) | instskip(NEXT) | instid1(SALU_CYCLE_1)
	s_mul_i32 s10, s10, s5
	s_mul_hi_u32 s10, s5, s10
	s_delay_alu instid0(SALU_CYCLE_1)
	s_add_co_i32 s5, s5, s10
	s_wait_alu 0xfffe
	s_mul_hi_u32 s5, s8, s5
	s_wait_alu 0xfffe
	s_mul_i32 s10, s5, s40
	s_add_co_i32 s7, s5, 1
	s_sub_co_i32 s6, s8, s10
	s_delay_alu instid0(SALU_CYCLE_1)
	s_sub_co_i32 s8, s6, s40
	s_cmp_ge_u32 s6, s40
	s_cselect_b32 s5, s7, s5
	s_cselect_b32 s6, s8, s6
	s_wait_alu 0xfffe
	s_add_co_i32 s7, s5, 1
	s_cmp_ge_u32 s6, s40
	s_cselect_b32 s5, s7, s5
	s_wait_alu 0xfffe
	s_xor_b32 s5, s5, s9
	s_wait_alu 0xfffe
	s_sub_co_i32 s51, s5, s9
	s_delay_alu instid0(SALU_CYCLE_1)
	s_cmp_gt_i32 s51, -1
	s_cselect_b32 s52, -1, 0
	s_cmp_lt_i32 s51, 0
	s_cbranch_scc1 .LBB73_67
; %bb.1:
	v_dual_mov_b32 v65, 0 :: v_dual_mov_b32 v34, v33
	v_dual_mov_b32 v66, 0 :: v_dual_mov_b32 v67, 0
	s_add_co_i32 s53, s51, 1
	s_lshl_b32 s54, s33, 1
	s_lshl_b32 s55, s33, 2
	;; [unrolled: 1-line block ×3, first 2 shown]
                                        ; implicit-def: $vgpr31_vgpr32
                                        ; implicit-def: $vgpr27_vgpr28
                                        ; implicit-def: $vgpr23_vgpr24
                                        ; implicit-def: $vgpr19_vgpr20
                                        ; implicit-def: $vgpr15_vgpr16
                                        ; implicit-def: $vgpr11_vgpr12
                                        ; implicit-def: $vgpr7_vgpr8
                                        ; implicit-def: $vgpr3_vgpr4
	s_branch .LBB73_3
.LBB73_2:                               ;   in Loop: Header=BB73_3 Depth=1
	s_wait_alu 0xfffe
	s_or_b32 exec_lo, exec_lo, s6
	v_add_nc_u32_e32 v34, s40, v34
	s_add_co_i32 s53, s53, -1
	s_delay_alu instid0(SALU_CYCLE_1)
	s_cmp_eq_u32 s53, 0
	s_cbranch_scc1 .LBB73_68
.LBB73_3:                               ; =>This Inner Loop Header: Depth=1
	s_delay_alu instid0(VALU_DEP_1)
	v_cmp_gt_i32_e64 s18, s41, v34
	s_and_saveexec_b32 s4, s18
	s_cbranch_execz .LBB73_5
; %bb.4:                                ;   in Loop: Header=BB73_3 Depth=1
	v_ashrrev_i32_e32 v35, 31, v34
	s_wait_loadcnt 0x0
	s_delay_alu instid0(VALU_DEP_1) | instskip(NEXT) | instid1(VALU_DEP_1)
	v_lshlrev_b64_e32 v[1:2], 3, v[34:35]
	v_add_co_u32 v1, vcc_lo, s38, v1
	s_wait_alu 0xfffd
	s_delay_alu instid0(VALU_DEP_2)
	v_add_co_ci_u32_e64 v2, null, s39, v2, vcc_lo
	global_load_b64 v[1:2], v[1:2], off
.LBB73_5:                               ;   in Loop: Header=BB73_3 Depth=1
	s_wait_alu 0xfffe
	s_or_b32 exec_lo, exec_lo, s4
	v_add_nc_u32_e32 v63, s33, v34
	s_delay_alu instid0(VALU_DEP_1)
	v_cmp_gt_i32_e64 s17, s41, v63
	s_and_saveexec_b32 s4, s17
	s_cbranch_execz .LBB73_7
; %bb.6:                                ;   in Loop: Header=BB73_3 Depth=1
	v_ashrrev_i32_e32 v64, 31, v63
	s_wait_loadcnt 0x0
	s_delay_alu instid0(VALU_DEP_1) | instskip(NEXT) | instid1(VALU_DEP_1)
	v_lshlrev_b64_e32 v[3:4], 3, v[63:64]
	v_add_co_u32 v3, vcc_lo, s38, v3
	s_wait_alu 0xfffd
	s_delay_alu instid0(VALU_DEP_2)
	v_add_co_ci_u32_e64 v4, null, s39, v4, vcc_lo
	global_load_b64 v[3:4], v[3:4], off
.LBB73_7:                               ;   in Loop: Header=BB73_3 Depth=1
	s_wait_alu 0xfffe
	s_or_b32 exec_lo, exec_lo, s4
	v_add_nc_u32_e32 v61, s54, v34
	;; [unrolled: 18-line block ×3, first 2 shown]
	s_delay_alu instid0(VALU_DEP_1)
	v_cmp_gt_i32_e64 s15, s41, v59
	s_and_saveexec_b32 s4, s15
	s_cbranch_execz .LBB73_11
; %bb.10:                               ;   in Loop: Header=BB73_3 Depth=1
	v_ashrrev_i32_e32 v60, 31, v59
	s_wait_loadcnt 0x0
	s_delay_alu instid0(VALU_DEP_1) | instskip(NEXT) | instid1(VALU_DEP_1)
	v_lshlrev_b64_e32 v[7:8], 3, v[59:60]
	v_add_co_u32 v7, vcc_lo, s38, v7
	s_wait_alu 0xfffd
	s_delay_alu instid0(VALU_DEP_2)
	v_add_co_ci_u32_e64 v8, null, s39, v8, vcc_lo
	global_load_b64 v[7:8], v[7:8], off
.LBB73_11:                              ;   in Loop: Header=BB73_3 Depth=1
	s_wait_alu 0xfffe
	s_or_b32 exec_lo, exec_lo, s4
	v_add_nc_u32_e32 v57, s55, v34
	s_delay_alu instid0(VALU_DEP_1)
	v_cmp_gt_i32_e64 s14, s41, v57
	s_and_saveexec_b32 s4, s14
	s_cbranch_execz .LBB73_13
; %bb.12:                               ;   in Loop: Header=BB73_3 Depth=1
	v_ashrrev_i32_e32 v58, 31, v57
	s_wait_loadcnt 0x0
	s_delay_alu instid0(VALU_DEP_1) | instskip(NEXT) | instid1(VALU_DEP_1)
	v_lshlrev_b64_e32 v[9:10], 3, v[57:58]
	v_add_co_u32 v9, vcc_lo, s38, v9
	s_wait_alu 0xfffd
	s_delay_alu instid0(VALU_DEP_2)
	v_add_co_ci_u32_e64 v10, null, s39, v10, vcc_lo
	global_load_b64 v[9:10], v[9:10], off
.LBB73_13:                              ;   in Loop: Header=BB73_3 Depth=1
	s_wait_alu 0xfffe
	s_or_b32 exec_lo, exec_lo, s4
	v_add_nc_u32_e32 v55, s42, v34
	s_delay_alu instid0(VALU_DEP_1)
	v_cmp_gt_i32_e64 s13, s41, v55
	s_and_saveexec_b32 s4, s13
	s_cbranch_execz .LBB73_15
; %bb.14:                               ;   in Loop: Header=BB73_3 Depth=1
	v_ashrrev_i32_e32 v56, 31, v55
	s_wait_loadcnt 0x0
	s_delay_alu instid0(VALU_DEP_1) | instskip(NEXT) | instid1(VALU_DEP_1)
	v_lshlrev_b64_e32 v[11:12], 3, v[55:56]
	v_add_co_u32 v11, vcc_lo, s38, v11
	s_wait_alu 0xfffd
	s_delay_alu instid0(VALU_DEP_2)
	v_add_co_ci_u32_e64 v12, null, s39, v12, vcc_lo
	global_load_b64 v[11:12], v[11:12], off
.LBB73_15:                              ;   in Loop: Header=BB73_3 Depth=1
	s_wait_alu 0xfffe
	s_or_b32 exec_lo, exec_lo, s4
	v_add_nc_u32_e32 v53, s43, v34
	s_delay_alu instid0(VALU_DEP_1)
	v_cmp_gt_i32_e64 s12, s41, v53
	s_and_saveexec_b32 s4, s12
	s_cbranch_execz .LBB73_17
; %bb.16:                               ;   in Loop: Header=BB73_3 Depth=1
	v_ashrrev_i32_e32 v54, 31, v53
	s_wait_loadcnt 0x0
	s_delay_alu instid0(VALU_DEP_1) | instskip(NEXT) | instid1(VALU_DEP_1)
	v_lshlrev_b64_e32 v[13:14], 3, v[53:54]
	v_add_co_u32 v13, vcc_lo, s38, v13
	s_wait_alu 0xfffd
	s_delay_alu instid0(VALU_DEP_2)
	v_add_co_ci_u32_e64 v14, null, s39, v14, vcc_lo
	global_load_b64 v[13:14], v[13:14], off
.LBB73_17:                              ;   in Loop: Header=BB73_3 Depth=1
	s_wait_alu 0xfffe
	s_or_b32 exec_lo, exec_lo, s4
	v_add_nc_u32_e32 v51, s21, v34
	s_delay_alu instid0(VALU_DEP_1)
	v_cmp_gt_i32_e64 s11, s41, v51
	s_and_saveexec_b32 s4, s11
	s_cbranch_execz .LBB73_19
; %bb.18:                               ;   in Loop: Header=BB73_3 Depth=1
	v_ashrrev_i32_e32 v52, 31, v51
	s_wait_loadcnt 0x0
	s_delay_alu instid0(VALU_DEP_1) | instskip(NEXT) | instid1(VALU_DEP_1)
	v_lshlrev_b64_e32 v[15:16], 3, v[51:52]
	v_add_co_u32 v15, vcc_lo, s38, v15
	s_wait_alu 0xfffd
	s_delay_alu instid0(VALU_DEP_2)
	v_add_co_ci_u32_e64 v16, null, s39, v16, vcc_lo
	global_load_b64 v[15:16], v[15:16], off
.LBB73_19:                              ;   in Loop: Header=BB73_3 Depth=1
	s_wait_alu 0xfffe
	s_or_b32 exec_lo, exec_lo, s4
	v_add_nc_u32_e32 v49, s56, v34
	s_delay_alu instid0(VALU_DEP_1)
	v_cmp_gt_i32_e64 s10, s41, v49
	s_and_saveexec_b32 s4, s10
	s_cbranch_execz .LBB73_21
; %bb.20:                               ;   in Loop: Header=BB73_3 Depth=1
	v_ashrrev_i32_e32 v50, 31, v49
	s_wait_loadcnt 0x0
	s_delay_alu instid0(VALU_DEP_1) | instskip(NEXT) | instid1(VALU_DEP_1)
	v_lshlrev_b64_e32 v[17:18], 3, v[49:50]
	v_add_co_u32 v17, vcc_lo, s38, v17
	s_wait_alu 0xfffd
	s_delay_alu instid0(VALU_DEP_2)
	v_add_co_ci_u32_e64 v18, null, s39, v18, vcc_lo
	global_load_b64 v[17:18], v[17:18], off
.LBB73_21:                              ;   in Loop: Header=BB73_3 Depth=1
	s_wait_alu 0xfffe
	s_or_b32 exec_lo, exec_lo, s4
	v_add_nc_u32_e32 v47, s44, v34
	s_delay_alu instid0(VALU_DEP_1)
	v_cmp_gt_i32_e64 s9, s41, v47
	s_and_saveexec_b32 s4, s9
	s_cbranch_execz .LBB73_23
; %bb.22:                               ;   in Loop: Header=BB73_3 Depth=1
	v_ashrrev_i32_e32 v48, 31, v47
	s_wait_loadcnt 0x0
	s_delay_alu instid0(VALU_DEP_1) | instskip(NEXT) | instid1(VALU_DEP_1)
	v_lshlrev_b64_e32 v[19:20], 3, v[47:48]
	v_add_co_u32 v19, vcc_lo, s38, v19
	s_wait_alu 0xfffd
	s_delay_alu instid0(VALU_DEP_2)
	v_add_co_ci_u32_e64 v20, null, s39, v20, vcc_lo
	global_load_b64 v[19:20], v[19:20], off
.LBB73_23:                              ;   in Loop: Header=BB73_3 Depth=1
	s_wait_alu 0xfffe
	s_or_b32 exec_lo, exec_lo, s4
	v_add_nc_u32_e32 v45, s45, v34
	s_delay_alu instid0(VALU_DEP_1)
	v_cmp_gt_i32_e64 s8, s41, v45
	s_and_saveexec_b32 s4, s8
	s_cbranch_execz .LBB73_25
; %bb.24:                               ;   in Loop: Header=BB73_3 Depth=1
	v_ashrrev_i32_e32 v46, 31, v45
	s_wait_loadcnt 0x0
	s_delay_alu instid0(VALU_DEP_1) | instskip(NEXT) | instid1(VALU_DEP_1)
	v_lshlrev_b64_e32 v[21:22], 3, v[45:46]
	v_add_co_u32 v21, vcc_lo, s38, v21
	s_wait_alu 0xfffd
	s_delay_alu instid0(VALU_DEP_2)
	v_add_co_ci_u32_e64 v22, null, s39, v22, vcc_lo
	global_load_b64 v[21:22], v[21:22], off
.LBB73_25:                              ;   in Loop: Header=BB73_3 Depth=1
	s_wait_alu 0xfffe
	s_or_b32 exec_lo, exec_lo, s4
	v_add_nc_u32_e32 v43, s46, v34
	s_delay_alu instid0(VALU_DEP_1)
	v_cmp_gt_i32_e64 s7, s41, v43
	s_and_saveexec_b32 s4, s7
	s_cbranch_execz .LBB73_27
; %bb.26:                               ;   in Loop: Header=BB73_3 Depth=1
	v_ashrrev_i32_e32 v44, 31, v43
	s_wait_loadcnt 0x0
	s_delay_alu instid0(VALU_DEP_1) | instskip(NEXT) | instid1(VALU_DEP_1)
	v_lshlrev_b64_e32 v[23:24], 3, v[43:44]
	v_add_co_u32 v23, vcc_lo, s38, v23
	s_wait_alu 0xfffd
	s_delay_alu instid0(VALU_DEP_2)
	v_add_co_ci_u32_e64 v24, null, s39, v24, vcc_lo
	global_load_b64 v[23:24], v[23:24], off
.LBB73_27:                              ;   in Loop: Header=BB73_3 Depth=1
	s_wait_alu 0xfffe
	s_or_b32 exec_lo, exec_lo, s4
	v_add_nc_u32_e32 v41, s47, v34
	s_delay_alu instid0(VALU_DEP_1)
	v_cmp_gt_i32_e64 s6, s41, v41
	s_and_saveexec_b32 s4, s6
	s_cbranch_execz .LBB73_29
; %bb.28:                               ;   in Loop: Header=BB73_3 Depth=1
	v_ashrrev_i32_e32 v42, 31, v41
	s_wait_loadcnt 0x0
	s_delay_alu instid0(VALU_DEP_1) | instskip(NEXT) | instid1(VALU_DEP_1)
	v_lshlrev_b64_e32 v[25:26], 3, v[41:42]
	v_add_co_u32 v25, vcc_lo, s38, v25
	s_wait_alu 0xfffd
	s_delay_alu instid0(VALU_DEP_2)
	v_add_co_ci_u32_e64 v26, null, s39, v26, vcc_lo
	global_load_b64 v[25:26], v[25:26], off
.LBB73_29:                              ;   in Loop: Header=BB73_3 Depth=1
	s_wait_alu 0xfffe
	s_or_b32 exec_lo, exec_lo, s4
	v_add_nc_u32_e32 v39, s48, v34
	s_delay_alu instid0(VALU_DEP_1)
	v_cmp_gt_i32_e64 s5, s41, v39
	s_and_saveexec_b32 s4, s5
	s_cbranch_execz .LBB73_31
; %bb.30:                               ;   in Loop: Header=BB73_3 Depth=1
	v_ashrrev_i32_e32 v40, 31, v39
	s_wait_loadcnt 0x0
	s_delay_alu instid0(VALU_DEP_1) | instskip(NEXT) | instid1(VALU_DEP_1)
	v_lshlrev_b64_e32 v[27:28], 3, v[39:40]
	v_add_co_u32 v27, vcc_lo, s38, v27
	s_wait_alu 0xfffd
	s_delay_alu instid0(VALU_DEP_2)
	v_add_co_ci_u32_e64 v28, null, s39, v28, vcc_lo
	global_load_b64 v[27:28], v[27:28], off
.LBB73_31:                              ;   in Loop: Header=BB73_3 Depth=1
	s_wait_alu 0xfffe
	s_or_b32 exec_lo, exec_lo, s4
	v_add_nc_u32_e32 v37, s49, v34
	s_delay_alu instid0(VALU_DEP_1)
	v_cmp_gt_i32_e64 s4, s41, v37
	s_and_saveexec_b32 s19, s4
	s_cbranch_execz .LBB73_33
; %bb.32:                               ;   in Loop: Header=BB73_3 Depth=1
	v_ashrrev_i32_e32 v38, 31, v37
	s_wait_loadcnt 0x0
	s_delay_alu instid0(VALU_DEP_1) | instskip(NEXT) | instid1(VALU_DEP_1)
	v_lshlrev_b64_e32 v[29:30], 3, v[37:38]
	v_add_co_u32 v29, vcc_lo, s38, v29
	s_wait_alu 0xfffd
	s_delay_alu instid0(VALU_DEP_2)
	v_add_co_ci_u32_e64 v30, null, s39, v30, vcc_lo
	global_load_b64 v[29:30], v[29:30], off
.LBB73_33:                              ;   in Loop: Header=BB73_3 Depth=1
	s_wait_alu 0xfffe
	s_or_b32 exec_lo, exec_lo, s19
	v_add_nc_u32_e32 v35, s50, v34
	s_delay_alu instid0(VALU_DEP_1)
	v_cmp_gt_i32_e32 vcc_lo, s41, v35
	s_and_saveexec_b32 s20, vcc_lo
	s_cbranch_execnz .LBB73_50
; %bb.34:                               ;   in Loop: Header=BB73_3 Depth=1
	s_wait_alu 0xfffe
	s_or_b32 exec_lo, exec_lo, s20
	s_and_saveexec_b32 s57, s18
	s_cbranch_execnz .LBB73_51
.LBB73_35:                              ;   in Loop: Header=BB73_3 Depth=1
	s_wait_alu 0xfffe
	s_or_b32 exec_lo, exec_lo, s57
	s_and_saveexec_b32 s20, s17
	s_cbranch_execnz .LBB73_52
.LBB73_36:                              ;   in Loop: Header=BB73_3 Depth=1
	s_wait_alu 0xfffe
	s_or_b32 exec_lo, exec_lo, s20
	s_and_saveexec_b32 s19, s16
	s_cbranch_execnz .LBB73_53
.LBB73_37:                              ;   in Loop: Header=BB73_3 Depth=1
	s_wait_alu 0xfffe
	s_or_b32 exec_lo, exec_lo, s19
	s_and_saveexec_b32 s18, s15
	s_cbranch_execnz .LBB73_54
.LBB73_38:                              ;   in Loop: Header=BB73_3 Depth=1
	s_wait_alu 0xfffe
	s_or_b32 exec_lo, exec_lo, s18
	s_and_saveexec_b32 s17, s14
	s_cbranch_execnz .LBB73_55
.LBB73_39:                              ;   in Loop: Header=BB73_3 Depth=1
	s_wait_alu 0xfffe
	s_or_b32 exec_lo, exec_lo, s17
	s_and_saveexec_b32 s16, s13
	s_cbranch_execnz .LBB73_56
.LBB73_40:                              ;   in Loop: Header=BB73_3 Depth=1
	s_wait_alu 0xfffe
	s_or_b32 exec_lo, exec_lo, s16
	s_and_saveexec_b32 s15, s12
	s_cbranch_execnz .LBB73_57
.LBB73_41:                              ;   in Loop: Header=BB73_3 Depth=1
	s_wait_alu 0xfffe
	s_or_b32 exec_lo, exec_lo, s15
	s_and_saveexec_b32 s14, s11
	s_cbranch_execnz .LBB73_58
.LBB73_42:                              ;   in Loop: Header=BB73_3 Depth=1
	s_wait_alu 0xfffe
	s_or_b32 exec_lo, exec_lo, s14
	s_and_saveexec_b32 s13, s10
	s_cbranch_execnz .LBB73_59
.LBB73_43:                              ;   in Loop: Header=BB73_3 Depth=1
	s_wait_alu 0xfffe
	s_or_b32 exec_lo, exec_lo, s13
	s_and_saveexec_b32 s12, s9
	s_cbranch_execnz .LBB73_60
.LBB73_44:                              ;   in Loop: Header=BB73_3 Depth=1
	s_wait_alu 0xfffe
	s_or_b32 exec_lo, exec_lo, s12
	s_and_saveexec_b32 s11, s8
	s_cbranch_execnz .LBB73_61
.LBB73_45:                              ;   in Loop: Header=BB73_3 Depth=1
	s_wait_alu 0xfffe
	s_or_b32 exec_lo, exec_lo, s11
	s_and_saveexec_b32 s10, s7
	s_cbranch_execnz .LBB73_62
.LBB73_46:                              ;   in Loop: Header=BB73_3 Depth=1
	s_wait_alu 0xfffe
	s_or_b32 exec_lo, exec_lo, s10
	s_and_saveexec_b32 s9, s6
	s_cbranch_execnz .LBB73_63
.LBB73_47:                              ;   in Loop: Header=BB73_3 Depth=1
	s_wait_alu 0xfffe
	s_or_b32 exec_lo, exec_lo, s9
	s_and_saveexec_b32 s8, s5
	s_cbranch_execnz .LBB73_64
.LBB73_48:                              ;   in Loop: Header=BB73_3 Depth=1
	s_wait_alu 0xfffe
	s_or_b32 exec_lo, exec_lo, s8
	s_and_saveexec_b32 s7, s4
	s_cbranch_execnz .LBB73_65
.LBB73_49:                              ;   in Loop: Header=BB73_3 Depth=1
	s_wait_alu 0xfffe
	s_or_b32 exec_lo, exec_lo, s7
	s_and_saveexec_b32 s6, vcc_lo
	s_cbranch_execz .LBB73_2
	s_branch .LBB73_66
.LBB73_50:                              ;   in Loop: Header=BB73_3 Depth=1
	v_ashrrev_i32_e32 v36, 31, v35
	s_wait_loadcnt 0x0
	s_delay_alu instid0(VALU_DEP_1) | instskip(NEXT) | instid1(VALU_DEP_1)
	v_lshlrev_b64_e32 v[31:32], 3, v[35:36]
	v_add_co_u32 v31, s19, s38, v31
	s_wait_alu 0xf1ff
	s_delay_alu instid0(VALU_DEP_2)
	v_add_co_ci_u32_e64 v32, null, s39, v32, s19
	global_load_b64 v[31:32], v[31:32], off
	s_wait_alu 0xfffe
	s_or_b32 exec_lo, exec_lo, s20
	s_and_saveexec_b32 s57, s18
	s_cbranch_execz .LBB73_35
.LBB73_51:                              ;   in Loop: Header=BB73_3 Depth=1
	s_wait_loadcnt 0x0
	v_cmp_u_f64_e64 s20, v[1:2], v[1:2]
	s_wait_kmcnt 0x0
	v_cmp_eq_f64_e64 s18, s[22:23], v[1:2]
	v_cmp_gt_i32_e64 s19, s28, v34
	s_wait_alu 0xf1ff
	s_delay_alu instid0(VALU_DEP_3)
	v_add_co_ci_u32_e64 v65, null, 0, v65, s20
	v_cmp_gt_f64_e64 s20, s[22:23], v[1:2]
	s_and_b32 s18, s19, s18
	s_wait_alu 0xfffe
	v_add_co_ci_u32_e64 v67, null, 0, v67, s18
	v_add_co_ci_u32_e64 v66, null, 0, v66, s20
	s_or_b32 exec_lo, exec_lo, s57
	s_and_saveexec_b32 s20, s17
	s_cbranch_execz .LBB73_36
.LBB73_52:                              ;   in Loop: Header=BB73_3 Depth=1
	s_wait_loadcnt 0x0
	v_cmp_u_f64_e64 s19, v[3:4], v[3:4]
	s_wait_kmcnt 0x0
	v_cmp_eq_f64_e64 s17, s[22:23], v[3:4]
	v_cmp_gt_i32_e64 s18, s28, v63
	s_wait_alu 0xf1ff
	s_delay_alu instid0(VALU_DEP_3)
	v_add_co_ci_u32_e64 v65, null, 0, v65, s19
	v_cmp_gt_f64_e64 s19, s[22:23], v[3:4]
	s_and_b32 s17, s18, s17
	s_wait_alu 0xfffe
	v_add_co_ci_u32_e64 v67, null, 0, v67, s17
	v_add_co_ci_u32_e64 v66, null, 0, v66, s19
	s_or_b32 exec_lo, exec_lo, s20
	s_and_saveexec_b32 s19, s16
	s_cbranch_execz .LBB73_37
.LBB73_53:                              ;   in Loop: Header=BB73_3 Depth=1
	s_wait_loadcnt 0x0
	v_cmp_u_f64_e64 s18, v[5:6], v[5:6]
	s_wait_kmcnt 0x0
	v_cmp_eq_f64_e64 s16, s[22:23], v[5:6]
	v_cmp_gt_i32_e64 s17, s28, v61
	s_wait_alu 0xf1ff
	s_delay_alu instid0(VALU_DEP_3)
	v_add_co_ci_u32_e64 v65, null, 0, v65, s18
	v_cmp_gt_f64_e64 s18, s[22:23], v[5:6]
	s_and_b32 s16, s17, s16
	s_wait_alu 0xfffe
	v_add_co_ci_u32_e64 v67, null, 0, v67, s16
	v_add_co_ci_u32_e64 v66, null, 0, v66, s18
	s_or_b32 exec_lo, exec_lo, s19
	s_and_saveexec_b32 s18, s15
	s_cbranch_execz .LBB73_38
.LBB73_54:                              ;   in Loop: Header=BB73_3 Depth=1
	s_wait_loadcnt 0x0
	v_cmp_u_f64_e64 s17, v[7:8], v[7:8]
	s_wait_kmcnt 0x0
	v_cmp_eq_f64_e64 s15, s[22:23], v[7:8]
	v_cmp_gt_i32_e64 s16, s28, v59
	s_wait_alu 0xf1ff
	s_delay_alu instid0(VALU_DEP_3)
	v_add_co_ci_u32_e64 v65, null, 0, v65, s17
	v_cmp_gt_f64_e64 s17, s[22:23], v[7:8]
	s_and_b32 s15, s16, s15
	s_wait_alu 0xfffe
	v_add_co_ci_u32_e64 v67, null, 0, v67, s15
	v_add_co_ci_u32_e64 v66, null, 0, v66, s17
	s_or_b32 exec_lo, exec_lo, s18
	s_and_saveexec_b32 s17, s14
	s_cbranch_execz .LBB73_39
.LBB73_55:                              ;   in Loop: Header=BB73_3 Depth=1
	s_wait_loadcnt 0x0
	v_cmp_u_f64_e64 s16, v[9:10], v[9:10]
	s_wait_kmcnt 0x0
	v_cmp_eq_f64_e64 s14, s[22:23], v[9:10]
	v_cmp_gt_i32_e64 s15, s28, v57
	s_wait_alu 0xf1ff
	s_delay_alu instid0(VALU_DEP_3)
	v_add_co_ci_u32_e64 v65, null, 0, v65, s16
	v_cmp_gt_f64_e64 s16, s[22:23], v[9:10]
	s_and_b32 s14, s15, s14
	s_wait_alu 0xfffe
	v_add_co_ci_u32_e64 v67, null, 0, v67, s14
	v_add_co_ci_u32_e64 v66, null, 0, v66, s16
	s_or_b32 exec_lo, exec_lo, s17
	s_and_saveexec_b32 s16, s13
	s_cbranch_execz .LBB73_40
.LBB73_56:                              ;   in Loop: Header=BB73_3 Depth=1
	s_wait_loadcnt 0x0
	v_cmp_u_f64_e64 s15, v[11:12], v[11:12]
	s_wait_kmcnt 0x0
	v_cmp_eq_f64_e64 s13, s[22:23], v[11:12]
	v_cmp_gt_i32_e64 s14, s28, v55
	s_wait_alu 0xf1ff
	s_delay_alu instid0(VALU_DEP_3)
	v_add_co_ci_u32_e64 v65, null, 0, v65, s15
	v_cmp_gt_f64_e64 s15, s[22:23], v[11:12]
	s_and_b32 s13, s14, s13
	s_wait_alu 0xfffe
	v_add_co_ci_u32_e64 v67, null, 0, v67, s13
	v_add_co_ci_u32_e64 v66, null, 0, v66, s15
	s_or_b32 exec_lo, exec_lo, s16
	s_and_saveexec_b32 s15, s12
	s_cbranch_execz .LBB73_41
.LBB73_57:                              ;   in Loop: Header=BB73_3 Depth=1
	s_wait_loadcnt 0x0
	v_cmp_u_f64_e64 s14, v[13:14], v[13:14]
	s_wait_kmcnt 0x0
	v_cmp_eq_f64_e64 s12, s[22:23], v[13:14]
	v_cmp_gt_i32_e64 s13, s28, v53
	s_wait_alu 0xf1ff
	s_delay_alu instid0(VALU_DEP_3)
	v_add_co_ci_u32_e64 v65, null, 0, v65, s14
	v_cmp_gt_f64_e64 s14, s[22:23], v[13:14]
	s_and_b32 s12, s13, s12
	s_wait_alu 0xfffe
	v_add_co_ci_u32_e64 v67, null, 0, v67, s12
	v_add_co_ci_u32_e64 v66, null, 0, v66, s14
	s_or_b32 exec_lo, exec_lo, s15
	s_and_saveexec_b32 s14, s11
	s_cbranch_execz .LBB73_42
.LBB73_58:                              ;   in Loop: Header=BB73_3 Depth=1
	s_wait_loadcnt 0x0
	v_cmp_u_f64_e64 s13, v[15:16], v[15:16]
	s_wait_kmcnt 0x0
	v_cmp_eq_f64_e64 s11, s[22:23], v[15:16]
	v_cmp_gt_i32_e64 s12, s28, v51
	s_wait_alu 0xf1ff
	s_delay_alu instid0(VALU_DEP_3)
	v_add_co_ci_u32_e64 v65, null, 0, v65, s13
	v_cmp_gt_f64_e64 s13, s[22:23], v[15:16]
	s_and_b32 s11, s12, s11
	s_wait_alu 0xfffe
	v_add_co_ci_u32_e64 v67, null, 0, v67, s11
	v_add_co_ci_u32_e64 v66, null, 0, v66, s13
	s_or_b32 exec_lo, exec_lo, s14
	s_and_saveexec_b32 s13, s10
	s_cbranch_execz .LBB73_43
.LBB73_59:                              ;   in Loop: Header=BB73_3 Depth=1
	s_wait_loadcnt 0x0
	v_cmp_u_f64_e64 s12, v[17:18], v[17:18]
	s_wait_kmcnt 0x0
	v_cmp_eq_f64_e64 s10, s[22:23], v[17:18]
	v_cmp_gt_i32_e64 s11, s28, v49
	s_wait_alu 0xf1ff
	s_delay_alu instid0(VALU_DEP_3)
	v_add_co_ci_u32_e64 v65, null, 0, v65, s12
	v_cmp_gt_f64_e64 s12, s[22:23], v[17:18]
	s_and_b32 s10, s11, s10
	s_wait_alu 0xfffe
	v_add_co_ci_u32_e64 v67, null, 0, v67, s10
	v_add_co_ci_u32_e64 v66, null, 0, v66, s12
	s_or_b32 exec_lo, exec_lo, s13
	s_and_saveexec_b32 s12, s9
	s_cbranch_execz .LBB73_44
.LBB73_60:                              ;   in Loop: Header=BB73_3 Depth=1
	s_wait_loadcnt 0x0
	v_cmp_u_f64_e64 s11, v[19:20], v[19:20]
	s_wait_kmcnt 0x0
	v_cmp_eq_f64_e64 s9, s[22:23], v[19:20]
	v_cmp_gt_i32_e64 s10, s28, v47
	s_wait_alu 0xf1ff
	s_delay_alu instid0(VALU_DEP_3)
	v_add_co_ci_u32_e64 v65, null, 0, v65, s11
	v_cmp_gt_f64_e64 s11, s[22:23], v[19:20]
	s_and_b32 s9, s10, s9
	s_wait_alu 0xfffe
	v_add_co_ci_u32_e64 v67, null, 0, v67, s9
	v_add_co_ci_u32_e64 v66, null, 0, v66, s11
	s_or_b32 exec_lo, exec_lo, s12
	s_and_saveexec_b32 s11, s8
	s_cbranch_execz .LBB73_45
.LBB73_61:                              ;   in Loop: Header=BB73_3 Depth=1
	s_wait_loadcnt 0x0
	v_cmp_u_f64_e64 s10, v[21:22], v[21:22]
	s_wait_kmcnt 0x0
	v_cmp_eq_f64_e64 s8, s[22:23], v[21:22]
	v_cmp_gt_i32_e64 s9, s28, v45
	s_wait_alu 0xf1ff
	s_delay_alu instid0(VALU_DEP_3)
	v_add_co_ci_u32_e64 v65, null, 0, v65, s10
	v_cmp_gt_f64_e64 s10, s[22:23], v[21:22]
	s_and_b32 s8, s9, s8
	s_wait_alu 0xfffe
	v_add_co_ci_u32_e64 v67, null, 0, v67, s8
	v_add_co_ci_u32_e64 v66, null, 0, v66, s10
	s_or_b32 exec_lo, exec_lo, s11
	s_and_saveexec_b32 s10, s7
	s_cbranch_execz .LBB73_46
.LBB73_62:                              ;   in Loop: Header=BB73_3 Depth=1
	s_wait_loadcnt 0x0
	v_cmp_u_f64_e64 s9, v[23:24], v[23:24]
	s_wait_kmcnt 0x0
	v_cmp_eq_f64_e64 s7, s[22:23], v[23:24]
	v_cmp_gt_i32_e64 s8, s28, v43
	s_wait_alu 0xf1ff
	s_delay_alu instid0(VALU_DEP_3)
	v_add_co_ci_u32_e64 v65, null, 0, v65, s9
	v_cmp_gt_f64_e64 s9, s[22:23], v[23:24]
	s_and_b32 s7, s8, s7
	s_wait_alu 0xfffe
	v_add_co_ci_u32_e64 v67, null, 0, v67, s7
	v_add_co_ci_u32_e64 v66, null, 0, v66, s9
	s_or_b32 exec_lo, exec_lo, s10
	s_and_saveexec_b32 s9, s6
	s_cbranch_execz .LBB73_47
.LBB73_63:                              ;   in Loop: Header=BB73_3 Depth=1
	s_wait_loadcnt 0x0
	v_cmp_u_f64_e64 s8, v[25:26], v[25:26]
	s_wait_kmcnt 0x0
	v_cmp_eq_f64_e64 s6, s[22:23], v[25:26]
	v_cmp_gt_i32_e64 s7, s28, v41
	s_wait_alu 0xf1ff
	s_delay_alu instid0(VALU_DEP_3)
	v_add_co_ci_u32_e64 v65, null, 0, v65, s8
	v_cmp_gt_f64_e64 s8, s[22:23], v[25:26]
	s_and_b32 s6, s7, s6
	s_wait_alu 0xfffe
	v_add_co_ci_u32_e64 v67, null, 0, v67, s6
	v_add_co_ci_u32_e64 v66, null, 0, v66, s8
	s_or_b32 exec_lo, exec_lo, s9
	s_and_saveexec_b32 s8, s5
	s_cbranch_execz .LBB73_48
.LBB73_64:                              ;   in Loop: Header=BB73_3 Depth=1
	s_wait_loadcnt 0x0
	v_cmp_u_f64_e64 s7, v[27:28], v[27:28]
	s_wait_kmcnt 0x0
	v_cmp_eq_f64_e64 s5, s[22:23], v[27:28]
	v_cmp_gt_i32_e64 s6, s28, v39
	s_wait_alu 0xf1ff
	s_delay_alu instid0(VALU_DEP_3)
	v_add_co_ci_u32_e64 v65, null, 0, v65, s7
	v_cmp_gt_f64_e64 s7, s[22:23], v[27:28]
	s_and_b32 s5, s6, s5
	s_wait_alu 0xfffe
	v_add_co_ci_u32_e64 v67, null, 0, v67, s5
	v_add_co_ci_u32_e64 v66, null, 0, v66, s7
	s_or_b32 exec_lo, exec_lo, s8
	s_and_saveexec_b32 s7, s4
	s_cbranch_execz .LBB73_49
.LBB73_65:                              ;   in Loop: Header=BB73_3 Depth=1
	s_wait_loadcnt 0x0
	v_cmp_u_f64_e64 s6, v[29:30], v[29:30]
	s_wait_kmcnt 0x0
	v_cmp_eq_f64_e64 s4, s[22:23], v[29:30]
	v_cmp_gt_i32_e64 s5, s28, v37
	s_wait_alu 0xf1ff
	s_delay_alu instid0(VALU_DEP_3)
	v_add_co_ci_u32_e64 v65, null, 0, v65, s6
	v_cmp_gt_f64_e64 s6, s[22:23], v[29:30]
	s_and_b32 s4, s5, s4
	s_wait_alu 0xfffe
	v_add_co_ci_u32_e64 v67, null, 0, v67, s4
	v_add_co_ci_u32_e64 v66, null, 0, v66, s6
	s_or_b32 exec_lo, exec_lo, s7
	s_and_saveexec_b32 s6, vcc_lo
	s_cbranch_execz .LBB73_2
.LBB73_66:                              ;   in Loop: Header=BB73_3 Depth=1
	s_wait_loadcnt 0x0
	v_cmp_u_f64_e64 s5, v[31:32], v[31:32]
	s_wait_kmcnt 0x0
	v_cmp_eq_f64_e32 vcc_lo, s[22:23], v[31:32]
	v_cmp_gt_i32_e64 s4, s28, v35
	s_wait_alu 0xf1ff
	s_delay_alu instid0(VALU_DEP_3)
	v_add_co_ci_u32_e64 v65, null, 0, v65, s5
	v_cmp_gt_f64_e64 s5, s[22:23], v[31:32]
	s_and_b32 vcc_lo, s4, vcc_lo
	s_wait_alu 0xfffe
	v_add_co_ci_u32_e64 v67, null, 0, v67, vcc_lo
	v_add_co_ci_u32_e64 v66, null, 0, v66, s5
	s_branch .LBB73_2
.LBB73_67:
	v_mov_b32_e32 v34, 0
                                        ; implicit-def: $vgpr1_vgpr2
                                        ; implicit-def: $vgpr5_vgpr6
                                        ; implicit-def: $vgpr9_vgpr10
                                        ; implicit-def: $vgpr13_vgpr14
                                        ; implicit-def: $vgpr17_vgpr18
                                        ; implicit-def: $vgpr21_vgpr22
                                        ; implicit-def: $vgpr25_vgpr26
                                        ; implicit-def: $vgpr29_vgpr30
	v_lshlrev_b32_e32 v35, 2, v33
	s_cmp_lt_u32 s33, 2
	ds_store_b32 v35, v34
	s_cbranch_scc0 .LBB73_69
	s_branch .LBB73_73
.LBB73_68:
	v_add_nc_u32_e32 v34, v66, v67
	v_cmp_eq_u32_e64 s4, 0, v65
	v_lshlrev_b32_e32 v35, 2, v33
	s_cmp_lt_u32 s33, 2
	ds_store_b32 v35, v34
	s_cbranch_scc1 .LBB73_73
.LBB73_69:
	s_mov_b32 s5, s33
	s_branch .LBB73_71
.LBB73_70:                              ;   in Loop: Header=BB73_71 Depth=1
	s_or_b32 exec_lo, exec_lo, s7
	s_cmp_lt_u32 s5, 4
	s_mov_b32 s5, s6
	s_cbranch_scc1 .LBB73_73
.LBB73_71:                              ; =>This Inner Loop Header: Depth=1
	s_wait_alu 0xfffe
	s_lshr_b32 s6, s5, 1
	s_mov_b32 s7, exec_lo
	s_wait_loadcnt_dscnt 0x0
	s_barrier_signal -1
	s_barrier_wait -1
	global_inv scope:SCOPE_SE
	s_wait_alu 0xfffe
	v_cmpx_gt_u32_e64 s6, v33
	s_cbranch_execz .LBB73_70
; %bb.72:                               ;   in Loop: Header=BB73_71 Depth=1
	v_lshl_add_u32 v36, s6, 2, v35
	ds_load_b32 v36, v36
	s_wait_dscnt 0x0
	v_add_nc_u32_e32 v34, v36, v34
	ds_store_b32 v35, v34
	s_branch .LBB73_70
.LBB73_73:
	v_mov_b32_e32 v34, 0
	s_wait_loadcnt_dscnt 0x0
	s_barrier_signal -1
	s_barrier_wait -1
	global_inv scope:SCOPE_SE
	ds_load_b32 v35, v34
	s_mul_u64 s[6:7], s[26:27], s[30:31]
	s_wait_alu 0xfffe
	s_lshl_b64 s[8:9], s[6:7], 3
	s_xor_b32 s6, s4, -1
	s_wait_alu 0xfffe
	s_add_nc_u64 s[4:5], s[24:25], s[8:9]
	s_mov_b32 s7, exec_lo
	s_wait_dscnt 0x0
	v_readfirstlane_b32 s12, v35
	v_cmpx_eq_u32_e32 0, v33
	s_cbranch_execnz .LBB73_76
; %bb.74:
	s_wait_alu 0xfffe
	s_or_b32 exec_lo, exec_lo, s7
	s_and_saveexec_b32 s7, s6
	s_cbranch_execnz .LBB73_77
.LBB73_75:
	s_wait_alu 0xfffe
	s_or_b32 exec_lo, exec_lo, s7
	s_delay_alu instid0(SALU_CYCLE_1)
	s_and_not1_b32 vcc_lo, exec_lo, s52
	s_wait_alu 0xfffe
	s_cbranch_vccz .LBB73_78
	s_branch .LBB73_144
.LBB73_76:
	s_ashr_i32 s13, s12, 31
	s_wait_kmcnt 0x0
	v_dual_mov_b32 v36, s23 :: v_dual_mov_b32 v35, s22
	s_wait_alu 0xfffe
	s_lshl_b64 s[8:9], s[12:13], 3
	s_wait_alu 0xfffe
	s_add_nc_u64 s[8:9], s[4:5], s[8:9]
	global_store_b64 v34, v[35:36], s[8:9]
	s_or_b32 exec_lo, exec_lo, s7
	s_and_saveexec_b32 s7, s6
	s_cbranch_execz .LBB73_75
.LBB73_77:
	v_dual_mov_b32 v34, 0 :: v_dual_mov_b32 v35, 0x7ff80000
	s_add_nc_u64 s[4:5], s[4:5], s[36:37]
	global_store_b64 v34, v[34:35], s[4:5]
	s_wait_alu 0xfffe
	s_or_b32 exec_lo, exec_lo, s7
	s_delay_alu instid0(SALU_CYCLE_1)
	s_and_not1_b32 vcc_lo, exec_lo, s52
	s_wait_alu 0xfffe
	s_cbranch_vccnz .LBB73_144
.LBB73_78:
	s_clause 0x1
	s_load_b64 s[14:15], s[2:3], 0x30
	s_load_b256 s[4:11], s[2:3], 0x38
	s_load_b64 s[0:1], s[0:1], 0x4
	v_bfe_u32 v34, v0, 10, 10
	v_bfe_u32 v0, v0, 20, 10
	s_add_co_i32 s20, s51, 1
	s_wait_kmcnt 0x0
	s_lshl_b32 s22, s33, 1
	s_lshl_b32 s23, s33, 2
	;; [unrolled: 1-line block ×3, first 2 shown]
	s_ashr_i32 s3, s14, 31
	s_mul_u64 s[4:5], s[4:5], s[30:31]
	s_lshr_b32 s0, s0, 16
	s_mul_u64 s[10:11], s[10:11], s[30:31]
	s_mul_i32 s0, s0, s1
	s_mov_b32 s2, s14
	v_mul_lo_u32 v35, s0, v33
	s_ashr_i32 s17, s8, 31
	s_mov_b32 s16, s8
	s_mul_i32 s8, s15, s28
	s_mul_i32 s12, s12, s9
	s_wait_alu 0xfffe
	s_lshl_b64 s[4:5], s[4:5], 4
	s_lshl_b64 s[10:11], s[10:11], 4
	;; [unrolled: 1-line block ×3, first 2 shown]
	v_mad_u32_u24 v34, v34, s1, v35
	s_lshl_b64 s[14:15], s[16:17], 4
	s_ashr_i32 s9, s8, 31
	s_ashr_i32 s13, s12, 31
	s_wait_alu 0xfffe
	s_add_nc_u64 s[0:1], s[34:35], s[4:5]
	v_add_lshl_u32 v34, v34, v0, 4
	s_add_nc_u64 s[4:5], s[6:7], s[10:11]
	s_lshl_b64 s[6:7], s[8:9], 4
	s_lshl_b64 s[8:9], s[12:13], 4
	s_wait_alu 0xfffe
	s_add_nc_u64 s[0:1], s[0:1], s[2:3]
	v_add_nc_u32_e32 v0, 0x4800, v34
	v_add_nc_u32_e32 v65, 0x2800, v34
	;; [unrolled: 1-line block ×3, first 2 shown]
	s_add_nc_u64 s[2:3], s[4:5], s[14:15]
	s_wait_alu 0xfffe
	s_add_nc_u64 s[16:17], s[0:1], s[6:7]
	s_add_nc_u64 s[18:19], s[2:3], s[8:9]
	s_branch .LBB73_80
.LBB73_79:                              ;   in Loop: Header=BB73_80 Depth=1
	s_wait_alu 0xfffe
	s_or_b32 exec_lo, exec_lo, s0
	v_add_nc_u32_e32 v33, s40, v33
	s_add_co_i32 s20, s20, -1
	s_wait_alu 0xfffe
	s_cmp_eq_u32 s20, 0
	s_cbranch_scc1 .LBB73_144
.LBB73_80:                              ; =>This Inner Loop Header: Depth=1
	v_cmp_gt_i32_e32 vcc_lo, s41, v33
	v_ashrrev_i32_e32 v34, 31, v33
	s_and_saveexec_b32 s1, vcc_lo
	s_cbranch_execz .LBB73_82
; %bb.81:                               ;   in Loop: Header=BB73_80 Depth=1
	s_wait_loadcnt 0x0
	s_delay_alu instid0(VALU_DEP_1) | instskip(SKIP_1) | instid1(VALU_DEP_1)
	v_lshlrev_b64_e32 v[1:2], 4, v[33:34]
	s_wait_alu 0xfffe
	v_add_co_u32 v1, s0, s16, v1
	s_wait_alu 0xf1ff
	s_delay_alu instid0(VALU_DEP_2)
	v_add_co_ci_u32_e64 v2, null, s17, v2, s0
	global_load_b128 v[1:4], v[1:2], off
.LBB73_82:                              ;   in Loop: Header=BB73_80 Depth=1
	s_wait_alu 0xfffe
	s_or_b32 exec_lo, exec_lo, s1
	v_add_nc_u32_e32 v35, s33, v33
	s_delay_alu instid0(VALU_DEP_1)
	v_cmp_gt_i32_e64 s0, s41, v35
	v_ashrrev_i32_e32 v36, 31, v35
	s_and_saveexec_b32 s2, s0
	s_cbranch_execz .LBB73_84
; %bb.83:                               ;   in Loop: Header=BB73_80 Depth=1
	s_wait_loadcnt 0x0
	s_delay_alu instid0(VALU_DEP_1) | instskip(NEXT) | instid1(VALU_DEP_1)
	v_lshlrev_b64_e32 v[5:6], 4, v[35:36]
	v_add_co_u32 v5, s1, s16, v5
	s_wait_alu 0xf1ff
	s_delay_alu instid0(VALU_DEP_2)
	v_add_co_ci_u32_e64 v6, null, s17, v6, s1
	global_load_b128 v[5:8], v[5:6], off
.LBB73_84:                              ;   in Loop: Header=BB73_80 Depth=1
	s_wait_alu 0xfffe
	s_or_b32 exec_lo, exec_lo, s2
	v_add_nc_u32_e32 v39, s33, v35
	v_add_nc_u32_e32 v37, s22, v33
	s_delay_alu instid0(VALU_DEP_2) | instskip(NEXT) | instid1(VALU_DEP_2)
	v_cmp_gt_i32_e64 s1, s41, v39
	v_ashrrev_i32_e32 v38, 31, v37
	s_and_saveexec_b32 s3, s1
	s_cbranch_execz .LBB73_86
; %bb.85:                               ;   in Loop: Header=BB73_80 Depth=1
	s_wait_loadcnt 0x0
	s_delay_alu instid0(VALU_DEP_1) | instskip(NEXT) | instid1(VALU_DEP_1)
	v_lshlrev_b64_e32 v[9:10], 4, v[37:38]
	v_add_co_u32 v9, s2, s16, v9
	s_wait_alu 0xf1ff
	s_delay_alu instid0(VALU_DEP_2)
	v_add_co_ci_u32_e64 v10, null, s17, v10, s2
	global_load_b128 v[9:12], v[9:10], off
.LBB73_86:                              ;   in Loop: Header=BB73_80 Depth=1
	s_wait_alu 0xfffe
	s_or_b32 exec_lo, exec_lo, s3
	v_add_nc_u32_e32 v41, s33, v39
	v_add_nc_u32_e32 v39, s29, v33
	s_delay_alu instid0(VALU_DEP_2) | instskip(NEXT) | instid1(VALU_DEP_2)
	;; [unrolled: 19-line block ×7, first 2 shown]
	v_cmp_gt_i32_e64 s7, s41, v51
	v_ashrrev_i32_e32 v50, 31, v49
	s_and_saveexec_b32 s9, s7
	s_cbranch_execz .LBB73_98
; %bb.97:                               ;   in Loop: Header=BB73_80 Depth=1
	s_delay_alu instid0(VALU_DEP_1) | instskip(NEXT) | instid1(VALU_DEP_1)
	v_lshlrev_b64_e32 v[52:53], 4, v[49:50]
	v_add_co_u32 v52, s8, s16, v52
	s_wait_alu 0xf1ff
	s_delay_alu instid0(VALU_DEP_2)
	v_add_co_ci_u32_e64 v53, null, s17, v53, s8
	global_load_b128 v[52:55], v[52:53], off
	s_wait_loadcnt 0x0
	ds_store_2addr_b64 v0, v[52:53], v[54:55] offset1:1
.LBB73_98:                              ;   in Loop: Header=BB73_80 Depth=1
	s_wait_alu 0xfffe
	s_or_b32 exec_lo, exec_lo, s9
	v_add_nc_u32_e32 v53, s33, v51
	v_add_nc_u32_e32 v51, s44, v33
	s_delay_alu instid0(VALU_DEP_2) | instskip(NEXT) | instid1(VALU_DEP_2)
	v_cmp_gt_i32_e64 s8, s41, v53
	v_ashrrev_i32_e32 v52, 31, v51
	s_and_saveexec_b32 s10, s8
	s_cbranch_execz .LBB73_100
; %bb.99:                               ;   in Loop: Header=BB73_80 Depth=1
	s_delay_alu instid0(VALU_DEP_1) | instskip(NEXT) | instid1(VALU_DEP_1)
	v_lshlrev_b64_e32 v[54:55], 4, v[51:52]
	v_add_co_u32 v54, s9, s16, v54
	s_wait_alu 0xf1ff
	s_delay_alu instid0(VALU_DEP_2)
	v_add_co_ci_u32_e64 v55, null, s17, v55, s9
	global_load_b128 v[54:57], v[54:55], off
	s_wait_loadcnt 0x0
	ds_store_2addr_b64 v65, v[54:55], v[56:57] offset1:1
.LBB73_100:                             ;   in Loop: Header=BB73_80 Depth=1
	s_wait_alu 0xfffe
	s_or_b32 exec_lo, exec_lo, s10
	v_add_nc_u32_e32 v55, s33, v53
	v_add_nc_u32_e32 v53, s45, v33
	s_delay_alu instid0(VALU_DEP_2) | instskip(NEXT) | instid1(VALU_DEP_2)
	v_cmp_gt_i32_e64 s9, s41, v55
	v_ashrrev_i32_e32 v54, 31, v53
	s_and_saveexec_b32 s11, s9
	s_cbranch_execz .LBB73_102
; %bb.101:                              ;   in Loop: Header=BB73_80 Depth=1
	s_delay_alu instid0(VALU_DEP_1) | instskip(NEXT) | instid1(VALU_DEP_1)
	v_lshlrev_b64_e32 v[56:57], 4, v[53:54]
	v_add_co_u32 v56, s10, s16, v56
	s_wait_alu 0xf1ff
	s_delay_alu instid0(VALU_DEP_2)
	v_add_co_ci_u32_e64 v57, null, s17, v57, s10
	global_load_b128 v[56:59], v[56:57], off
	s_wait_loadcnt 0x0
	ds_store_2addr_b64 v66, v[56:57], v[58:59] offset1:1
.LBB73_102:                             ;   in Loop: Header=BB73_80 Depth=1
	s_wait_alu 0xfffe
	s_or_b32 exec_lo, exec_lo, s11
	v_add_nc_u32_e32 v57, s33, v55
	v_add_nc_u32_e32 v55, s46, v33
	s_delay_alu instid0(VALU_DEP_2) | instskip(NEXT) | instid1(VALU_DEP_2)
	v_cmp_gt_i32_e64 s10, s41, v57
	v_ashrrev_i32_e32 v56, 31, v55
	s_and_saveexec_b32 s12, s10
	s_cbranch_execz .LBB73_104
; %bb.103:                              ;   in Loop: Header=BB73_80 Depth=1
	s_delay_alu instid0(VALU_DEP_1) | instskip(NEXT) | instid1(VALU_DEP_1)
	v_lshlrev_b64_e32 v[58:59], 4, v[55:56]
	v_add_co_u32 v58, s11, s16, v58
	s_wait_alu 0xf1ff
	s_delay_alu instid0(VALU_DEP_2)
	v_add_co_ci_u32_e64 v59, null, s17, v59, s11
	global_load_b128 v[58:61], v[58:59], off
	s_wait_loadcnt 0x0
	scratch_store_b128 off, v[58:61], off
.LBB73_104:                             ;   in Loop: Header=BB73_80 Depth=1
	s_wait_alu 0xfffe
	s_or_b32 exec_lo, exec_lo, s12
	v_add_nc_u32_e32 v59, s33, v57
	v_add_nc_u32_e32 v57, s47, v33
	s_delay_alu instid0(VALU_DEP_2) | instskip(NEXT) | instid1(VALU_DEP_2)
	v_cmp_gt_i32_e64 s11, s41, v59
	v_ashrrev_i32_e32 v58, 31, v57
	s_and_saveexec_b32 s13, s11
	s_cbranch_execz .LBB73_106
; %bb.105:                              ;   in Loop: Header=BB73_80 Depth=1
	s_delay_alu instid0(VALU_DEP_1) | instskip(NEXT) | instid1(VALU_DEP_1)
	v_lshlrev_b64_e32 v[60:61], 4, v[57:58]
	v_add_co_u32 v60, s12, s16, v60
	s_wait_alu 0xf1ff
	s_delay_alu instid0(VALU_DEP_2)
	v_add_co_ci_u32_e64 v61, null, s17, v61, s12
	global_load_b128 v[60:63], v[60:61], off
	s_wait_loadcnt 0x0
	scratch_store_b128 off, v[60:63], off offset:16
.LBB73_106:                             ;   in Loop: Header=BB73_80 Depth=1
	s_wait_alu 0xfffe
	s_or_b32 exec_lo, exec_lo, s13
	v_add_nc_u32_e32 v61, s33, v59
	v_add_nc_u32_e32 v59, s48, v33
	s_delay_alu instid0(VALU_DEP_2) | instskip(NEXT) | instid1(VALU_DEP_2)
	v_cmp_gt_i32_e64 s12, s41, v61
	v_ashrrev_i32_e32 v60, 31, v59
	s_and_saveexec_b32 s14, s12
	s_cbranch_execz .LBB73_108
; %bb.107:                              ;   in Loop: Header=BB73_80 Depth=1
	s_delay_alu instid0(VALU_DEP_1) | instskip(NEXT) | instid1(VALU_DEP_1)
	v_lshlrev_b64_e32 v[62:63], 4, v[59:60]
	v_add_co_u32 v62, s13, s16, v62
	s_wait_alu 0xf1ff
	s_delay_alu instid0(VALU_DEP_2)
	v_add_co_ci_u32_e64 v63, null, s17, v63, s13
	global_load_b128 v[67:70], v[62:63], off
	s_wait_loadcnt 0x0
	scratch_store_b128 off, v[67:70], off offset:32
.LBB73_108:                             ;   in Loop: Header=BB73_80 Depth=1
	;; [unrolled: 20-line block ×3, first 2 shown]
	s_wait_alu 0xfffe
	s_or_b32 exec_lo, exec_lo, s15
	v_add_nc_u32_e32 v64, s33, v63
	v_add_nc_u32_e32 v63, s50, v33
	s_delay_alu instid0(VALU_DEP_2) | instskip(NEXT) | instid1(VALU_DEP_2)
	v_cmp_gt_i32_e64 s14, s41, v64
	v_ashrrev_i32_e32 v64, 31, v63
	s_and_saveexec_b32 s25, s14
	s_cbranch_execnz .LBB73_127
; %bb.111:                              ;   in Loop: Header=BB73_80 Depth=1
	s_wait_alu 0xfffe
	s_or_b32 exec_lo, exec_lo, s25
	s_and_saveexec_b32 s15, vcc_lo
	s_cbranch_execnz .LBB73_128
.LBB73_112:                             ;   in Loop: Header=BB73_80 Depth=1
	s_wait_alu 0xfffe
	s_or_b32 exec_lo, exec_lo, s15
	s_and_saveexec_b32 s15, s0
	s_cbranch_execnz .LBB73_129
.LBB73_113:                             ;   in Loop: Header=BB73_80 Depth=1
	s_wait_alu 0xfffe
	s_or_b32 exec_lo, exec_lo, s15
	s_and_saveexec_b32 s0, s1
	s_cbranch_execnz .LBB73_130
.LBB73_114:                             ;   in Loop: Header=BB73_80 Depth=1
	s_wait_alu 0xfffe
	s_or_b32 exec_lo, exec_lo, s0
	s_and_saveexec_b32 s0, s2
	s_cbranch_execnz .LBB73_131
.LBB73_115:                             ;   in Loop: Header=BB73_80 Depth=1
	s_wait_alu 0xfffe
	s_or_b32 exec_lo, exec_lo, s0
	s_and_saveexec_b32 s0, s3
	s_cbranch_execnz .LBB73_132
.LBB73_116:                             ;   in Loop: Header=BB73_80 Depth=1
	s_wait_alu 0xfffe
	s_or_b32 exec_lo, exec_lo, s0
	s_and_saveexec_b32 s0, s4
	s_cbranch_execnz .LBB73_133
.LBB73_117:                             ;   in Loop: Header=BB73_80 Depth=1
	s_wait_alu 0xfffe
	s_or_b32 exec_lo, exec_lo, s0
	s_and_saveexec_b32 s0, s5
	s_cbranch_execnz .LBB73_134
.LBB73_118:                             ;   in Loop: Header=BB73_80 Depth=1
	s_wait_alu 0xfffe
	s_or_b32 exec_lo, exec_lo, s0
	s_and_saveexec_b32 s0, s6
	s_cbranch_execnz .LBB73_135
.LBB73_119:                             ;   in Loop: Header=BB73_80 Depth=1
	s_wait_alu 0xfffe
	s_or_b32 exec_lo, exec_lo, s0
	s_and_saveexec_b32 s0, s7
	s_cbranch_execnz .LBB73_136
.LBB73_120:                             ;   in Loop: Header=BB73_80 Depth=1
	s_wait_alu 0xfffe
	s_or_b32 exec_lo, exec_lo, s0
	s_and_saveexec_b32 s0, s8
	s_cbranch_execnz .LBB73_137
.LBB73_121:                             ;   in Loop: Header=BB73_80 Depth=1
	s_wait_alu 0xfffe
	s_or_b32 exec_lo, exec_lo, s0
	s_and_saveexec_b32 s0, s9
	s_cbranch_execnz .LBB73_138
.LBB73_122:                             ;   in Loop: Header=BB73_80 Depth=1
	s_wait_alu 0xfffe
	s_or_b32 exec_lo, exec_lo, s0
	s_and_saveexec_b32 s0, s10
	s_cbranch_execnz .LBB73_139
.LBB73_123:                             ;   in Loop: Header=BB73_80 Depth=1
	s_wait_alu 0xfffe
	s_or_b32 exec_lo, exec_lo, s0
	s_and_saveexec_b32 s0, s11
	s_cbranch_execnz .LBB73_140
.LBB73_124:                             ;   in Loop: Header=BB73_80 Depth=1
	s_wait_alu 0xfffe
	s_or_b32 exec_lo, exec_lo, s0
	s_and_saveexec_b32 s0, s12
	s_cbranch_execnz .LBB73_141
.LBB73_125:                             ;   in Loop: Header=BB73_80 Depth=1
	s_wait_alu 0xfffe
	s_or_b32 exec_lo, exec_lo, s0
	s_and_saveexec_b32 s0, s13
	s_cbranch_execnz .LBB73_142
.LBB73_126:                             ;   in Loop: Header=BB73_80 Depth=1
	s_wait_alu 0xfffe
	s_or_b32 exec_lo, exec_lo, s0
	s_and_saveexec_b32 s0, s14
	s_cbranch_execz .LBB73_79
	s_branch .LBB73_143
.LBB73_127:                             ;   in Loop: Header=BB73_80 Depth=1
	s_delay_alu instid0(VALU_DEP_1) | instskip(NEXT) | instid1(VALU_DEP_1)
	v_lshlrev_b64_e32 v[67:68], 4, v[63:64]
	v_add_co_u32 v67, s15, s16, v67
	s_wait_alu 0xf1ff
	s_delay_alu instid0(VALU_DEP_2)
	v_add_co_ci_u32_e64 v68, null, s17, v68, s15
	global_load_b128 v[67:70], v[67:68], off
	s_wait_loadcnt 0x0
	scratch_store_b128 off, v[67:70], off offset:64
	s_wait_alu 0xfffe
	s_or_b32 exec_lo, exec_lo, s25
	s_and_saveexec_b32 s15, vcc_lo
	s_cbranch_execz .LBB73_112
.LBB73_128:                             ;   in Loop: Header=BB73_80 Depth=1
	v_lshlrev_b64_e32 v[67:68], 4, v[33:34]
	s_delay_alu instid0(VALU_DEP_1) | instskip(SKIP_1) | instid1(VALU_DEP_2)
	v_add_co_u32 v67, vcc_lo, s18, v67
	s_wait_alu 0xfffd
	v_add_co_ci_u32_e64 v68, null, s19, v68, vcc_lo
	s_wait_loadcnt 0x0
	global_store_b128 v[67:68], v[1:4], off
	s_wait_alu 0xfffe
	s_or_b32 exec_lo, exec_lo, s15
	s_and_saveexec_b32 s15, s0
	s_cbranch_execz .LBB73_113
.LBB73_129:                             ;   in Loop: Header=BB73_80 Depth=1
	v_lshlrev_b64_e32 v[34:35], 4, v[35:36]
	s_delay_alu instid0(VALU_DEP_1) | instskip(SKIP_1) | instid1(VALU_DEP_2)
	v_add_co_u32 v34, vcc_lo, s18, v34
	s_wait_alu 0xfffd
	v_add_co_ci_u32_e64 v35, null, s19, v35, vcc_lo
	s_wait_loadcnt 0x0
	global_store_b128 v[34:35], v[5:8], off
	s_wait_alu 0xfffe
	s_or_b32 exec_lo, exec_lo, s15
	s_and_saveexec_b32 s0, s1
	s_cbranch_execz .LBB73_114
.LBB73_130:                             ;   in Loop: Header=BB73_80 Depth=1
	v_lshlrev_b64_e32 v[34:35], 4, v[37:38]
	s_delay_alu instid0(VALU_DEP_1) | instskip(SKIP_1) | instid1(VALU_DEP_2)
	v_add_co_u32 v34, vcc_lo, s18, v34
	s_wait_alu 0xfffd
	v_add_co_ci_u32_e64 v35, null, s19, v35, vcc_lo
	s_wait_loadcnt 0x0
	global_store_b128 v[34:35], v[9:12], off
	s_wait_alu 0xfffe
	s_or_b32 exec_lo, exec_lo, s0
	s_and_saveexec_b32 s0, s2
	s_cbranch_execz .LBB73_115
.LBB73_131:                             ;   in Loop: Header=BB73_80 Depth=1
	v_lshlrev_b64_e32 v[34:35], 4, v[39:40]
	s_delay_alu instid0(VALU_DEP_1) | instskip(SKIP_1) | instid1(VALU_DEP_2)
	v_add_co_u32 v34, vcc_lo, s18, v34
	s_wait_alu 0xfffd
	v_add_co_ci_u32_e64 v35, null, s19, v35, vcc_lo
	s_wait_loadcnt 0x0
	global_store_b128 v[34:35], v[13:16], off
	s_wait_alu 0xfffe
	s_or_b32 exec_lo, exec_lo, s0
	s_and_saveexec_b32 s0, s3
	s_cbranch_execz .LBB73_116
.LBB73_132:                             ;   in Loop: Header=BB73_80 Depth=1
	v_lshlrev_b64_e32 v[34:35], 4, v[41:42]
	s_delay_alu instid0(VALU_DEP_1) | instskip(SKIP_1) | instid1(VALU_DEP_2)
	v_add_co_u32 v34, vcc_lo, s18, v34
	s_wait_alu 0xfffd
	v_add_co_ci_u32_e64 v35, null, s19, v35, vcc_lo
	s_wait_loadcnt 0x0
	global_store_b128 v[34:35], v[17:20], off
	s_wait_alu 0xfffe
	s_or_b32 exec_lo, exec_lo, s0
	s_and_saveexec_b32 s0, s4
	s_cbranch_execz .LBB73_117
.LBB73_133:                             ;   in Loop: Header=BB73_80 Depth=1
	v_lshlrev_b64_e32 v[34:35], 4, v[43:44]
	s_delay_alu instid0(VALU_DEP_1) | instskip(SKIP_1) | instid1(VALU_DEP_2)
	v_add_co_u32 v34, vcc_lo, s18, v34
	s_wait_alu 0xfffd
	v_add_co_ci_u32_e64 v35, null, s19, v35, vcc_lo
	s_wait_loadcnt 0x0
	global_store_b128 v[34:35], v[21:24], off
	s_wait_alu 0xfffe
	s_or_b32 exec_lo, exec_lo, s0
	s_and_saveexec_b32 s0, s5
	s_cbranch_execz .LBB73_118
.LBB73_134:                             ;   in Loop: Header=BB73_80 Depth=1
	v_lshlrev_b64_e32 v[34:35], 4, v[45:46]
	s_delay_alu instid0(VALU_DEP_1) | instskip(SKIP_1) | instid1(VALU_DEP_2)
	v_add_co_u32 v34, vcc_lo, s18, v34
	s_wait_alu 0xfffd
	v_add_co_ci_u32_e64 v35, null, s19, v35, vcc_lo
	s_wait_loadcnt 0x0
	global_store_b128 v[34:35], v[25:28], off
	s_wait_alu 0xfffe
	s_or_b32 exec_lo, exec_lo, s0
	s_and_saveexec_b32 s0, s6
	s_cbranch_execz .LBB73_119
.LBB73_135:                             ;   in Loop: Header=BB73_80 Depth=1
	v_lshlrev_b64_e32 v[34:35], 4, v[47:48]
	s_delay_alu instid0(VALU_DEP_1) | instskip(SKIP_1) | instid1(VALU_DEP_2)
	v_add_co_u32 v34, vcc_lo, s18, v34
	s_wait_alu 0xfffd
	v_add_co_ci_u32_e64 v35, null, s19, v35, vcc_lo
	s_wait_loadcnt 0x0
	global_store_b128 v[34:35], v[29:32], off
	s_wait_alu 0xfffe
	s_or_b32 exec_lo, exec_lo, s0
	s_and_saveexec_b32 s0, s7
	s_cbranch_execz .LBB73_120
.LBB73_136:                             ;   in Loop: Header=BB73_80 Depth=1
	ds_load_2addr_b64 v[34:37], v0 offset1:1
	v_lshlrev_b64_e32 v[38:39], 4, v[49:50]
	s_delay_alu instid0(VALU_DEP_1) | instskip(SKIP_1) | instid1(VALU_DEP_2)
	v_add_co_u32 v38, vcc_lo, s18, v38
	s_wait_alu 0xfffd
	v_add_co_ci_u32_e64 v39, null, s19, v39, vcc_lo
	s_wait_dscnt 0x0
	global_store_b128 v[38:39], v[34:37], off
	s_wait_alu 0xfffe
	s_or_b32 exec_lo, exec_lo, s0
	s_and_saveexec_b32 s0, s8
	s_cbranch_execz .LBB73_121
.LBB73_137:                             ;   in Loop: Header=BB73_80 Depth=1
	ds_load_2addr_b64 v[34:37], v65 offset1:1
	v_lshlrev_b64_e32 v[38:39], 4, v[51:52]
	s_delay_alu instid0(VALU_DEP_1) | instskip(SKIP_1) | instid1(VALU_DEP_2)
	v_add_co_u32 v38, vcc_lo, s18, v38
	s_wait_alu 0xfffd
	v_add_co_ci_u32_e64 v39, null, s19, v39, vcc_lo
	s_wait_dscnt 0x0
	global_store_b128 v[38:39], v[34:37], off
	s_wait_alu 0xfffe
	s_or_b32 exec_lo, exec_lo, s0
	s_and_saveexec_b32 s0, s9
	s_cbranch_execz .LBB73_122
.LBB73_138:                             ;   in Loop: Header=BB73_80 Depth=1
	ds_load_2addr_b64 v[34:37], v66 offset1:1
	v_lshlrev_b64_e32 v[38:39], 4, v[53:54]
	s_delay_alu instid0(VALU_DEP_1) | instskip(SKIP_1) | instid1(VALU_DEP_2)
	v_add_co_u32 v38, vcc_lo, s18, v38
	s_wait_alu 0xfffd
	v_add_co_ci_u32_e64 v39, null, s19, v39, vcc_lo
	s_wait_dscnt 0x0
	global_store_b128 v[38:39], v[34:37], off
	s_wait_alu 0xfffe
	s_or_b32 exec_lo, exec_lo, s0
	s_and_saveexec_b32 s0, s10
	s_cbranch_execz .LBB73_123
.LBB73_139:                             ;   in Loop: Header=BB73_80 Depth=1
	scratch_load_b128 v[34:37], off, off
	v_lshlrev_b64_e32 v[38:39], 4, v[55:56]
	s_delay_alu instid0(VALU_DEP_1) | instskip(SKIP_1) | instid1(VALU_DEP_2)
	v_add_co_u32 v38, vcc_lo, s18, v38
	s_wait_alu 0xfffd
	v_add_co_ci_u32_e64 v39, null, s19, v39, vcc_lo
	s_wait_loadcnt 0x0
	global_store_b128 v[38:39], v[34:37], off
	s_wait_alu 0xfffe
	s_or_b32 exec_lo, exec_lo, s0
	s_and_saveexec_b32 s0, s11
	s_cbranch_execz .LBB73_124
.LBB73_140:                             ;   in Loop: Header=BB73_80 Depth=1
	scratch_load_b128 v[34:37], off, off offset:16
	v_lshlrev_b64_e32 v[38:39], 4, v[57:58]
	s_delay_alu instid0(VALU_DEP_1) | instskip(SKIP_1) | instid1(VALU_DEP_2)
	v_add_co_u32 v38, vcc_lo, s18, v38
	s_wait_alu 0xfffd
	v_add_co_ci_u32_e64 v39, null, s19, v39, vcc_lo
	s_wait_loadcnt 0x0
	global_store_b128 v[38:39], v[34:37], off
	s_wait_alu 0xfffe
	s_or_b32 exec_lo, exec_lo, s0
	s_and_saveexec_b32 s0, s12
	s_cbranch_execz .LBB73_125
.LBB73_141:                             ;   in Loop: Header=BB73_80 Depth=1
	scratch_load_b128 v[34:37], off, off offset:32
	v_lshlrev_b64_e32 v[38:39], 4, v[59:60]
	s_delay_alu instid0(VALU_DEP_1) | instskip(SKIP_1) | instid1(VALU_DEP_2)
	v_add_co_u32 v38, vcc_lo, s18, v38
	s_wait_alu 0xfffd
	v_add_co_ci_u32_e64 v39, null, s19, v39, vcc_lo
	s_wait_loadcnt 0x0
	global_store_b128 v[38:39], v[34:37], off
	s_wait_alu 0xfffe
	s_or_b32 exec_lo, exec_lo, s0
	s_and_saveexec_b32 s0, s13
	s_cbranch_execz .LBB73_126
.LBB73_142:                             ;   in Loop: Header=BB73_80 Depth=1
	scratch_load_b128 v[34:37], off, off offset:48
	v_lshlrev_b64_e32 v[38:39], 4, v[61:62]
	s_delay_alu instid0(VALU_DEP_1) | instskip(SKIP_1) | instid1(VALU_DEP_2)
	v_add_co_u32 v38, vcc_lo, s18, v38
	s_wait_alu 0xfffd
	v_add_co_ci_u32_e64 v39, null, s19, v39, vcc_lo
	s_wait_loadcnt 0x0
	global_store_b128 v[38:39], v[34:37], off
	s_wait_alu 0xfffe
	s_or_b32 exec_lo, exec_lo, s0
	s_and_saveexec_b32 s0, s14
	s_cbranch_execz .LBB73_79
.LBB73_143:                             ;   in Loop: Header=BB73_80 Depth=1
	scratch_load_b128 v[34:37], off, off offset:64
	v_lshlrev_b64_e32 v[38:39], 4, v[63:64]
	s_delay_alu instid0(VALU_DEP_1) | instskip(SKIP_1) | instid1(VALU_DEP_2)
	v_add_co_u32 v38, vcc_lo, s18, v38
	s_wait_alu 0xfffd
	v_add_co_ci_u32_e64 v39, null, s19, v39, vcc_lo
	s_wait_loadcnt 0x0
	global_store_b128 v[38:39], v[34:37], off
	s_branch .LBB73_79
.LBB73_144:
	s_endpgm
	.section	.rodata,"a",@progbits
	.p2align	6, 0x0
	.amdhsa_kernel _ZN9rocsolver6v33100L10stedc_sortI19rocblas_complex_numIdEdPS3_S4_EEviPT0_lS6_lT1_iilT2_iil
		.amdhsa_group_segment_fixed_size 26624
		.amdhsa_private_segment_fixed_size 96
		.amdhsa_kernarg_size 344
		.amdhsa_user_sgpr_count 4
		.amdhsa_user_sgpr_dispatch_ptr 1
		.amdhsa_user_sgpr_queue_ptr 0
		.amdhsa_user_sgpr_kernarg_segment_ptr 1
		.amdhsa_user_sgpr_dispatch_id 0
		.amdhsa_user_sgpr_private_segment_size 0
		.amdhsa_wavefront_size32 1
		.amdhsa_uses_dynamic_stack 0
		.amdhsa_enable_private_segment 1
		.amdhsa_system_sgpr_workgroup_id_x 1
		.amdhsa_system_sgpr_workgroup_id_y 1
		.amdhsa_system_sgpr_workgroup_id_z 0
		.amdhsa_system_sgpr_workgroup_info 0
		.amdhsa_system_vgpr_workitem_id 2
		.amdhsa_next_free_vgpr 71
		.amdhsa_next_free_sgpr 58
		.amdhsa_reserve_vcc 1
		.amdhsa_float_round_mode_32 0
		.amdhsa_float_round_mode_16_64 0
		.amdhsa_float_denorm_mode_32 3
		.amdhsa_float_denorm_mode_16_64 3
		.amdhsa_fp16_overflow 0
		.amdhsa_workgroup_processor_mode 1
		.amdhsa_memory_ordered 1
		.amdhsa_forward_progress 1
		.amdhsa_inst_pref_size 54
		.amdhsa_round_robin_scheduling 0
		.amdhsa_exception_fp_ieee_invalid_op 0
		.amdhsa_exception_fp_denorm_src 0
		.amdhsa_exception_fp_ieee_div_zero 0
		.amdhsa_exception_fp_ieee_overflow 0
		.amdhsa_exception_fp_ieee_underflow 0
		.amdhsa_exception_fp_ieee_inexact 0
		.amdhsa_exception_int_div_zero 0
	.end_amdhsa_kernel
	.section	.text._ZN9rocsolver6v33100L10stedc_sortI19rocblas_complex_numIdEdPS3_S4_EEviPT0_lS6_lT1_iilT2_iil,"axG",@progbits,_ZN9rocsolver6v33100L10stedc_sortI19rocblas_complex_numIdEdPS3_S4_EEviPT0_lS6_lT1_iilT2_iil,comdat
.Lfunc_end73:
	.size	_ZN9rocsolver6v33100L10stedc_sortI19rocblas_complex_numIdEdPS3_S4_EEviPT0_lS6_lT1_iilT2_iil, .Lfunc_end73-_ZN9rocsolver6v33100L10stedc_sortI19rocblas_complex_numIdEdPS3_S4_EEviPT0_lS6_lT1_iilT2_iil
                                        ; -- End function
	.set _ZN9rocsolver6v33100L10stedc_sortI19rocblas_complex_numIdEdPS3_S4_EEviPT0_lS6_lT1_iilT2_iil.num_vgpr, 71
	.set _ZN9rocsolver6v33100L10stedc_sortI19rocblas_complex_numIdEdPS3_S4_EEviPT0_lS6_lT1_iilT2_iil.num_agpr, 0
	.set _ZN9rocsolver6v33100L10stedc_sortI19rocblas_complex_numIdEdPS3_S4_EEviPT0_lS6_lT1_iilT2_iil.numbered_sgpr, 58
	.set _ZN9rocsolver6v33100L10stedc_sortI19rocblas_complex_numIdEdPS3_S4_EEviPT0_lS6_lT1_iilT2_iil.num_named_barrier, 0
	.set _ZN9rocsolver6v33100L10stedc_sortI19rocblas_complex_numIdEdPS3_S4_EEviPT0_lS6_lT1_iilT2_iil.private_seg_size, 96
	.set _ZN9rocsolver6v33100L10stedc_sortI19rocblas_complex_numIdEdPS3_S4_EEviPT0_lS6_lT1_iilT2_iil.uses_vcc, 1
	.set _ZN9rocsolver6v33100L10stedc_sortI19rocblas_complex_numIdEdPS3_S4_EEviPT0_lS6_lT1_iilT2_iil.uses_flat_scratch, 0
	.set _ZN9rocsolver6v33100L10stedc_sortI19rocblas_complex_numIdEdPS3_S4_EEviPT0_lS6_lT1_iilT2_iil.has_dyn_sized_stack, 0
	.set _ZN9rocsolver6v33100L10stedc_sortI19rocblas_complex_numIdEdPS3_S4_EEviPT0_lS6_lT1_iilT2_iil.has_recursion, 0
	.set _ZN9rocsolver6v33100L10stedc_sortI19rocblas_complex_numIdEdPS3_S4_EEviPT0_lS6_lT1_iilT2_iil.has_indirect_call, 0
	.section	.AMDGPU.csdata,"",@progbits
; Kernel info:
; codeLenInByte = 6884
; TotalNumSgprs: 60
; NumVgprs: 71
; ScratchSize: 96
; MemoryBound: 1
; FloatMode: 240
; IeeeMode: 1
; LDSByteSize: 26624 bytes/workgroup (compile time only)
; SGPRBlocks: 0
; VGPRBlocks: 8
; NumSGPRsForWavesPerEU: 60
; NumVGPRsForWavesPerEU: 71
; Occupancy: 16
; WaveLimiterHint : 0
; COMPUTE_PGM_RSRC2:SCRATCH_EN: 1
; COMPUTE_PGM_RSRC2:USER_SGPR: 4
; COMPUTE_PGM_RSRC2:TRAP_HANDLER: 0
; COMPUTE_PGM_RSRC2:TGID_X_EN: 1
; COMPUTE_PGM_RSRC2:TGID_Y_EN: 1
; COMPUTE_PGM_RSRC2:TGID_Z_EN: 0
; COMPUTE_PGM_RSRC2:TIDIG_COMP_CNT: 2
	.text
	.p2alignl 7, 3214868480
	.fill 96, 4, 3214868480
	.section	.AMDGPU.gpr_maximums,"",@progbits
	.set amdgpu.max_num_vgpr, 184
	.set amdgpu.max_num_agpr, 0
	.set amdgpu.max_num_sgpr, 33
	.text
	.type	__hip_cuid_ad00b46f36953ab2,@object ; @__hip_cuid_ad00b46f36953ab2
	.section	.bss,"aw",@nobits
	.globl	__hip_cuid_ad00b46f36953ab2
__hip_cuid_ad00b46f36953ab2:
	.byte	0                               ; 0x0
	.size	__hip_cuid_ad00b46f36953ab2, 1

	.type	llvm.amdgcn.lds.offset.table,@object ; @llvm.amdgcn.lds.offset.table
	.section	.data.rel.ro,"aw",@progbits
	.p2align	4, 0x0
llvm.amdgcn.lds.offset.table:
	.long	0+16
	.long	0+20
	.long	0
	.long	0+24
	.long	0+28
	;; [unrolled: 1-line block ×8, first 2 shown]
	.long	0
	.long	0+24
	.long	0+28
	;; [unrolled: 1-line block ×6, first 2 shown]
	.size	llvm.amdgcn.lds.offset.table, 72

	.ident	"AMD clang version 22.0.0git (https://github.com/RadeonOpenCompute/llvm-project roc-7.2.4 26084 f58b06dce1f9c15707c5f808fd002e18c2accf7e)"
	.section	".note.GNU-stack","",@progbits
	.addrsig
	.addrsig_sym __hip_cuid_ad00b46f36953ab2
	.amdgpu_metadata
---
amdhsa.kernels:
  - .args:
      - .offset:         0
        .size:           4
        .value_kind:     by_value
      - .offset:         4
        .size:           4
        .value_kind:     by_value
      - .offset:         8
        .size:           4
        .value_kind:     by_value
      - .address_space:  global
        .offset:         16
        .size:           8
        .value_kind:     global_buffer
      - .offset:         24
        .size:           4
        .value_kind:     hidden_block_count_x
      - .offset:         28
        .size:           4
        .value_kind:     hidden_block_count_y
      - .offset:         32
        .size:           4
        .value_kind:     hidden_block_count_z
      - .offset:         36
        .size:           2
        .value_kind:     hidden_group_size_x
      - .offset:         38
        .size:           2
        .value_kind:     hidden_group_size_y
      - .offset:         40
        .size:           2
        .value_kind:     hidden_group_size_z
      - .offset:         42
        .size:           2
        .value_kind:     hidden_remainder_x
      - .offset:         44
        .size:           2
        .value_kind:     hidden_remainder_y
      - .offset:         46
        .size:           2
        .value_kind:     hidden_remainder_z
      - .offset:         64
        .size:           8
        .value_kind:     hidden_global_offset_x
      - .offset:         72
        .size:           8
        .value_kind:     hidden_global_offset_y
      - .offset:         80
        .size:           8
        .value_kind:     hidden_global_offset_z
      - .offset:         88
        .size:           2
        .value_kind:     hidden_grid_dims
    .group_segment_fixed_size: 0
    .kernarg_segment_align: 8
    .kernarg_segment_size: 280
    .language:       OpenCL C
    .language_version:
      - 2
      - 0
    .max_flat_workgroup_size: 512
    .name:           _ZN9rocsolver6v33100L19stedc_update_splitsEiiiPi
    .private_segment_fixed_size: 0
    .sgpr_count:     29
    .sgpr_spill_count: 0
    .symbol:         _ZN9rocsolver6v33100L19stedc_update_splitsEiiiPi.kd
    .uniform_work_group_size: 1
    .uses_dynamic_stack: false
    .vgpr_count:     10
    .vgpr_spill_count: 0
    .wavefront_size: 32
    .workgroup_processor_mode: 1
  - .args:
      - .address_space:  global
        .offset:         0
        .size:           8
        .value_kind:     global_buffer
      - .offset:         8
        .size:           4
        .value_kind:     by_value
      - .offset:         12
        .size:           4
        .value_kind:     by_value
      - .offset:         16
        .size:           4
        .value_kind:     by_value
      - .offset:         24
        .size:           4
        .value_kind:     hidden_block_count_x
      - .offset:         28
        .size:           4
        .value_kind:     hidden_block_count_y
      - .offset:         32
        .size:           4
        .value_kind:     hidden_block_count_z
      - .offset:         36
        .size:           2
        .value_kind:     hidden_group_size_x
      - .offset:         38
        .size:           2
        .value_kind:     hidden_group_size_y
      - .offset:         40
        .size:           2
        .value_kind:     hidden_group_size_z
      - .offset:         42
        .size:           2
        .value_kind:     hidden_remainder_x
      - .offset:         44
        .size:           2
        .value_kind:     hidden_remainder_y
      - .offset:         46
        .size:           2
        .value_kind:     hidden_remainder_z
      - .offset:         64
        .size:           8
        .value_kind:     hidden_global_offset_x
      - .offset:         72
        .size:           8
        .value_kind:     hidden_global_offset_y
      - .offset:         80
        .size:           8
        .value_kind:     hidden_global_offset_z
      - .offset:         88
        .size:           2
        .value_kind:     hidden_grid_dims
    .group_segment_fixed_size: 0
    .kernarg_segment_align: 8
    .kernarg_segment_size: 280
    .language:       OpenCL C
    .language_version:
      - 2
      - 0
    .max_flat_workgroup_size: 1024
    .name:           _ZN9rocsolver6v33100L10reset_infoIiiiEEvPT_T0_T1_S4_
    .private_segment_fixed_size: 0
    .sgpr_count:     9
    .sgpr_spill_count: 0
    .symbol:         _ZN9rocsolver6v33100L10reset_infoIiiiEEvPT_T0_T1_S4_.kd
    .uniform_work_group_size: 1
    .uses_dynamic_stack: false
    .vgpr_count:     5
    .vgpr_spill_count: 0
    .wavefront_size: 32
    .workgroup_processor_mode: 1
  - .args:
      - .address_space:  global
        .offset:         0
        .size:           8
        .value_kind:     global_buffer
      - .offset:         8
        .size:           8
        .value_kind:     by_value
      - .offset:         16
        .size:           4
        .value_kind:     by_value
      - .offset:         20
        .size:           4
        .value_kind:     by_value
      - .offset:         24
        .size:           4
        .value_kind:     hidden_block_count_x
      - .offset:         28
        .size:           4
        .value_kind:     hidden_block_count_y
      - .offset:         32
        .size:           4
        .value_kind:     hidden_block_count_z
      - .offset:         36
        .size:           2
        .value_kind:     hidden_group_size_x
      - .offset:         38
        .size:           2
        .value_kind:     hidden_group_size_y
      - .offset:         40
        .size:           2
        .value_kind:     hidden_group_size_z
      - .offset:         42
        .size:           2
        .value_kind:     hidden_remainder_x
      - .offset:         44
        .size:           2
        .value_kind:     hidden_remainder_y
      - .offset:         46
        .size:           2
        .value_kind:     hidden_remainder_z
      - .offset:         64
        .size:           8
        .value_kind:     hidden_global_offset_x
      - .offset:         72
        .size:           8
        .value_kind:     hidden_global_offset_y
      - .offset:         80
        .size:           8
        .value_kind:     hidden_global_offset_z
      - .offset:         88
        .size:           2
        .value_kind:     hidden_grid_dims
    .group_segment_fixed_size: 0
    .kernarg_segment_align: 8
    .kernarg_segment_size: 280
    .language:       OpenCL C
    .language_version:
      - 2
      - 0
    .max_flat_workgroup_size: 1024
    .name:           _ZN9rocsolver6v33100L16reset_batch_infoIfiiPfEEvT2_lT0_T1_
    .private_segment_fixed_size: 0
    .sgpr_count:     12
    .sgpr_spill_count: 0
    .symbol:         _ZN9rocsolver6v33100L16reset_batch_infoIfiiPfEEvT2_lT0_T1_.kd
    .uniform_work_group_size: 1
    .uses_dynamic_stack: false
    .vgpr_count:     3
    .vgpr_spill_count: 0
    .wavefront_size: 32
    .workgroup_processor_mode: 1
  - .args:
      - .offset:         0
        .size:           4
        .value_kind:     by_value
      - .address_space:  global
        .offset:         8
        .size:           8
        .value_kind:     global_buffer
      - .offset:         16
        .size:           8
        .value_kind:     by_value
      - .address_space:  global
        .offset:         24
        .size:           8
        .value_kind:     global_buffer
      - .offset:         32
        .size:           8
        .value_kind:     by_value
      - .address_space:  global
        .offset:         40
        .size:           8
        .value_kind:     global_buffer
      - .address_space:  global
        .offset:         48
        .size:           8
        .value_kind:     global_buffer
      - .offset:         56
        .size:           4
        .value_kind:     by_value
      - .offset:         60
        .size:           4
        .value_kind:     by_value
      - .offset:         64
        .size:           4
        .value_kind:     by_value
      - .offset:         68
        .size:           4
        .value_kind:     by_value
    .group_segment_fixed_size: 0
    .kernarg_segment_align: 8
    .kernarg_segment_size: 72
    .language:       OpenCL C
    .language_version:
      - 2
      - 0
    .max_flat_workgroup_size: 1024
    .name:           _ZN9rocsolver6v33100L12sterf_kernelIfEEviPT_lS3_lPiS4_iS2_S2_S2_
    .private_segment_fixed_size: 0
    .sgpr_count:     68
    .sgpr_spill_count: 0
    .symbol:         _ZN9rocsolver6v33100L12sterf_kernelIfEEviPT_lS3_lPiS4_iS2_S2_S2_.kd
    .uniform_work_group_size: 1
    .uses_dynamic_stack: false
    .vgpr_count:     25
    .vgpr_spill_count: 0
    .wavefront_size: 32
    .workgroup_processor_mode: 1
  - .args:
      - .offset:         0
        .size:           4
        .value_kind:     by_value
      - .offset:         4
        .size:           4
        .value_kind:     by_value
      - .offset:         8
        .size:           4
        .value_kind:     by_value
      - .offset:         12
        .size:           4
        .value_kind:     by_value
      - .offset:         16
        .size:           4
        .value_kind:     by_value
      - .address_space:  global
        .offset:         24
        .size:           8
        .value_kind:     global_buffer
      - .offset:         32
        .size:           8
        .value_kind:     by_value
      - .address_space:  global
        .offset:         40
        .size:           8
        .value_kind:     global_buffer
      - .offset:         48
        .size:           8
        .value_kind:     by_value
      - .address_space:  global
        .offset:         56
        .size:           8
        .value_kind:     global_buffer
      - .offset:         64
        .size:           8
        .value_kind:     by_value
      - .offset:         72
        .size:           4
        .value_kind:     by_value
      - .offset:         80
        .size:           8
        .value_kind:     by_value
      - .offset:         88
        .size:           4
        .value_kind:     by_value
      - .offset:         96
        .size:           4
        .value_kind:     hidden_block_count_x
      - .offset:         100
        .size:           4
        .value_kind:     hidden_block_count_y
      - .offset:         104
        .size:           4
        .value_kind:     hidden_block_count_z
      - .offset:         108
        .size:           2
        .value_kind:     hidden_group_size_x
      - .offset:         110
        .size:           2
        .value_kind:     hidden_group_size_y
      - .offset:         112
        .size:           2
        .value_kind:     hidden_group_size_z
      - .offset:         114
        .size:           2
        .value_kind:     hidden_remainder_x
      - .offset:         116
        .size:           2
        .value_kind:     hidden_remainder_y
      - .offset:         118
        .size:           2
        .value_kind:     hidden_remainder_z
      - .offset:         136
        .size:           8
        .value_kind:     hidden_global_offset_x
      - .offset:         144
        .size:           8
        .value_kind:     hidden_global_offset_y
      - .offset:         152
        .size:           8
        .value_kind:     hidden_global_offset_z
      - .offset:         160
        .size:           2
        .value_kind:     hidden_grid_dims
    .group_segment_fixed_size: 0
    .kernarg_segment_align: 8
    .kernarg_segment_size: 352
    .language:       OpenCL C
    .language_version:
      - 2
      - 0
    .max_flat_workgroup_size: 64
    .name:           _ZN9rocsolver6v33100L11lasr_kernelIffPfiEEv13rocblas_side_14rocblas_pivot_15rocblas_direct_T2_S6_PT0_lS8_lT1_lS6_lS6_
    .private_segment_fixed_size: 0
    .sgpr_count:     92
    .sgpr_spill_count: 0
    .symbol:         _ZN9rocsolver6v33100L11lasr_kernelIffPfiEEv13rocblas_side_14rocblas_pivot_15rocblas_direct_T2_S6_PT0_lS8_lT1_lS6_lS6_.kd
    .uniform_work_group_size: 1
    .uses_dynamic_stack: false
    .vgpr_count:     41
    .vgpr_spill_count: 0
    .wavefront_size: 32
    .workgroup_processor_mode: 1
  - .args:
      - .offset:         0
        .size:           4
        .value_kind:     by_value
      - .address_space:  global
        .offset:         8
        .size:           8
        .value_kind:     global_buffer
      - .offset:         16
        .size:           4
        .value_kind:     by_value
      - .address_space:  global
        .offset:         24
        .size:           8
        .value_kind:     global_buffer
      - .offset:         32
        .size:           4
        .value_kind:     by_value
      - .offset:         40
        .size:           4
        .value_kind:     hidden_block_count_x
      - .offset:         44
        .size:           4
        .value_kind:     hidden_block_count_y
      - .offset:         48
        .size:           4
        .value_kind:     hidden_block_count_z
      - .offset:         52
        .size:           2
        .value_kind:     hidden_group_size_x
      - .offset:         54
        .size:           2
        .value_kind:     hidden_group_size_y
      - .offset:         56
        .size:           2
        .value_kind:     hidden_group_size_z
      - .offset:         58
        .size:           2
        .value_kind:     hidden_remainder_x
      - .offset:         60
        .size:           2
        .value_kind:     hidden_remainder_y
      - .offset:         62
        .size:           2
        .value_kind:     hidden_remainder_z
      - .offset:         80
        .size:           8
        .value_kind:     hidden_global_offset_x
      - .offset:         88
        .size:           8
        .value_kind:     hidden_global_offset_y
      - .offset:         96
        .size:           8
        .value_kind:     hidden_global_offset_z
      - .offset:         104
        .size:           2
        .value_kind:     hidden_grid_dims
    .group_segment_fixed_size: 0
    .kernarg_segment_align: 8
    .kernarg_segment_size: 296
    .language:       OpenCL C
    .language_version:
      - 2
      - 0
    .max_flat_workgroup_size: 1024
    .name:           _ZN9rocsolver6v33100L11swap_kernelIfiEEvT0_PT_S2_S4_S2_
    .private_segment_fixed_size: 0
    .sgpr_count:     18
    .sgpr_spill_count: 0
    .symbol:         _ZN9rocsolver6v33100L11swap_kernelIfiEEvT0_PT_S2_S4_S2_.kd
    .uniform_work_group_size: 1
    .uses_dynamic_stack: false
    .vgpr_count:     9
    .vgpr_spill_count: 0
    .wavefront_size: 32
    .workgroup_processor_mode: 1
  - .args:
      - .offset:         0
        .size:           4
        .value_kind:     by_value
      - .address_space:  global
        .offset:         8
        .size:           8
        .value_kind:     global_buffer
      - .offset:         16
        .size:           8
        .value_kind:     by_value
      - .address_space:  global
        .offset:         24
        .size:           8
        .value_kind:     global_buffer
      - .offset:         32
        .size:           8
        .value_kind:     by_value
      - .address_space:  global
        .offset:         40
        .size:           8
        .value_kind:     global_buffer
      - .offset:         48
        .size:           4
        .value_kind:     by_value
      - .offset:         52
        .size:           4
        .value_kind:     by_value
      - .offset:         56
        .size:           8
        .value_kind:     by_value
      - .address_space:  global
        .offset:         64
        .size:           8
        .value_kind:     global_buffer
      - .address_space:  global
        .offset:         72
        .size:           8
        .value_kind:     global_buffer
      - .offset:         80
        .size:           4
        .value_kind:     by_value
      - .offset:         84
        .size:           4
        .value_kind:     by_value
      - .offset:         88
        .size:           4
        .value_kind:     by_value
      - .offset:         92
        .size:           4
        .value_kind:     by_value
      - .offset:         96
        .size:           4
        .value_kind:     hidden_block_count_x
      - .offset:         100
        .size:           4
        .value_kind:     hidden_block_count_y
      - .offset:         104
        .size:           4
        .value_kind:     hidden_block_count_z
      - .offset:         108
        .size:           2
        .value_kind:     hidden_group_size_x
      - .offset:         110
        .size:           2
        .value_kind:     hidden_group_size_y
      - .offset:         112
        .size:           2
        .value_kind:     hidden_group_size_z
      - .offset:         114
        .size:           2
        .value_kind:     hidden_remainder_x
      - .offset:         116
        .size:           2
        .value_kind:     hidden_remainder_y
      - .offset:         118
        .size:           2
        .value_kind:     hidden_remainder_z
      - .offset:         136
        .size:           8
        .value_kind:     hidden_global_offset_x
      - .offset:         144
        .size:           8
        .value_kind:     hidden_global_offset_y
      - .offset:         152
        .size:           8
        .value_kind:     hidden_global_offset_z
      - .offset:         160
        .size:           2
        .value_kind:     hidden_grid_dims
    .group_segment_fixed_size: 36
    .kernarg_segment_align: 8
    .kernarg_segment_size: 352
    .language:       OpenCL C
    .language_version:
      - 2
      - 0
    .max_flat_workgroup_size: 1024
    .name:           _ZN9rocsolver6v33100L12steqr_kernelIffPfEEviPT0_lS4_lT1_iilPiS4_iS3_S3_S3_
    .private_segment_fixed_size: 0
    .sgpr_count:     37
    .sgpr_spill_count: 0
    .symbol:         _ZN9rocsolver6v33100L12steqr_kernelIffPfEEviPT0_lS4_lT1_iilPiS4_iS3_S3_S3_.kd
    .uniform_work_group_size: 1
    .uses_dynamic_stack: false
    .vgpr_count:     180
    .vgpr_spill_count: 0
    .wavefront_size: 32
    .workgroup_processor_mode: 1
  - .args:
      - .offset:         0
        .size:           4
        .value_kind:     by_value
      - .offset:         4
        .size:           4
        .value_kind:     by_value
      - .address_space:  global
        .offset:         8
        .size:           8
        .value_kind:     global_buffer
      - .offset:         16
        .size:           4
        .value_kind:     by_value
      - .offset:         20
        .size:           4
        .value_kind:     by_value
      - .offset:         24
        .size:           8
        .value_kind:     by_value
      - .offset:         32
        .size:           4
        .value_kind:     hidden_block_count_x
      - .offset:         36
        .size:           4
        .value_kind:     hidden_block_count_y
      - .offset:         40
        .size:           4
        .value_kind:     hidden_block_count_z
      - .offset:         44
        .size:           2
        .value_kind:     hidden_group_size_x
      - .offset:         46
        .size:           2
        .value_kind:     hidden_group_size_y
      - .offset:         48
        .size:           2
        .value_kind:     hidden_group_size_z
      - .offset:         50
        .size:           2
        .value_kind:     hidden_remainder_x
      - .offset:         52
        .size:           2
        .value_kind:     hidden_remainder_y
      - .offset:         54
        .size:           2
        .value_kind:     hidden_remainder_z
      - .offset:         72
        .size:           8
        .value_kind:     hidden_global_offset_x
      - .offset:         80
        .size:           8
        .value_kind:     hidden_global_offset_y
      - .offset:         88
        .size:           8
        .value_kind:     hidden_global_offset_z
      - .offset:         96
        .size:           2
        .value_kind:     hidden_grid_dims
    .group_segment_fixed_size: 0
    .kernarg_segment_align: 8
    .kernarg_segment_size: 288
    .language:       OpenCL C
    .language_version:
      - 2
      - 0
    .max_flat_workgroup_size: 1024
    .name:           _ZN9rocsolver6v33100L10init_identIfPfEEviiT0_iil
    .private_segment_fixed_size: 0
    .sgpr_count:     10
    .sgpr_spill_count: 0
    .symbol:         _ZN9rocsolver6v33100L10init_identIfPfEEviiT0_iil.kd
    .uniform_work_group_size: 1
    .uses_dynamic_stack: false
    .vgpr_count:     5
    .vgpr_spill_count: 0
    .wavefront_size: 32
    .workgroup_processor_mode: 1
  - .args:
      - .offset:         0
        .size:           4
        .value_kind:     by_value
      - .offset:         4
        .size:           4
        .value_kind:     by_value
      - .offset:         8
        .size:           4
        .value_kind:     by_value
      - .address_space:  global
        .offset:         16
        .size:           8
        .value_kind:     global_buffer
      - .offset:         24
        .size:           8
        .value_kind:     by_value
      - .address_space:  global
        .offset:         32
        .size:           8
        .value_kind:     global_buffer
      - .offset:         40
        .size:           8
        .value_kind:     by_value
      - .offset:         48
        .size:           4
        .value_kind:     by_value
      - .address_space:  global
        .offset:         56
        .size:           8
        .value_kind:     global_buffer
      - .offset:         64
        .size:           4
        .value_kind:     hidden_block_count_x
      - .offset:         68
        .size:           4
        .value_kind:     hidden_block_count_y
      - .offset:         72
        .size:           4
        .value_kind:     hidden_block_count_z
      - .offset:         76
        .size:           2
        .value_kind:     hidden_group_size_x
      - .offset:         78
        .size:           2
        .value_kind:     hidden_group_size_y
      - .offset:         80
        .size:           2
        .value_kind:     hidden_group_size_z
      - .offset:         82
        .size:           2
        .value_kind:     hidden_remainder_x
      - .offset:         84
        .size:           2
        .value_kind:     hidden_remainder_y
      - .offset:         86
        .size:           2
        .value_kind:     hidden_remainder_z
      - .offset:         104
        .size:           8
        .value_kind:     hidden_global_offset_x
      - .offset:         112
        .size:           8
        .value_kind:     hidden_global_offset_y
      - .offset:         120
        .size:           8
        .value_kind:     hidden_global_offset_z
      - .offset:         128
        .size:           2
        .value_kind:     hidden_grid_dims
    .group_segment_fixed_size: 0
    .kernarg_segment_align: 8
    .kernarg_segment_size: 320
    .language:       OpenCL C
    .language_version:
      - 2
      - 0
    .max_flat_workgroup_size: 512
    .name:           _ZN9rocsolver6v33100L19stedc_divide_kernelIfEEviiiPT_lS3_liPi
    .private_segment_fixed_size: 0
    .sgpr_count:     18
    .sgpr_spill_count: 0
    .symbol:         _ZN9rocsolver6v33100L19stedc_divide_kernelIfEEviiiPT_lS3_liPi.kd
    .uniform_work_group_size: 1
    .uses_dynamic_stack: false
    .vgpr_count:     14
    .vgpr_spill_count: 0
    .wavefront_size: 32
    .workgroup_processor_mode: 1
  - .args:
      - .offset:         0
        .size:           4
        .value_kind:     by_value
      - .offset:         4
        .size:           4
        .value_kind:     by_value
      - .address_space:  global
        .offset:         8
        .size:           8
        .value_kind:     global_buffer
      - .offset:         16
        .size:           8
        .value_kind:     by_value
      - .address_space:  global
        .offset:         24
        .size:           8
        .value_kind:     global_buffer
      - .offset:         32
        .size:           8
        .value_kind:     by_value
      - .address_space:  global
        .offset:         40
        .size:           8
        .value_kind:     global_buffer
      - .offset:         48
        .size:           4
        .value_kind:     by_value
      - .offset:         52
        .size:           4
        .value_kind:     by_value
      - .offset:         56
        .size:           8
        .value_kind:     by_value
      - .address_space:  global
        .offset:         64
        .size:           8
        .value_kind:     global_buffer
      - .address_space:  global
        .offset:         72
        .size:           8
        .value_kind:     global_buffer
      - .address_space:  global
        .offset:         80
        .size:           8
        .value_kind:     global_buffer
      - .offset:         88
        .size:           4
        .value_kind:     by_value
      - .offset:         92
        .size:           4
        .value_kind:     by_value
      - .offset:         96
        .size:           4
        .value_kind:     by_value
      - .offset:         104
        .size:           4
        .value_kind:     hidden_block_count_x
      - .offset:         108
        .size:           4
        .value_kind:     hidden_block_count_y
      - .offset:         112
        .size:           4
        .value_kind:     hidden_block_count_z
      - .offset:         116
        .size:           2
        .value_kind:     hidden_group_size_x
      - .offset:         118
        .size:           2
        .value_kind:     hidden_group_size_y
      - .offset:         120
        .size:           2
        .value_kind:     hidden_group_size_z
      - .offset:         122
        .size:           2
        .value_kind:     hidden_remainder_x
      - .offset:         124
        .size:           2
        .value_kind:     hidden_remainder_y
      - .offset:         126
        .size:           2
        .value_kind:     hidden_remainder_z
      - .offset:         144
        .size:           8
        .value_kind:     hidden_global_offset_x
      - .offset:         152
        .size:           8
        .value_kind:     hidden_global_offset_y
      - .offset:         160
        .size:           8
        .value_kind:     hidden_global_offset_z
      - .offset:         168
        .size:           2
        .value_kind:     hidden_grid_dims
    .group_segment_fixed_size: 36
    .kernarg_segment_align: 8
    .kernarg_segment_size: 360
    .language:       OpenCL C
    .language_version:
      - 2
      - 0
    .max_flat_workgroup_size: 512
    .name:           _ZN9rocsolver6v33100L18stedc_solve_kernelIfEEviiPT_lS3_lS3_iilPiS3_S4_S2_S2_S2_
    .private_segment_fixed_size: 0
    .sgpr_count:     36
    .sgpr_spill_count: 0
    .symbol:         _ZN9rocsolver6v33100L18stedc_solve_kernelIfEEviiPT_lS3_lS3_iilPiS3_S4_S2_S2_S2_.kd
    .uniform_work_group_size: 1
    .uses_dynamic_stack: false
    .vgpr_count:     180
    .vgpr_spill_count: 0
    .wavefront_size: 32
    .workgroup_processor_mode: 1
  - .args:
      - .offset:         0
        .size:           4
        .value_kind:     by_value
      - .offset:         4
        .size:           4
        .value_kind:     by_value
      - .address_space:  global
        .offset:         8
        .size:           8
        .value_kind:     global_buffer
      - .offset:         16
        .size:           8
        .value_kind:     by_value
      - .address_space:  global
        .offset:         24
        .size:           8
        .value_kind:     global_buffer
      - .offset:         32
        .size:           8
        .value_kind:     by_value
      - .address_space:  global
        .offset:         40
        .size:           8
        .value_kind:     global_buffer
      - .offset:         48
        .size:           4
        .value_kind:     by_value
      - .offset:         52
        .size:           4
        .value_kind:     by_value
      - .offset:         56
        .size:           8
        .value_kind:     by_value
      - .address_space:  global
        .offset:         64
        .size:           8
        .value_kind:     global_buffer
      - .address_space:  global
        .offset:         72
        .size:           8
        .value_kind:     global_buffer
      - .offset:         80
        .size:           4
        .value_kind:     by_value
      - .offset:         88
        .size:           4
        .value_kind:     hidden_block_count_x
      - .offset:         92
        .size:           4
        .value_kind:     hidden_block_count_y
      - .offset:         96
        .size:           4
        .value_kind:     hidden_block_count_z
      - .offset:         100
        .size:           2
        .value_kind:     hidden_group_size_x
      - .offset:         102
        .size:           2
        .value_kind:     hidden_group_size_y
      - .offset:         104
        .size:           2
        .value_kind:     hidden_group_size_z
      - .offset:         106
        .size:           2
        .value_kind:     hidden_remainder_x
      - .offset:         108
        .size:           2
        .value_kind:     hidden_remainder_y
      - .offset:         110
        .size:           2
        .value_kind:     hidden_remainder_z
      - .offset:         128
        .size:           8
        .value_kind:     hidden_global_offset_x
      - .offset:         136
        .size:           8
        .value_kind:     hidden_global_offset_y
      - .offset:         144
        .size:           8
        .value_kind:     hidden_global_offset_z
      - .offset:         152
        .size:           2
        .value_kind:     hidden_grid_dims
    .group_segment_fixed_size: 4096
    .kernarg_segment_align: 8
    .kernarg_segment_size: 344
    .language:       OpenCL C
    .language_version:
      - 2
      - 0
    .max_flat_workgroup_size: 512
    .name:           _ZN9rocsolver6v33100L37stedc_mergePrepare_DeflateZero_kernelIfEEviiPT_lS3_lS3_iilS3_PiS2_
    .private_segment_fixed_size: 0
    .sgpr_count:     40
    .sgpr_spill_count: 0
    .symbol:         _ZN9rocsolver6v33100L37stedc_mergePrepare_DeflateZero_kernelIfEEviiPT_lS3_lS3_iilS3_PiS2_.kd
    .uniform_work_group_size: 1
    .uses_dynamic_stack: false
    .vgpr_count:     14
    .vgpr_spill_count: 0
    .wavefront_size: 32
    .workgroup_processor_mode: 1
  - .args:
      - .offset:         0
        .size:           4
        .value_kind:     by_value
      - .offset:         4
        .size:           4
        .value_kind:     by_value
      - .address_space:  global
        .offset:         8
        .size:           8
        .value_kind:     global_buffer
      - .offset:         16
        .size:           8
        .value_kind:     by_value
      - .address_space:  global
        .offset:         24
        .size:           8
        .value_kind:     global_buffer
      - .address_space:  global
        .offset:         32
        .size:           8
        .value_kind:     global_buffer
      - .offset:         40
        .size:           4
        .value_kind:     hidden_block_count_x
      - .offset:         44
        .size:           4
        .value_kind:     hidden_block_count_y
      - .offset:         48
        .size:           4
        .value_kind:     hidden_block_count_z
      - .offset:         52
        .size:           2
        .value_kind:     hidden_group_size_x
      - .offset:         54
        .size:           2
        .value_kind:     hidden_group_size_y
      - .offset:         56
        .size:           2
        .value_kind:     hidden_group_size_z
      - .offset:         58
        .size:           2
        .value_kind:     hidden_remainder_x
      - .offset:         60
        .size:           2
        .value_kind:     hidden_remainder_y
      - .offset:         62
        .size:           2
        .value_kind:     hidden_remainder_z
      - .offset:         80
        .size:           8
        .value_kind:     hidden_global_offset_x
      - .offset:         88
        .size:           8
        .value_kind:     hidden_global_offset_y
      - .offset:         96
        .size:           8
        .value_kind:     hidden_global_offset_z
      - .offset:         104
        .size:           2
        .value_kind:     hidden_grid_dims
    .group_segment_fixed_size: 4096
    .kernarg_segment_align: 8
    .kernarg_segment_size: 296
    .language:       OpenCL C
    .language_version:
      - 2
      - 0
    .max_flat_workgroup_size: 512
    .name:           _ZN9rocsolver6v33100L31stedc_mergePrepare_SortD_kernelIfEEviiPT_lS3_Pi
    .private_segment_fixed_size: 0
    .sgpr_count:     43
    .sgpr_spill_count: 0
    .symbol:         _ZN9rocsolver6v33100L31stedc_mergePrepare_SortD_kernelIfEEviiPT_lS3_Pi.kd
    .uniform_work_group_size: 1
    .uses_dynamic_stack: false
    .vgpr_count:     34
    .vgpr_spill_count: 0
    .wavefront_size: 32
    .workgroup_processor_mode: 1
  - .args:
      - .offset:         0
        .size:           4
        .value_kind:     by_value
      - .offset:         4
        .size:           4
        .value_kind:     by_value
      - .address_space:  global
        .offset:         8
        .size:           8
        .value_kind:     global_buffer
      - .offset:         16
        .size:           8
        .value_kind:     by_value
      - .address_space:  global
        .offset:         24
        .size:           8
        .value_kind:     global_buffer
      - .address_space:  global
        .offset:         32
        .size:           8
        .value_kind:     global_buffer
      - .offset:         40
        .size:           4
        .value_kind:     hidden_block_count_x
      - .offset:         44
        .size:           4
        .value_kind:     hidden_block_count_y
      - .offset:         48
        .size:           4
        .value_kind:     hidden_block_count_z
      - .offset:         52
        .size:           2
        .value_kind:     hidden_group_size_x
      - .offset:         54
        .size:           2
        .value_kind:     hidden_group_size_y
      - .offset:         56
        .size:           2
        .value_kind:     hidden_group_size_z
      - .offset:         58
        .size:           2
        .value_kind:     hidden_remainder_x
      - .offset:         60
        .size:           2
        .value_kind:     hidden_remainder_y
      - .offset:         62
        .size:           2
        .value_kind:     hidden_remainder_z
      - .offset:         80
        .size:           8
        .value_kind:     hidden_global_offset_x
      - .offset:         88
        .size:           8
        .value_kind:     hidden_global_offset_y
      - .offset:         96
        .size:           8
        .value_kind:     hidden_global_offset_z
      - .offset:         104
        .size:           2
        .value_kind:     hidden_grid_dims
    .group_segment_fixed_size: 0
    .kernarg_segment_align: 8
    .kernarg_segment_size: 296
    .language:       OpenCL C
    .language_version:
      - 2
      - 0
    .max_flat_workgroup_size: 512
    .name:           _ZN9rocsolver6v33100L38stedc_mergePrepare_SetCandFlags_kernelIfEEviiPT_lS3_Pi
    .private_segment_fixed_size: 0
    .sgpr_count:     22
    .sgpr_spill_count: 0
    .symbol:         _ZN9rocsolver6v33100L38stedc_mergePrepare_SetCandFlags_kernelIfEEviiPT_lS3_Pi.kd
    .uniform_work_group_size: 1
    .uses_dynamic_stack: false
    .vgpr_count:     16
    .vgpr_spill_count: 0
    .wavefront_size: 32
    .workgroup_processor_mode: 1
  - .args:
      - .offset:         0
        .size:           4
        .value_kind:     by_value
      - .offset:         4
        .size:           4
        .value_kind:     by_value
      - .address_space:  global
        .offset:         8
        .size:           8
        .value_kind:     global_buffer
      - .offset:         16
        .size:           8
        .value_kind:     by_value
      - .address_space:  global
        .offset:         24
        .size:           8
        .value_kind:     global_buffer
      - .address_space:  global
        .offset:         32
        .size:           8
        .value_kind:     global_buffer
      - .offset:         40
        .size:           4
        .value_kind:     hidden_block_count_x
      - .offset:         44
        .size:           4
        .value_kind:     hidden_block_count_y
      - .offset:         48
        .size:           4
        .value_kind:     hidden_block_count_z
      - .offset:         52
        .size:           2
        .value_kind:     hidden_group_size_x
      - .offset:         54
        .size:           2
        .value_kind:     hidden_group_size_y
      - .offset:         56
        .size:           2
        .value_kind:     hidden_group_size_z
      - .offset:         58
        .size:           2
        .value_kind:     hidden_remainder_x
      - .offset:         60
        .size:           2
        .value_kind:     hidden_remainder_y
      - .offset:         62
        .size:           2
        .value_kind:     hidden_remainder_z
      - .offset:         80
        .size:           8
        .value_kind:     hidden_global_offset_x
      - .offset:         88
        .size:           8
        .value_kind:     hidden_global_offset_y
      - .offset:         96
        .size:           8
        .value_kind:     hidden_global_offset_z
      - .offset:         104
        .size:           2
        .value_kind:     hidden_grid_dims
    .group_segment_fixed_size: 32768
    .kernarg_segment_align: 8
    .kernarg_segment_size: 296
    .language:       OpenCL C
    .language_version:
      - 2
      - 0
    .max_flat_workgroup_size: 512
    .name:           _ZN9rocsolver6v33100L38stedc_mergePrepare_DeflateCount_kernelIfEEviiPT_lS3_Pi
    .private_segment_fixed_size: 0
    .sgpr_count:     30
    .sgpr_spill_count: 0
    .symbol:         _ZN9rocsolver6v33100L38stedc_mergePrepare_DeflateCount_kernelIfEEviiPT_lS3_Pi.kd
    .uniform_work_group_size: 1
    .uses_dynamic_stack: false
    .vgpr_count:     16
    .vgpr_spill_count: 0
    .wavefront_size: 32
    .workgroup_processor_mode: 1
  - .args:
      - .offset:         0
        .size:           4
        .value_kind:     by_value
      - .offset:         4
        .size:           4
        .value_kind:     by_value
      - .address_space:  global
        .offset:         8
        .size:           8
        .value_kind:     global_buffer
      - .offset:         16
        .size:           8
        .value_kind:     by_value
      - .address_space:  global
        .offset:         24
        .size:           8
        .value_kind:     global_buffer
      - .address_space:  global
        .offset:         32
        .size:           8
        .value_kind:     global_buffer
      - .offset:         40
        .size:           4
        .value_kind:     hidden_block_count_x
      - .offset:         44
        .size:           4
        .value_kind:     hidden_block_count_y
      - .offset:         48
        .size:           4
        .value_kind:     hidden_block_count_z
      - .offset:         52
        .size:           2
        .value_kind:     hidden_group_size_x
      - .offset:         54
        .size:           2
        .value_kind:     hidden_group_size_y
      - .offset:         56
        .size:           2
        .value_kind:     hidden_group_size_z
      - .offset:         58
        .size:           2
        .value_kind:     hidden_remainder_x
      - .offset:         60
        .size:           2
        .value_kind:     hidden_remainder_y
      - .offset:         62
        .size:           2
        .value_kind:     hidden_remainder_z
      - .offset:         80
        .size:           8
        .value_kind:     hidden_global_offset_x
      - .offset:         88
        .size:           8
        .value_kind:     hidden_global_offset_y
      - .offset:         96
        .size:           8
        .value_kind:     hidden_global_offset_z
      - .offset:         104
        .size:           2
        .value_kind:     hidden_grid_dims
    .group_segment_fixed_size: 32768
    .kernarg_segment_align: 8
    .kernarg_segment_size: 296
    .language:       OpenCL C
    .language_version:
      - 2
      - 0
    .max_flat_workgroup_size: 512
    .name:           _ZN9rocsolver6v33100L38stedc_mergePrepare_DeflateApply_kernelIfEEviiPT_lS3_Pi
    .private_segment_fixed_size: 0
    .sgpr_count:     26
    .sgpr_spill_count: 0
    .symbol:         _ZN9rocsolver6v33100L38stedc_mergePrepare_DeflateApply_kernelIfEEviiPT_lS3_Pi.kd
    .uniform_work_group_size: 1
    .uses_dynamic_stack: false
    .vgpr_count:     18
    .vgpr_spill_count: 0
    .wavefront_size: 32
    .workgroup_processor_mode: 1
  - .args:
      - .offset:         0
        .size:           4
        .value_kind:     by_value
      - .offset:         4
        .size:           4
        .value_kind:     by_value
      - .address_space:  global
        .offset:         8
        .size:           8
        .value_kind:     global_buffer
      - .offset:         16
        .size:           4
        .value_kind:     by_value
      - .offset:         20
        .size:           4
        .value_kind:     by_value
      - .offset:         24
        .size:           8
        .value_kind:     by_value
      - .address_space:  global
        .offset:         32
        .size:           8
        .value_kind:     global_buffer
      - .address_space:  global
        .offset:         40
        .size:           8
        .value_kind:     global_buffer
      - .offset:         48
        .size:           4
        .value_kind:     hidden_block_count_x
      - .offset:         52
        .size:           4
        .value_kind:     hidden_block_count_y
      - .offset:         56
        .size:           4
        .value_kind:     hidden_block_count_z
      - .offset:         60
        .size:           2
        .value_kind:     hidden_group_size_x
      - .offset:         62
        .size:           2
        .value_kind:     hidden_group_size_y
      - .offset:         64
        .size:           2
        .value_kind:     hidden_group_size_z
      - .offset:         66
        .size:           2
        .value_kind:     hidden_remainder_x
      - .offset:         68
        .size:           2
        .value_kind:     hidden_remainder_y
      - .offset:         70
        .size:           2
        .value_kind:     hidden_remainder_z
      - .offset:         88
        .size:           8
        .value_kind:     hidden_global_offset_x
      - .offset:         96
        .size:           8
        .value_kind:     hidden_global_offset_y
      - .offset:         104
        .size:           8
        .value_kind:     hidden_global_offset_z
      - .offset:         112
        .size:           2
        .value_kind:     hidden_grid_dims
    .group_segment_fixed_size: 0
    .kernarg_segment_align: 8
    .kernarg_segment_size: 304
    .language:       OpenCL C
    .language_version:
      - 2
      - 0
    .max_flat_workgroup_size: 512
    .name:           _ZN9rocsolver6v33100L24stedc_mergeRotate_kernelIfEEviiPT_iilS3_Pi
    .private_segment_fixed_size: 0
    .sgpr_count:     43
    .sgpr_spill_count: 0
    .symbol:         _ZN9rocsolver6v33100L24stedc_mergeRotate_kernelIfEEviiPT_iilS3_Pi.kd
    .uniform_work_group_size: 1
    .uses_dynamic_stack: false
    .vgpr_count:     118
    .vgpr_spill_count: 0
    .wavefront_size: 32
    .workgroup_processor_mode: 1
  - .args:
      - .offset:         0
        .size:           4
        .value_kind:     by_value
      - .offset:         4
        .size:           4
        .value_kind:     by_value
      - .address_space:  global
        .offset:         8
        .size:           8
        .value_kind:     global_buffer
      - .offset:         16
        .size:           8
        .value_kind:     by_value
      - .address_space:  global
        .offset:         24
        .size:           8
        .value_kind:     global_buffer
      - .address_space:  global
        .offset:         32
        .size:           8
        .value_kind:     global_buffer
      - .offset:         40
        .size:           4
        .value_kind:     hidden_block_count_x
      - .offset:         44
        .size:           4
        .value_kind:     hidden_block_count_y
      - .offset:         48
        .size:           4
        .value_kind:     hidden_block_count_z
      - .offset:         52
        .size:           2
        .value_kind:     hidden_group_size_x
      - .offset:         54
        .size:           2
        .value_kind:     hidden_group_size_y
      - .offset:         56
        .size:           2
        .value_kind:     hidden_group_size_z
      - .offset:         58
        .size:           2
        .value_kind:     hidden_remainder_x
      - .offset:         60
        .size:           2
        .value_kind:     hidden_remainder_y
      - .offset:         62
        .size:           2
        .value_kind:     hidden_remainder_z
      - .offset:         80
        .size:           8
        .value_kind:     hidden_global_offset_x
      - .offset:         88
        .size:           8
        .value_kind:     hidden_global_offset_y
      - .offset:         96
        .size:           8
        .value_kind:     hidden_global_offset_z
      - .offset:         104
        .size:           2
        .value_kind:     hidden_grid_dims
    .group_segment_fixed_size: 4096
    .kernarg_segment_align: 8
    .kernarg_segment_size: 296
    .language:       OpenCL C
    .language_version:
      - 2
      - 0
    .max_flat_workgroup_size: 512
    .name:           _ZN9rocsolver6v33100L31stedc_mergeValues_SortDZ_kernelIfEEviiPT_lS3_Pi
    .private_segment_fixed_size: 0
    .sgpr_count:     52
    .sgpr_spill_count: 0
    .symbol:         _ZN9rocsolver6v33100L31stedc_mergeValues_SortDZ_kernelIfEEviiPT_lS3_Pi.kd
    .uniform_work_group_size: 1
    .uses_dynamic_stack: false
    .vgpr_count:     34
    .vgpr_spill_count: 0
    .wavefront_size: 32
    .workgroup_processor_mode: 1
  - .args:
      - .offset:         0
        .size:           4
        .value_kind:     by_value
      - .offset:         4
        .size:           4
        .value_kind:     by_value
      - .address_space:  global
        .offset:         8
        .size:           8
        .value_kind:     global_buffer
      - .offset:         16
        .size:           8
        .value_kind:     by_value
      - .address_space:  global
        .offset:         24
        .size:           8
        .value_kind:     global_buffer
      - .address_space:  global
        .offset:         32
        .size:           8
        .value_kind:     global_buffer
      - .address_space:  global
        .offset:         40
        .size:           8
        .value_kind:     global_buffer
      - .offset:         48
        .size:           4
        .value_kind:     hidden_block_count_x
      - .offset:         52
        .size:           4
        .value_kind:     hidden_block_count_y
      - .offset:         56
        .size:           4
        .value_kind:     hidden_block_count_z
      - .offset:         60
        .size:           2
        .value_kind:     hidden_group_size_x
      - .offset:         62
        .size:           2
        .value_kind:     hidden_group_size_y
      - .offset:         64
        .size:           2
        .value_kind:     hidden_group_size_z
      - .offset:         66
        .size:           2
        .value_kind:     hidden_remainder_x
      - .offset:         68
        .size:           2
        .value_kind:     hidden_remainder_y
      - .offset:         70
        .size:           2
        .value_kind:     hidden_remainder_z
      - .offset:         88
        .size:           8
        .value_kind:     hidden_global_offset_x
      - .offset:         96
        .size:           8
        .value_kind:     hidden_global_offset_y
      - .offset:         104
        .size:           8
        .value_kind:     hidden_global_offset_z
      - .offset:         112
        .size:           2
        .value_kind:     hidden_grid_dims
    .group_segment_fixed_size: 0
    .kernarg_segment_align: 8
    .kernarg_segment_size: 304
    .language:       OpenCL C
    .language_version:
      - 2
      - 0
    .max_flat_workgroup_size: 512
    .name:           _ZN9rocsolver6v33100L30stedc_mergeValues_copyD_kernelIfEEviiPT_lS3_S3_Pi
    .private_segment_fixed_size: 0
    .sgpr_count:     22
    .sgpr_spill_count: 0
    .symbol:         _ZN9rocsolver6v33100L30stedc_mergeValues_copyD_kernelIfEEviiPT_lS3_S3_Pi.kd
    .uniform_work_group_size: 1
    .uses_dynamic_stack: false
    .vgpr_count:     5
    .vgpr_spill_count: 0
    .wavefront_size: 32
    .workgroup_processor_mode: 1
  - .args:
      - .offset:         0
        .size:           4
        .value_kind:     by_value
      - .address_space:  global
        .offset:         8
        .size:           8
        .value_kind:     global_buffer
      - .offset:         16
        .size:           4
        .value_kind:     by_value
      - .offset:         20
        .size:           4
        .value_kind:     by_value
      - .offset:         24
        .size:           8
        .value_kind:     by_value
      - .address_space:  global
        .offset:         32
        .size:           8
        .value_kind:     global_buffer
      - .offset:         40
        .size:           4
        .value_kind:     by_value
      - .offset:         44
        .size:           4
        .value_kind:     by_value
      - .offset:         48
        .size:           8
        .value_kind:     by_value
      - .offset:         56
        .size:           4
        .value_kind:     hidden_block_count_x
      - .offset:         60
        .size:           4
        .value_kind:     hidden_block_count_y
      - .offset:         64
        .size:           4
        .value_kind:     hidden_block_count_z
      - .offset:         68
        .size:           2
        .value_kind:     hidden_group_size_x
      - .offset:         70
        .size:           2
        .value_kind:     hidden_group_size_y
      - .offset:         72
        .size:           2
        .value_kind:     hidden_group_size_z
      - .offset:         74
        .size:           2
        .value_kind:     hidden_remainder_x
      - .offset:         76
        .size:           2
        .value_kind:     hidden_remainder_y
      - .offset:         78
        .size:           2
        .value_kind:     hidden_remainder_z
      - .offset:         96
        .size:           8
        .value_kind:     hidden_global_offset_x
      - .offset:         104
        .size:           8
        .value_kind:     hidden_global_offset_y
      - .offset:         112
        .size:           8
        .value_kind:     hidden_global_offset_z
      - .offset:         120
        .size:           2
        .value_kind:     hidden_grid_dims
    .group_segment_fixed_size: 0
    .kernarg_segment_align: 8
    .kernarg_segment_size: 312
    .language:       OpenCL C
    .language_version:
      - 2
      - 0
    .max_flat_workgroup_size: 512
    .name:           _ZN9rocsolver6v33100L11stedc_copyCIfPfS2_EEviT0_iilT1_iil
    .private_segment_fixed_size: 0
    .sgpr_count:     42
    .sgpr_spill_count: 0
    .symbol:         _ZN9rocsolver6v33100L11stedc_copyCIfPfS2_EEviT0_iilT1_iil.kd
    .uniform_work_group_size: 1
    .uses_dynamic_stack: false
    .vgpr_count:     50
    .vgpr_spill_count: 0
    .wavefront_size: 32
    .workgroup_processor_mode: 1
  - .args:
      - .offset:         0
        .size:           4
        .value_kind:     by_value
      - .address_space:  global
        .offset:         8
        .size:           8
        .value_kind:     global_buffer
      - .offset:         16
        .size:           4
        .value_kind:     by_value
      - .offset:         20
        .size:           4
        .value_kind:     by_value
      - .offset:         24
        .size:           8
        .value_kind:     by_value
      - .address_space:  global
        .offset:         32
        .size:           8
        .value_kind:     global_buffer
      - .offset:         40
        .size:           4
        .value_kind:     by_value
      - .offset:         44
        .size:           4
        .value_kind:     by_value
      - .offset:         48
        .size:           8
        .value_kind:     by_value
      - .address_space:  global
        .offset:         56
        .size:           8
        .value_kind:     global_buffer
      - .offset:         64
        .size:           4
        .value_kind:     hidden_block_count_x
      - .offset:         68
        .size:           4
        .value_kind:     hidden_block_count_y
      - .offset:         72
        .size:           4
        .value_kind:     hidden_block_count_z
      - .offset:         76
        .size:           2
        .value_kind:     hidden_group_size_x
      - .offset:         78
        .size:           2
        .value_kind:     hidden_group_size_y
      - .offset:         80
        .size:           2
        .value_kind:     hidden_group_size_z
      - .offset:         82
        .size:           2
        .value_kind:     hidden_remainder_x
      - .offset:         84
        .size:           2
        .value_kind:     hidden_remainder_y
      - .offset:         86
        .size:           2
        .value_kind:     hidden_remainder_z
      - .offset:         104
        .size:           8
        .value_kind:     hidden_global_offset_x
      - .offset:         112
        .size:           8
        .value_kind:     hidden_global_offset_y
      - .offset:         120
        .size:           8
        .value_kind:     hidden_global_offset_z
      - .offset:         128
        .size:           2
        .value_kind:     hidden_grid_dims
    .group_segment_fixed_size: 0
    .kernarg_segment_align: 8
    .kernarg_segment_size: 320
    .language:       OpenCL C
    .language_version:
      - 2
      - 0
    .max_flat_workgroup_size: 512
    .name:           _ZN9rocsolver6v33100L16stedc_reshuffleCIfPfS2_EEviT0_iilT1_iilPi
    .private_segment_fixed_size: 0
    .sgpr_count:     42
    .sgpr_spill_count: 0
    .symbol:         _ZN9rocsolver6v33100L16stedc_reshuffleCIfPfS2_EEviT0_iilT1_iilPi.kd
    .uniform_work_group_size: 1
    .uses_dynamic_stack: false
    .vgpr_count:     50
    .vgpr_spill_count: 0
    .wavefront_size: 32
    .workgroup_processor_mode: 1
  - .args:
      - .offset:         0
        .size:           4
        .value_kind:     by_value
      - .offset:         4
        .size:           4
        .value_kind:     by_value
      - .address_space:  global
        .offset:         8
        .size:           8
        .value_kind:     global_buffer
      - .offset:         16
        .size:           8
        .value_kind:     by_value
      - .address_space:  global
        .offset:         24
        .size:           8
        .value_kind:     global_buffer
      - .offset:         32
        .size:           8
        .value_kind:     by_value
      - .address_space:  global
        .offset:         40
        .size:           8
        .value_kind:     global_buffer
      - .address_space:  global
        .offset:         48
        .size:           8
        .value_kind:     global_buffer
      - .address_space:  global
        .offset:         56
        .size:           8
        .value_kind:     global_buffer
      - .offset:         64
        .size:           4
        .value_kind:     by_value
      - .offset:         68
        .size:           4
        .value_kind:     by_value
      - .offset:         72
        .size:           4
        .value_kind:     by_value
      - .offset:         80
        .size:           4
        .value_kind:     hidden_block_count_x
      - .offset:         84
        .size:           4
        .value_kind:     hidden_block_count_y
      - .offset:         88
        .size:           4
        .value_kind:     hidden_block_count_z
      - .offset:         92
        .size:           2
        .value_kind:     hidden_group_size_x
      - .offset:         94
        .size:           2
        .value_kind:     hidden_group_size_y
      - .offset:         96
        .size:           2
        .value_kind:     hidden_group_size_z
      - .offset:         98
        .size:           2
        .value_kind:     hidden_remainder_x
      - .offset:         100
        .size:           2
        .value_kind:     hidden_remainder_y
      - .offset:         102
        .size:           2
        .value_kind:     hidden_remainder_z
      - .offset:         120
        .size:           8
        .value_kind:     hidden_global_offset_x
      - .offset:         128
        .size:           8
        .value_kind:     hidden_global_offset_y
      - .offset:         136
        .size:           8
        .value_kind:     hidden_global_offset_z
      - .offset:         144
        .size:           2
        .value_kind:     hidden_grid_dims
    .group_segment_fixed_size: 0
    .kernarg_segment_align: 8
    .kernarg_segment_size: 336
    .language:       OpenCL C
    .language_version:
      - 2
      - 0
    .max_flat_workgroup_size: 4
    .name:           _ZN9rocsolver6v33100L30stedc_mergeValues_Solve_kernelIfEEviiPT_lS3_lS3_S3_PiS2_S2_S2_
    .private_segment_fixed_size: 0
    .sgpr_count:     28
    .sgpr_spill_count: 0
    .symbol:         _ZN9rocsolver6v33100L30stedc_mergeValues_Solve_kernelIfEEviiPT_lS3_lS3_S3_PiS2_S2_S2_.kd
    .uniform_work_group_size: 1
    .uses_dynamic_stack: false
    .vgpr_count:     48
    .vgpr_spill_count: 0
    .wavefront_size: 32
    .workgroup_processor_mode: 1
  - .args:
      - .offset:         0
        .size:           4
        .value_kind:     by_value
      - .offset:         4
        .size:           4
        .value_kind:     by_value
      - .address_space:  global
        .offset:         8
        .size:           8
        .value_kind:     global_buffer
      - .offset:         16
        .size:           8
        .value_kind:     by_value
      - .address_space:  global
        .offset:         24
        .size:           8
        .value_kind:     global_buffer
      - .offset:         32
        .size:           8
        .value_kind:     by_value
      - .address_space:  global
        .offset:         40
        .size:           8
        .value_kind:     global_buffer
      - .address_space:  global
        .offset:         48
        .size:           8
        .value_kind:     global_buffer
      - .address_space:  global
        .offset:         56
        .size:           8
        .value_kind:     global_buffer
      - .offset:         64
        .size:           4
        .value_kind:     by_value
      - .offset:         68
        .size:           4
        .value_kind:     by_value
      - .offset:         72
        .size:           4
        .value_kind:     by_value
      - .offset:         80
        .size:           4
        .value_kind:     hidden_block_count_x
      - .offset:         84
        .size:           4
        .value_kind:     hidden_block_count_y
      - .offset:         88
        .size:           4
        .value_kind:     hidden_block_count_z
      - .offset:         92
        .size:           2
        .value_kind:     hidden_group_size_x
      - .offset:         94
        .size:           2
        .value_kind:     hidden_group_size_y
      - .offset:         96
        .size:           2
        .value_kind:     hidden_group_size_z
      - .offset:         98
        .size:           2
        .value_kind:     hidden_remainder_x
      - .offset:         100
        .size:           2
        .value_kind:     hidden_remainder_y
      - .offset:         102
        .size:           2
        .value_kind:     hidden_remainder_z
      - .offset:         120
        .size:           8
        .value_kind:     hidden_global_offset_x
      - .offset:         128
        .size:           8
        .value_kind:     hidden_global_offset_y
      - .offset:         136
        .size:           8
        .value_kind:     hidden_global_offset_z
      - .offset:         144
        .size:           2
        .value_kind:     hidden_grid_dims
    .group_segment_fixed_size: 2048
    .kernarg_segment_align: 8
    .kernarg_segment_size: 336
    .language:       OpenCL C
    .language_version:
      - 2
      - 0
    .max_flat_workgroup_size: 512
    .name:           _ZN9rocsolver6v33100L32stedc_mergeValues_Rescale_kernelIfEEviiPT_lS3_lS3_S3_PiS2_S2_S2_
    .private_segment_fixed_size: 0
    .sgpr_count:     28
    .sgpr_spill_count: 0
    .symbol:         _ZN9rocsolver6v33100L32stedc_mergeValues_Rescale_kernelIfEEviiPT_lS3_lS3_S3_PiS2_S2_S2_.kd
    .uniform_work_group_size: 1
    .uses_dynamic_stack: false
    .vgpr_count:     11
    .vgpr_spill_count: 0
    .wavefront_size: 32
    .workgroup_processor_mode: 1
  - .args:
      - .offset:         0
        .size:           4
        .value_kind:     by_value
      - .offset:         4
        .size:           4
        .value_kind:     by_value
      - .address_space:  global
        .offset:         8
        .size:           8
        .value_kind:     global_buffer
      - .offset:         16
        .size:           4
        .value_kind:     by_value
      - .offset:         20
        .size:           4
        .value_kind:     by_value
      - .offset:         24
        .size:           8
        .value_kind:     by_value
      - .address_space:  global
        .offset:         32
        .size:           8
        .value_kind:     global_buffer
      - .address_space:  global
        .offset:         40
        .size:           8
        .value_kind:     global_buffer
      - .address_space:  global
        .offset:         48
        .size:           8
        .value_kind:     global_buffer
      - .offset:         56
        .size:           4
        .value_kind:     hidden_block_count_x
      - .offset:         60
        .size:           4
        .value_kind:     hidden_block_count_y
      - .offset:         64
        .size:           4
        .value_kind:     hidden_block_count_z
      - .offset:         68
        .size:           2
        .value_kind:     hidden_group_size_x
      - .offset:         70
        .size:           2
        .value_kind:     hidden_group_size_y
      - .offset:         72
        .size:           2
        .value_kind:     hidden_group_size_z
      - .offset:         74
        .size:           2
        .value_kind:     hidden_remainder_x
      - .offset:         76
        .size:           2
        .value_kind:     hidden_remainder_y
      - .offset:         78
        .size:           2
        .value_kind:     hidden_remainder_z
      - .offset:         96
        .size:           8
        .value_kind:     hidden_global_offset_x
      - .offset:         104
        .size:           8
        .value_kind:     hidden_global_offset_y
      - .offset:         112
        .size:           8
        .value_kind:     hidden_global_offset_z
      - .offset:         120
        .size:           2
        .value_kind:     hidden_grid_dims
    .group_segment_fixed_size: 2048
    .kernarg_segment_align: 8
    .kernarg_segment_size: 312
    .language:       OpenCL C
    .language_version:
      - 2
      - 0
    .max_flat_workgroup_size: 512
    .name:           _ZN9rocsolver6v33100L25stedc_mergeVectors_kernelILb1EfEEviiPT0_iilS3_S3_Pi
    .private_segment_fixed_size: 0
    .sgpr_count:     28
    .sgpr_spill_count: 0
    .symbol:         _ZN9rocsolver6v33100L25stedc_mergeVectors_kernelILb1EfEEviiPT0_iilS3_S3_Pi.kd
    .uniform_work_group_size: 1
    .uses_dynamic_stack: false
    .vgpr_count:     16
    .vgpr_spill_count: 0
    .wavefront_size: 32
    .workgroup_processor_mode: 1
  - .args:
      - .offset:         0
        .size:           4
        .value_kind:     by_value
      - .offset:         4
        .size:           4
        .value_kind:     by_value
      - .address_space:  global
        .offset:         8
        .size:           8
        .value_kind:     global_buffer
      - .offset:         16
        .size:           8
        .value_kind:     by_value
      - .address_space:  global
        .offset:         24
        .size:           8
        .value_kind:     global_buffer
      - .offset:         32
        .size:           4
        .value_kind:     by_value
      - .offset:         36
        .size:           4
        .value_kind:     by_value
      - .offset:         40
        .size:           8
        .value_kind:     by_value
      - .address_space:  global
        .offset:         48
        .size:           8
        .value_kind:     global_buffer
      - .address_space:  global
        .offset:         56
        .size:           8
        .value_kind:     global_buffer
      - .address_space:  global
        .offset:         64
        .size:           8
        .value_kind:     global_buffer
      - .offset:         72
        .size:           4
        .value_kind:     hidden_block_count_x
      - .offset:         76
        .size:           4
        .value_kind:     hidden_block_count_y
      - .offset:         80
        .size:           4
        .value_kind:     hidden_block_count_z
      - .offset:         84
        .size:           2
        .value_kind:     hidden_group_size_x
      - .offset:         86
        .size:           2
        .value_kind:     hidden_group_size_y
      - .offset:         88
        .size:           2
        .value_kind:     hidden_group_size_z
      - .offset:         90
        .size:           2
        .value_kind:     hidden_remainder_x
      - .offset:         92
        .size:           2
        .value_kind:     hidden_remainder_y
      - .offset:         94
        .size:           2
        .value_kind:     hidden_remainder_z
      - .offset:         112
        .size:           8
        .value_kind:     hidden_global_offset_x
      - .offset:         120
        .size:           8
        .value_kind:     hidden_global_offset_y
      - .offset:         128
        .size:           8
        .value_kind:     hidden_global_offset_z
      - .offset:         136
        .size:           2
        .value_kind:     hidden_grid_dims
    .group_segment_fixed_size: 0
    .kernarg_segment_align: 8
    .kernarg_segment_size: 328
    .language:       OpenCL C
    .language_version:
      - 2
      - 0
    .max_flat_workgroup_size: 512
    .name:           _ZN9rocsolver6v33100L24stedc_mergeUpdate_kernelIfEEviiPT_lS3_iilS3_S3_Pi
    .private_segment_fixed_size: 0
    .sgpr_count:     30
    .sgpr_spill_count: 0
    .symbol:         _ZN9rocsolver6v33100L24stedc_mergeUpdate_kernelIfEEviiPT_lS3_iilS3_S3_Pi.kd
    .uniform_work_group_size: 1
    .uses_dynamic_stack: false
    .vgpr_count:     4
    .vgpr_spill_count: 0
    .wavefront_size: 32
    .workgroup_processor_mode: 1
  - .args:
      - .offset:         0
        .size:           4
        .value_kind:     by_value
      - .offset:         4
        .size:           4
        .value_kind:     by_value
      - .offset:         8
        .size:           4
        .value_kind:     by_value
      - .address_space:  global
        .offset:         16
        .size:           8
        .value_kind:     global_buffer
      - .offset:         24
        .size:           4
        .value_kind:     by_value
      - .offset:         28
        .size:           4
        .value_kind:     by_value
      - .offset:         32
        .size:           8
        .value_kind:     by_value
      - .address_space:  global
        .offset:         40
        .size:           8
        .value_kind:     global_buffer
      - .offset:         48
        .size:           1
        .value_kind:     by_value
      - .offset:         52
        .size:           4
        .value_kind:     by_value
      - .offset:         56
        .size:           4
        .value_kind:     by_value
      - .offset:         64
        .size:           4
        .value_kind:     hidden_block_count_x
      - .offset:         68
        .size:           4
        .value_kind:     hidden_block_count_y
      - .offset:         72
        .size:           4
        .value_kind:     hidden_block_count_z
      - .offset:         76
        .size:           2
        .value_kind:     hidden_group_size_x
      - .offset:         78
        .size:           2
        .value_kind:     hidden_group_size_y
      - .offset:         80
        .size:           2
        .value_kind:     hidden_group_size_z
      - .offset:         82
        .size:           2
        .value_kind:     hidden_remainder_x
      - .offset:         84
        .size:           2
        .value_kind:     hidden_remainder_y
      - .offset:         86
        .size:           2
        .value_kind:     hidden_remainder_z
      - .offset:         104
        .size:           8
        .value_kind:     hidden_global_offset_x
      - .offset:         112
        .size:           8
        .value_kind:     hidden_global_offset_y
      - .offset:         120
        .size:           8
        .value_kind:     hidden_global_offset_z
      - .offset:         128
        .size:           2
        .value_kind:     hidden_grid_dims
    .group_segment_fixed_size: 0
    .kernarg_segment_align: 8
    .kernarg_segment_size: 320
    .language:       OpenCL C
    .language_version:
      - 2
      - 0
    .max_flat_workgroup_size: 1024
    .name:           _ZN9rocsolver6v33100L8copy_matIfPfNS0_7no_maskEEEvNS0_17copymat_directionEiiT0_iilPT_T1_13rocblas_fill_17rocblas_diagonal_
    .private_segment_fixed_size: 0
    .sgpr_count:     18
    .sgpr_spill_count: 0
    .symbol:         _ZN9rocsolver6v33100L8copy_matIfPfNS0_7no_maskEEEvNS0_17copymat_directionEiiT0_iilPT_T1_13rocblas_fill_17rocblas_diagonal_.kd
    .uniform_work_group_size: 1
    .uses_dynamic_stack: false
    .vgpr_count:     6
    .vgpr_spill_count: 0
    .wavefront_size: 32
    .workgroup_processor_mode: 1
  - .args:
      - .offset:         0
        .size:           4
        .value_kind:     by_value
      - .address_space:  global
        .offset:         8
        .size:           8
        .value_kind:     global_buffer
      - .offset:         16
        .size:           8
        .value_kind:     by_value
      - .address_space:  global
        .offset:         24
        .size:           8
        .value_kind:     global_buffer
      - .offset:         32
        .size:           8
        .value_kind:     by_value
      - .offset:         40
        .size:           4
        .value_kind:     hidden_block_count_x
      - .offset:         44
        .size:           4
        .value_kind:     hidden_block_count_y
      - .offset:         48
        .size:           4
        .value_kind:     hidden_block_count_z
      - .offset:         52
        .size:           2
        .value_kind:     hidden_group_size_x
      - .offset:         54
        .size:           2
        .value_kind:     hidden_group_size_y
      - .offset:         56
        .size:           2
        .value_kind:     hidden_group_size_z
      - .offset:         58
        .size:           2
        .value_kind:     hidden_remainder_x
      - .offset:         60
        .size:           2
        .value_kind:     hidden_remainder_y
      - .offset:         62
        .size:           2
        .value_kind:     hidden_remainder_z
      - .offset:         80
        .size:           8
        .value_kind:     hidden_global_offset_x
      - .offset:         88
        .size:           8
        .value_kind:     hidden_global_offset_y
      - .offset:         96
        .size:           8
        .value_kind:     hidden_global_offset_z
      - .offset:         104
        .size:           2
        .value_kind:     hidden_grid_dims
    .group_segment_fixed_size: 0
    .kernarg_segment_align: 8
    .kernarg_segment_size: 296
    .language:       OpenCL C
    .language_version:
      - 2
      - 0
    .max_flat_workgroup_size: 512
    .name:           _ZN9rocsolver6v33100L11stedc_copyDIfEEviPT_lS3_l
    .private_segment_fixed_size: 0
    .sgpr_count:     42
    .sgpr_spill_count: 0
    .symbol:         _ZN9rocsolver6v33100L11stedc_copyDIfEEviPT_lS3_l.kd
    .uniform_work_group_size: 1
    .uses_dynamic_stack: false
    .vgpr_count:     50
    .vgpr_spill_count: 0
    .wavefront_size: 32
    .workgroup_processor_mode: 1
  - .args:
      - .offset:         0
        .size:           4
        .value_kind:     by_value
      - .address_space:  global
        .offset:         8
        .size:           8
        .value_kind:     global_buffer
      - .offset:         16
        .size:           8
        .value_kind:     by_value
      - .address_space:  global
        .offset:         24
        .size:           8
        .value_kind:     global_buffer
      - .offset:         32
        .size:           8
        .value_kind:     by_value
      - .address_space:  global
        .offset:         40
        .size:           8
        .value_kind:     global_buffer
      - .offset:         48
        .size:           4
        .value_kind:     by_value
      - .offset:         52
        .size:           4
        .value_kind:     by_value
      - .offset:         56
        .size:           8
        .value_kind:     by_value
      - .address_space:  global
        .offset:         64
        .size:           8
        .value_kind:     global_buffer
      - .offset:         72
        .size:           4
        .value_kind:     by_value
      - .offset:         76
        .size:           4
        .value_kind:     by_value
      - .offset:         80
        .size:           8
        .value_kind:     by_value
      - .offset:         88
        .size:           4
        .value_kind:     hidden_block_count_x
      - .offset:         92
        .size:           4
        .value_kind:     hidden_block_count_y
      - .offset:         96
        .size:           4
        .value_kind:     hidden_block_count_z
      - .offset:         100
        .size:           2
        .value_kind:     hidden_group_size_x
      - .offset:         102
        .size:           2
        .value_kind:     hidden_group_size_y
      - .offset:         104
        .size:           2
        .value_kind:     hidden_group_size_z
      - .offset:         106
        .size:           2
        .value_kind:     hidden_remainder_x
      - .offset:         108
        .size:           2
        .value_kind:     hidden_remainder_y
      - .offset:         110
        .size:           2
        .value_kind:     hidden_remainder_z
      - .offset:         128
        .size:           8
        .value_kind:     hidden_global_offset_x
      - .offset:         136
        .size:           8
        .value_kind:     hidden_global_offset_y
      - .offset:         144
        .size:           8
        .value_kind:     hidden_global_offset_z
      - .offset:         152
        .size:           2
        .value_kind:     hidden_grid_dims
    .group_segment_fixed_size: 2048
    .kernarg_segment_align: 8
    .kernarg_segment_size: 344
    .language:       OpenCL C
    .language_version:
      - 2
      - 0
    .max_flat_workgroup_size: 512
    .name:           _ZN9rocsolver6v33100L10stedc_sortIffPfS2_EEviPT0_lS4_lT1_iilT2_iil
    .private_segment_fixed_size: 0
    .sgpr_count:     57
    .sgpr_spill_count: 0
    .symbol:         _ZN9rocsolver6v33100L10stedc_sortIffPfS2_EEviPT0_lS4_lT1_iilT2_iil.kd
    .uniform_work_group_size: 1
    .uses_dynamic_stack: false
    .vgpr_count:     53
    .vgpr_spill_count: 0
    .wavefront_size: 32
    .workgroup_processor_mode: 1
  - .args:
      - .address_space:  global
        .offset:         0
        .size:           8
        .value_kind:     global_buffer
      - .offset:         8
        .size:           8
        .value_kind:     by_value
      - .offset:         16
        .size:           4
        .value_kind:     by_value
      - .offset:         20
        .size:           4
        .value_kind:     by_value
      - .offset:         24
        .size:           4
        .value_kind:     hidden_block_count_x
      - .offset:         28
        .size:           4
        .value_kind:     hidden_block_count_y
      - .offset:         32
        .size:           4
        .value_kind:     hidden_block_count_z
      - .offset:         36
        .size:           2
        .value_kind:     hidden_group_size_x
      - .offset:         38
        .size:           2
        .value_kind:     hidden_group_size_y
      - .offset:         40
        .size:           2
        .value_kind:     hidden_group_size_z
      - .offset:         42
        .size:           2
        .value_kind:     hidden_remainder_x
      - .offset:         44
        .size:           2
        .value_kind:     hidden_remainder_y
      - .offset:         46
        .size:           2
        .value_kind:     hidden_remainder_z
      - .offset:         64
        .size:           8
        .value_kind:     hidden_global_offset_x
      - .offset:         72
        .size:           8
        .value_kind:     hidden_global_offset_y
      - .offset:         80
        .size:           8
        .value_kind:     hidden_global_offset_z
      - .offset:         88
        .size:           2
        .value_kind:     hidden_grid_dims
    .group_segment_fixed_size: 0
    .kernarg_segment_align: 8
    .kernarg_segment_size: 280
    .language:       OpenCL C
    .language_version:
      - 2
      - 0
    .max_flat_workgroup_size: 1024
    .name:           _ZN9rocsolver6v33100L16reset_batch_infoIdiiPdEEvT2_lT0_T1_
    .private_segment_fixed_size: 0
    .sgpr_count:     8
    .sgpr_spill_count: 0
    .symbol:         _ZN9rocsolver6v33100L16reset_batch_infoIdiiPdEEvT2_lT0_T1_.kd
    .uniform_work_group_size: 1
    .uses_dynamic_stack: false
    .vgpr_count:     4
    .vgpr_spill_count: 0
    .wavefront_size: 32
    .workgroup_processor_mode: 1
  - .args:
      - .offset:         0
        .size:           4
        .value_kind:     by_value
      - .address_space:  global
        .offset:         8
        .size:           8
        .value_kind:     global_buffer
      - .offset:         16
        .size:           8
        .value_kind:     by_value
      - .address_space:  global
        .offset:         24
        .size:           8
        .value_kind:     global_buffer
      - .offset:         32
        .size:           8
        .value_kind:     by_value
      - .address_space:  global
        .offset:         40
        .size:           8
        .value_kind:     global_buffer
      - .address_space:  global
        .offset:         48
        .size:           8
        .value_kind:     global_buffer
      - .offset:         56
        .size:           4
        .value_kind:     by_value
      - .offset:         64
        .size:           8
        .value_kind:     by_value
      - .offset:         72
        .size:           8
        .value_kind:     by_value
      - .offset:         80
        .size:           8
        .value_kind:     by_value
    .group_segment_fixed_size: 0
    .kernarg_segment_align: 8
    .kernarg_segment_size: 88
    .language:       OpenCL C
    .language_version:
      - 2
      - 0
    .max_flat_workgroup_size: 1024
    .name:           _ZN9rocsolver6v33100L12sterf_kernelIdEEviPT_lS3_lPiS4_iS2_S2_S2_
    .private_segment_fixed_size: 0
    .sgpr_count:     63
    .sgpr_spill_count: 0
    .symbol:         _ZN9rocsolver6v33100L12sterf_kernelIdEEviPT_lS3_lPiS4_iS2_S2_S2_.kd
    .uniform_work_group_size: 1
    .uses_dynamic_stack: false
    .vgpr_count:     38
    .vgpr_spill_count: 0
    .wavefront_size: 32
    .workgroup_processor_mode: 1
  - .args:
      - .offset:         0
        .size:           4
        .value_kind:     by_value
      - .offset:         4
        .size:           4
        .value_kind:     by_value
      - .offset:         8
        .size:           4
        .value_kind:     by_value
      - .offset:         12
        .size:           4
        .value_kind:     by_value
      - .offset:         16
        .size:           4
        .value_kind:     by_value
      - .address_space:  global
        .offset:         24
        .size:           8
        .value_kind:     global_buffer
      - .offset:         32
        .size:           8
        .value_kind:     by_value
      - .address_space:  global
        .offset:         40
        .size:           8
        .value_kind:     global_buffer
      - .offset:         48
        .size:           8
        .value_kind:     by_value
      - .address_space:  global
        .offset:         56
        .size:           8
        .value_kind:     global_buffer
      - .offset:         64
        .size:           8
        .value_kind:     by_value
      - .offset:         72
        .size:           4
        .value_kind:     by_value
      - .offset:         80
        .size:           8
        .value_kind:     by_value
      - .offset:         88
        .size:           4
        .value_kind:     by_value
      - .offset:         96
        .size:           4
        .value_kind:     hidden_block_count_x
      - .offset:         100
        .size:           4
        .value_kind:     hidden_block_count_y
      - .offset:         104
        .size:           4
        .value_kind:     hidden_block_count_z
      - .offset:         108
        .size:           2
        .value_kind:     hidden_group_size_x
      - .offset:         110
        .size:           2
        .value_kind:     hidden_group_size_y
      - .offset:         112
        .size:           2
        .value_kind:     hidden_group_size_z
      - .offset:         114
        .size:           2
        .value_kind:     hidden_remainder_x
      - .offset:         116
        .size:           2
        .value_kind:     hidden_remainder_y
      - .offset:         118
        .size:           2
        .value_kind:     hidden_remainder_z
      - .offset:         136
        .size:           8
        .value_kind:     hidden_global_offset_x
      - .offset:         144
        .size:           8
        .value_kind:     hidden_global_offset_y
      - .offset:         152
        .size:           8
        .value_kind:     hidden_global_offset_z
      - .offset:         160
        .size:           2
        .value_kind:     hidden_grid_dims
    .group_segment_fixed_size: 0
    .kernarg_segment_align: 8
    .kernarg_segment_size: 352
    .language:       OpenCL C
    .language_version:
      - 2
      - 0
    .max_flat_workgroup_size: 64
    .name:           _ZN9rocsolver6v33100L11lasr_kernelIddPdiEEv13rocblas_side_14rocblas_pivot_15rocblas_direct_T2_S6_PT0_lS8_lT1_lS6_lS6_
    .private_segment_fixed_size: 0
    .sgpr_count:     92
    .sgpr_spill_count: 0
    .symbol:         _ZN9rocsolver6v33100L11lasr_kernelIddPdiEEv13rocblas_side_14rocblas_pivot_15rocblas_direct_T2_S6_PT0_lS8_lT1_lS6_lS6_.kd
    .uniform_work_group_size: 1
    .uses_dynamic_stack: false
    .vgpr_count:     45
    .vgpr_spill_count: 0
    .wavefront_size: 32
    .workgroup_processor_mode: 1
  - .args:
      - .offset:         0
        .size:           4
        .value_kind:     by_value
      - .address_space:  global
        .offset:         8
        .size:           8
        .value_kind:     global_buffer
      - .offset:         16
        .size:           4
        .value_kind:     by_value
      - .address_space:  global
        .offset:         24
        .size:           8
        .value_kind:     global_buffer
      - .offset:         32
        .size:           4
        .value_kind:     by_value
      - .offset:         40
        .size:           4
        .value_kind:     hidden_block_count_x
      - .offset:         44
        .size:           4
        .value_kind:     hidden_block_count_y
      - .offset:         48
        .size:           4
        .value_kind:     hidden_block_count_z
      - .offset:         52
        .size:           2
        .value_kind:     hidden_group_size_x
      - .offset:         54
        .size:           2
        .value_kind:     hidden_group_size_y
      - .offset:         56
        .size:           2
        .value_kind:     hidden_group_size_z
      - .offset:         58
        .size:           2
        .value_kind:     hidden_remainder_x
      - .offset:         60
        .size:           2
        .value_kind:     hidden_remainder_y
      - .offset:         62
        .size:           2
        .value_kind:     hidden_remainder_z
      - .offset:         80
        .size:           8
        .value_kind:     hidden_global_offset_x
      - .offset:         88
        .size:           8
        .value_kind:     hidden_global_offset_y
      - .offset:         96
        .size:           8
        .value_kind:     hidden_global_offset_z
      - .offset:         104
        .size:           2
        .value_kind:     hidden_grid_dims
    .group_segment_fixed_size: 0
    .kernarg_segment_align: 8
    .kernarg_segment_size: 296
    .language:       OpenCL C
    .language_version:
      - 2
      - 0
    .max_flat_workgroup_size: 1024
    .name:           _ZN9rocsolver6v33100L11swap_kernelIdiEEvT0_PT_S2_S4_S2_
    .private_segment_fixed_size: 0
    .sgpr_count:     18
    .sgpr_spill_count: 0
    .symbol:         _ZN9rocsolver6v33100L11swap_kernelIdiEEvT0_PT_S2_S4_S2_.kd
    .uniform_work_group_size: 1
    .uses_dynamic_stack: false
    .vgpr_count:     11
    .vgpr_spill_count: 0
    .wavefront_size: 32
    .workgroup_processor_mode: 1
  - .args:
      - .offset:         0
        .size:           4
        .value_kind:     by_value
      - .address_space:  global
        .offset:         8
        .size:           8
        .value_kind:     global_buffer
      - .offset:         16
        .size:           8
        .value_kind:     by_value
      - .address_space:  global
        .offset:         24
        .size:           8
        .value_kind:     global_buffer
      - .offset:         32
        .size:           8
        .value_kind:     by_value
      - .address_space:  global
        .offset:         40
        .size:           8
        .value_kind:     global_buffer
      - .offset:         48
        .size:           4
        .value_kind:     by_value
      - .offset:         52
        .size:           4
        .value_kind:     by_value
      - .offset:         56
        .size:           8
        .value_kind:     by_value
      - .address_space:  global
        .offset:         64
        .size:           8
        .value_kind:     global_buffer
      - .address_space:  global
        .offset:         72
        .size:           8
        .value_kind:     global_buffer
      - .offset:         80
        .size:           4
        .value_kind:     by_value
      - .offset:         88
        .size:           8
        .value_kind:     by_value
      - .offset:         96
        .size:           8
        .value_kind:     by_value
      - .offset:         104
        .size:           8
        .value_kind:     by_value
      - .offset:         112
        .size:           4
        .value_kind:     hidden_block_count_x
      - .offset:         116
        .size:           4
        .value_kind:     hidden_block_count_y
      - .offset:         120
        .size:           4
        .value_kind:     hidden_block_count_z
      - .offset:         124
        .size:           2
        .value_kind:     hidden_group_size_x
      - .offset:         126
        .size:           2
        .value_kind:     hidden_group_size_y
      - .offset:         128
        .size:           2
        .value_kind:     hidden_group_size_z
      - .offset:         130
        .size:           2
        .value_kind:     hidden_remainder_x
      - .offset:         132
        .size:           2
        .value_kind:     hidden_remainder_y
      - .offset:         134
        .size:           2
        .value_kind:     hidden_remainder_z
      - .offset:         152
        .size:           8
        .value_kind:     hidden_global_offset_x
      - .offset:         160
        .size:           8
        .value_kind:     hidden_global_offset_y
      - .offset:         168
        .size:           8
        .value_kind:     hidden_global_offset_z
      - .offset:         176
        .size:           2
        .value_kind:     hidden_grid_dims
    .group_segment_fixed_size: 48
    .kernarg_segment_align: 8
    .kernarg_segment_size: 368
    .language:       OpenCL C
    .language_version:
      - 2
      - 0
    .max_flat_workgroup_size: 1024
    .name:           _ZN9rocsolver6v33100L12steqr_kernelIddPdEEviPT0_lS4_lT1_iilPiS4_iS3_S3_S3_
    .private_segment_fixed_size: 20
    .sgpr_count:     42
    .sgpr_spill_count: 0
    .symbol:         _ZN9rocsolver6v33100L12steqr_kernelIddPdEEviPT0_lS4_lT1_iilPiS4_iS3_S3_S3_.kd
    .uniform_work_group_size: 1
    .uses_dynamic_stack: false
    .vgpr_count:     184
    .vgpr_spill_count: 0
    .wavefront_size: 32
    .workgroup_processor_mode: 1
  - .args:
      - .offset:         0
        .size:           4
        .value_kind:     by_value
      - .offset:         4
        .size:           4
        .value_kind:     by_value
      - .address_space:  global
        .offset:         8
        .size:           8
        .value_kind:     global_buffer
      - .offset:         16
        .size:           4
        .value_kind:     by_value
      - .offset:         20
        .size:           4
        .value_kind:     by_value
      - .offset:         24
        .size:           8
        .value_kind:     by_value
      - .offset:         32
        .size:           4
        .value_kind:     hidden_block_count_x
      - .offset:         36
        .size:           4
        .value_kind:     hidden_block_count_y
      - .offset:         40
        .size:           4
        .value_kind:     hidden_block_count_z
      - .offset:         44
        .size:           2
        .value_kind:     hidden_group_size_x
      - .offset:         46
        .size:           2
        .value_kind:     hidden_group_size_y
      - .offset:         48
        .size:           2
        .value_kind:     hidden_group_size_z
      - .offset:         50
        .size:           2
        .value_kind:     hidden_remainder_x
      - .offset:         52
        .size:           2
        .value_kind:     hidden_remainder_y
      - .offset:         54
        .size:           2
        .value_kind:     hidden_remainder_z
      - .offset:         72
        .size:           8
        .value_kind:     hidden_global_offset_x
      - .offset:         80
        .size:           8
        .value_kind:     hidden_global_offset_y
      - .offset:         88
        .size:           8
        .value_kind:     hidden_global_offset_z
      - .offset:         96
        .size:           2
        .value_kind:     hidden_grid_dims
    .group_segment_fixed_size: 0
    .kernarg_segment_align: 8
    .kernarg_segment_size: 288
    .language:       OpenCL C
    .language_version:
      - 2
      - 0
    .max_flat_workgroup_size: 1024
    .name:           _ZN9rocsolver6v33100L10init_identIdPdEEviiT0_iil
    .private_segment_fixed_size: 0
    .sgpr_count:     10
    .sgpr_spill_count: 0
    .symbol:         _ZN9rocsolver6v33100L10init_identIdPdEEviiT0_iil.kd
    .uniform_work_group_size: 1
    .uses_dynamic_stack: false
    .vgpr_count:     4
    .vgpr_spill_count: 0
    .wavefront_size: 32
    .workgroup_processor_mode: 1
  - .args:
      - .offset:         0
        .size:           4
        .value_kind:     by_value
      - .offset:         4
        .size:           4
        .value_kind:     by_value
      - .offset:         8
        .size:           4
        .value_kind:     by_value
      - .address_space:  global
        .offset:         16
        .size:           8
        .value_kind:     global_buffer
      - .offset:         24
        .size:           8
        .value_kind:     by_value
      - .address_space:  global
        .offset:         32
        .size:           8
        .value_kind:     global_buffer
      - .offset:         40
        .size:           8
        .value_kind:     by_value
      - .offset:         48
        .size:           4
        .value_kind:     by_value
      - .address_space:  global
        .offset:         56
        .size:           8
        .value_kind:     global_buffer
      - .offset:         64
        .size:           4
        .value_kind:     hidden_block_count_x
      - .offset:         68
        .size:           4
        .value_kind:     hidden_block_count_y
      - .offset:         72
        .size:           4
        .value_kind:     hidden_block_count_z
      - .offset:         76
        .size:           2
        .value_kind:     hidden_group_size_x
      - .offset:         78
        .size:           2
        .value_kind:     hidden_group_size_y
      - .offset:         80
        .size:           2
        .value_kind:     hidden_group_size_z
      - .offset:         82
        .size:           2
        .value_kind:     hidden_remainder_x
      - .offset:         84
        .size:           2
        .value_kind:     hidden_remainder_y
      - .offset:         86
        .size:           2
        .value_kind:     hidden_remainder_z
      - .offset:         104
        .size:           8
        .value_kind:     hidden_global_offset_x
      - .offset:         112
        .size:           8
        .value_kind:     hidden_global_offset_y
      - .offset:         120
        .size:           8
        .value_kind:     hidden_global_offset_z
      - .offset:         128
        .size:           2
        .value_kind:     hidden_grid_dims
    .group_segment_fixed_size: 0
    .kernarg_segment_align: 8
    .kernarg_segment_size: 320
    .language:       OpenCL C
    .language_version:
      - 2
      - 0
    .max_flat_workgroup_size: 512
    .name:           _ZN9rocsolver6v33100L19stedc_divide_kernelIdEEviiiPT_lS3_liPi
    .private_segment_fixed_size: 0
    .sgpr_count:     18
    .sgpr_spill_count: 0
    .symbol:         _ZN9rocsolver6v33100L19stedc_divide_kernelIdEEviiiPT_lS3_liPi.kd
    .uniform_work_group_size: 1
    .uses_dynamic_stack: false
    .vgpr_count:     16
    .vgpr_spill_count: 0
    .wavefront_size: 32
    .workgroup_processor_mode: 1
  - .args:
      - .offset:         0
        .size:           4
        .value_kind:     by_value
      - .offset:         4
        .size:           4
        .value_kind:     by_value
      - .address_space:  global
        .offset:         8
        .size:           8
        .value_kind:     global_buffer
      - .offset:         16
        .size:           8
        .value_kind:     by_value
      - .address_space:  global
        .offset:         24
        .size:           8
        .value_kind:     global_buffer
      - .offset:         32
        .size:           8
        .value_kind:     by_value
      - .address_space:  global
        .offset:         40
        .size:           8
        .value_kind:     global_buffer
      - .offset:         48
        .size:           4
        .value_kind:     by_value
      - .offset:         52
        .size:           4
        .value_kind:     by_value
      - .offset:         56
        .size:           8
        .value_kind:     by_value
      - .address_space:  global
        .offset:         64
        .size:           8
        .value_kind:     global_buffer
      - .address_space:  global
        .offset:         72
        .size:           8
        .value_kind:     global_buffer
      - .address_space:  global
        .offset:         80
        .size:           8
        .value_kind:     global_buffer
      - .offset:         88
        .size:           8
        .value_kind:     by_value
      - .offset:         96
        .size:           8
        .value_kind:     by_value
      - .offset:         104
        .size:           8
        .value_kind:     by_value
      - .offset:         112
        .size:           4
        .value_kind:     hidden_block_count_x
      - .offset:         116
        .size:           4
        .value_kind:     hidden_block_count_y
      - .offset:         120
        .size:           4
        .value_kind:     hidden_block_count_z
      - .offset:         124
        .size:           2
        .value_kind:     hidden_group_size_x
      - .offset:         126
        .size:           2
        .value_kind:     hidden_group_size_y
      - .offset:         128
        .size:           2
        .value_kind:     hidden_group_size_z
      - .offset:         130
        .size:           2
        .value_kind:     hidden_remainder_x
      - .offset:         132
        .size:           2
        .value_kind:     hidden_remainder_y
      - .offset:         134
        .size:           2
        .value_kind:     hidden_remainder_z
      - .offset:         152
        .size:           8
        .value_kind:     hidden_global_offset_x
      - .offset:         160
        .size:           8
        .value_kind:     hidden_global_offset_y
      - .offset:         168
        .size:           8
        .value_kind:     hidden_global_offset_z
      - .offset:         176
        .size:           2
        .value_kind:     hidden_grid_dims
    .group_segment_fixed_size: 48
    .kernarg_segment_align: 8
    .kernarg_segment_size: 368
    .language:       OpenCL C
    .language_version:
      - 2
      - 0
    .max_flat_workgroup_size: 512
    .name:           _ZN9rocsolver6v33100L18stedc_solve_kernelIdEEviiPT_lS3_lS3_iilPiS3_S4_S2_S2_S2_
    .private_segment_fixed_size: 20
    .sgpr_count:     39
    .sgpr_spill_count: 0
    .symbol:         _ZN9rocsolver6v33100L18stedc_solve_kernelIdEEviiPT_lS3_lS3_iilPiS3_S4_S2_S2_S2_.kd
    .uniform_work_group_size: 1
    .uses_dynamic_stack: false
    .vgpr_count:     184
    .vgpr_spill_count: 0
    .wavefront_size: 32
    .workgroup_processor_mode: 1
  - .args:
      - .offset:         0
        .size:           4
        .value_kind:     by_value
      - .offset:         4
        .size:           4
        .value_kind:     by_value
      - .address_space:  global
        .offset:         8
        .size:           8
        .value_kind:     global_buffer
      - .offset:         16
        .size:           8
        .value_kind:     by_value
      - .address_space:  global
        .offset:         24
        .size:           8
        .value_kind:     global_buffer
      - .offset:         32
        .size:           8
        .value_kind:     by_value
      - .address_space:  global
        .offset:         40
        .size:           8
        .value_kind:     global_buffer
      - .offset:         48
        .size:           4
        .value_kind:     by_value
      - .offset:         52
        .size:           4
        .value_kind:     by_value
      - .offset:         56
        .size:           8
        .value_kind:     by_value
      - .address_space:  global
        .offset:         64
        .size:           8
        .value_kind:     global_buffer
      - .address_space:  global
        .offset:         72
        .size:           8
        .value_kind:     global_buffer
      - .offset:         80
        .size:           8
        .value_kind:     by_value
      - .offset:         88
        .size:           4
        .value_kind:     hidden_block_count_x
      - .offset:         92
        .size:           4
        .value_kind:     hidden_block_count_y
      - .offset:         96
        .size:           4
        .value_kind:     hidden_block_count_z
      - .offset:         100
        .size:           2
        .value_kind:     hidden_group_size_x
      - .offset:         102
        .size:           2
        .value_kind:     hidden_group_size_y
      - .offset:         104
        .size:           2
        .value_kind:     hidden_group_size_z
      - .offset:         106
        .size:           2
        .value_kind:     hidden_remainder_x
      - .offset:         108
        .size:           2
        .value_kind:     hidden_remainder_y
      - .offset:         110
        .size:           2
        .value_kind:     hidden_remainder_z
      - .offset:         128
        .size:           8
        .value_kind:     hidden_global_offset_x
      - .offset:         136
        .size:           8
        .value_kind:     hidden_global_offset_y
      - .offset:         144
        .size:           8
        .value_kind:     hidden_global_offset_z
      - .offset:         152
        .size:           2
        .value_kind:     hidden_grid_dims
    .group_segment_fixed_size: 8192
    .kernarg_segment_align: 8
    .kernarg_segment_size: 344
    .language:       OpenCL C
    .language_version:
      - 2
      - 0
    .max_flat_workgroup_size: 512
    .name:           _ZN9rocsolver6v33100L37stedc_mergePrepare_DeflateZero_kernelIdEEviiPT_lS3_lS3_iilS3_PiS2_
    .private_segment_fixed_size: 0
    .sgpr_count:     40
    .sgpr_spill_count: 0
    .symbol:         _ZN9rocsolver6v33100L37stedc_mergePrepare_DeflateZero_kernelIdEEviiPT_lS3_lS3_iilS3_PiS2_.kd
    .uniform_work_group_size: 1
    .uses_dynamic_stack: false
    .vgpr_count:     17
    .vgpr_spill_count: 0
    .wavefront_size: 32
    .workgroup_processor_mode: 1
  - .args:
      - .offset:         0
        .size:           4
        .value_kind:     by_value
      - .offset:         4
        .size:           4
        .value_kind:     by_value
      - .address_space:  global
        .offset:         8
        .size:           8
        .value_kind:     global_buffer
      - .offset:         16
        .size:           8
        .value_kind:     by_value
      - .address_space:  global
        .offset:         24
        .size:           8
        .value_kind:     global_buffer
      - .address_space:  global
        .offset:         32
        .size:           8
        .value_kind:     global_buffer
      - .offset:         40
        .size:           4
        .value_kind:     hidden_block_count_x
      - .offset:         44
        .size:           4
        .value_kind:     hidden_block_count_y
      - .offset:         48
        .size:           4
        .value_kind:     hidden_block_count_z
      - .offset:         52
        .size:           2
        .value_kind:     hidden_group_size_x
      - .offset:         54
        .size:           2
        .value_kind:     hidden_group_size_y
      - .offset:         56
        .size:           2
        .value_kind:     hidden_group_size_z
      - .offset:         58
        .size:           2
        .value_kind:     hidden_remainder_x
      - .offset:         60
        .size:           2
        .value_kind:     hidden_remainder_y
      - .offset:         62
        .size:           2
        .value_kind:     hidden_remainder_z
      - .offset:         80
        .size:           8
        .value_kind:     hidden_global_offset_x
      - .offset:         88
        .size:           8
        .value_kind:     hidden_global_offset_y
      - .offset:         96
        .size:           8
        .value_kind:     hidden_global_offset_z
      - .offset:         104
        .size:           2
        .value_kind:     hidden_grid_dims
    .group_segment_fixed_size: 4096
    .kernarg_segment_align: 8
    .kernarg_segment_size: 296
    .language:       OpenCL C
    .language_version:
      - 2
      - 0
    .max_flat_workgroup_size: 512
    .name:           _ZN9rocsolver6v33100L31stedc_mergePrepare_SortD_kernelIdEEviiPT_lS3_Pi
    .private_segment_fixed_size: 0
    .sgpr_count:     44
    .sgpr_spill_count: 0
    .symbol:         _ZN9rocsolver6v33100L31stedc_mergePrepare_SortD_kernelIdEEviiPT_lS3_Pi.kd
    .uniform_work_group_size: 1
    .uses_dynamic_stack: false
    .vgpr_count:     48
    .vgpr_spill_count: 0
    .wavefront_size: 32
    .workgroup_processor_mode: 1
  - .args:
      - .offset:         0
        .size:           4
        .value_kind:     by_value
      - .offset:         4
        .size:           4
        .value_kind:     by_value
      - .address_space:  global
        .offset:         8
        .size:           8
        .value_kind:     global_buffer
      - .offset:         16
        .size:           8
        .value_kind:     by_value
      - .address_space:  global
        .offset:         24
        .size:           8
        .value_kind:     global_buffer
      - .address_space:  global
        .offset:         32
        .size:           8
        .value_kind:     global_buffer
      - .offset:         40
        .size:           4
        .value_kind:     hidden_block_count_x
      - .offset:         44
        .size:           4
        .value_kind:     hidden_block_count_y
      - .offset:         48
        .size:           4
        .value_kind:     hidden_block_count_z
      - .offset:         52
        .size:           2
        .value_kind:     hidden_group_size_x
      - .offset:         54
        .size:           2
        .value_kind:     hidden_group_size_y
      - .offset:         56
        .size:           2
        .value_kind:     hidden_group_size_z
      - .offset:         58
        .size:           2
        .value_kind:     hidden_remainder_x
      - .offset:         60
        .size:           2
        .value_kind:     hidden_remainder_y
      - .offset:         62
        .size:           2
        .value_kind:     hidden_remainder_z
      - .offset:         80
        .size:           8
        .value_kind:     hidden_global_offset_x
      - .offset:         88
        .size:           8
        .value_kind:     hidden_global_offset_y
      - .offset:         96
        .size:           8
        .value_kind:     hidden_global_offset_z
      - .offset:         104
        .size:           2
        .value_kind:     hidden_grid_dims
    .group_segment_fixed_size: 0
    .kernarg_segment_align: 8
    .kernarg_segment_size: 296
    .language:       OpenCL C
    .language_version:
      - 2
      - 0
    .max_flat_workgroup_size: 512
    .name:           _ZN9rocsolver6v33100L38stedc_mergePrepare_SetCandFlags_kernelIdEEviiPT_lS3_Pi
    .private_segment_fixed_size: 0
    .sgpr_count:     20
    .sgpr_spill_count: 0
    .symbol:         _ZN9rocsolver6v33100L38stedc_mergePrepare_SetCandFlags_kernelIdEEviiPT_lS3_Pi.kd
    .uniform_work_group_size: 1
    .uses_dynamic_stack: false
    .vgpr_count:     18
    .vgpr_spill_count: 0
    .wavefront_size: 32
    .workgroup_processor_mode: 1
  - .args:
      - .offset:         0
        .size:           4
        .value_kind:     by_value
      - .offset:         4
        .size:           4
        .value_kind:     by_value
      - .address_space:  global
        .offset:         8
        .size:           8
        .value_kind:     global_buffer
      - .offset:         16
        .size:           8
        .value_kind:     by_value
      - .address_space:  global
        .offset:         24
        .size:           8
        .value_kind:     global_buffer
      - .address_space:  global
        .offset:         32
        .size:           8
        .value_kind:     global_buffer
      - .offset:         40
        .size:           4
        .value_kind:     hidden_block_count_x
      - .offset:         44
        .size:           4
        .value_kind:     hidden_block_count_y
      - .offset:         48
        .size:           4
        .value_kind:     hidden_block_count_z
      - .offset:         52
        .size:           2
        .value_kind:     hidden_group_size_x
      - .offset:         54
        .size:           2
        .value_kind:     hidden_group_size_y
      - .offset:         56
        .size:           2
        .value_kind:     hidden_group_size_z
      - .offset:         58
        .size:           2
        .value_kind:     hidden_remainder_x
      - .offset:         60
        .size:           2
        .value_kind:     hidden_remainder_y
      - .offset:         62
        .size:           2
        .value_kind:     hidden_remainder_z
      - .offset:         80
        .size:           8
        .value_kind:     hidden_global_offset_x
      - .offset:         88
        .size:           8
        .value_kind:     hidden_global_offset_y
      - .offset:         96
        .size:           8
        .value_kind:     hidden_global_offset_z
      - .offset:         104
        .size:           2
        .value_kind:     hidden_grid_dims
    .group_segment_fixed_size: 49152
    .kernarg_segment_align: 8
    .kernarg_segment_size: 296
    .language:       OpenCL C
    .language_version:
      - 2
      - 0
    .max_flat_workgroup_size: 512
    .name:           _ZN9rocsolver6v33100L38stedc_mergePrepare_DeflateCount_kernelIdEEviiPT_lS3_Pi
    .private_segment_fixed_size: 0
    .sgpr_count:     30
    .sgpr_spill_count: 0
    .symbol:         _ZN9rocsolver6v33100L38stedc_mergePrepare_DeflateCount_kernelIdEEviiPT_lS3_Pi.kd
    .uniform_work_group_size: 1
    .uses_dynamic_stack: false
    .vgpr_count:     20
    .vgpr_spill_count: 0
    .wavefront_size: 32
    .workgroup_processor_mode: 1
  - .args:
      - .offset:         0
        .size:           4
        .value_kind:     by_value
      - .offset:         4
        .size:           4
        .value_kind:     by_value
      - .address_space:  global
        .offset:         8
        .size:           8
        .value_kind:     global_buffer
      - .offset:         16
        .size:           8
        .value_kind:     by_value
      - .address_space:  global
        .offset:         24
        .size:           8
        .value_kind:     global_buffer
      - .address_space:  global
        .offset:         32
        .size:           8
        .value_kind:     global_buffer
      - .offset:         40
        .size:           4
        .value_kind:     hidden_block_count_x
      - .offset:         44
        .size:           4
        .value_kind:     hidden_block_count_y
      - .offset:         48
        .size:           4
        .value_kind:     hidden_block_count_z
      - .offset:         52
        .size:           2
        .value_kind:     hidden_group_size_x
      - .offset:         54
        .size:           2
        .value_kind:     hidden_group_size_y
      - .offset:         56
        .size:           2
        .value_kind:     hidden_group_size_z
      - .offset:         58
        .size:           2
        .value_kind:     hidden_remainder_x
      - .offset:         60
        .size:           2
        .value_kind:     hidden_remainder_y
      - .offset:         62
        .size:           2
        .value_kind:     hidden_remainder_z
      - .offset:         80
        .size:           8
        .value_kind:     hidden_global_offset_x
      - .offset:         88
        .size:           8
        .value_kind:     hidden_global_offset_y
      - .offset:         96
        .size:           8
        .value_kind:     hidden_global_offset_z
      - .offset:         104
        .size:           2
        .value_kind:     hidden_grid_dims
    .group_segment_fixed_size: 49152
    .kernarg_segment_align: 8
    .kernarg_segment_size: 296
    .language:       OpenCL C
    .language_version:
      - 2
      - 0
    .max_flat_workgroup_size: 512
    .name:           _ZN9rocsolver6v33100L38stedc_mergePrepare_DeflateApply_kernelIdEEviiPT_lS3_Pi
    .private_segment_fixed_size: 0
    .sgpr_count:     24
    .sgpr_spill_count: 0
    .symbol:         _ZN9rocsolver6v33100L38stedc_mergePrepare_DeflateApply_kernelIdEEviiPT_lS3_Pi.kd
    .uniform_work_group_size: 1
    .uses_dynamic_stack: false
    .vgpr_count:     29
    .vgpr_spill_count: 0
    .wavefront_size: 32
    .workgroup_processor_mode: 1
  - .args:
      - .offset:         0
        .size:           4
        .value_kind:     by_value
      - .offset:         4
        .size:           4
        .value_kind:     by_value
      - .address_space:  global
        .offset:         8
        .size:           8
        .value_kind:     global_buffer
      - .offset:         16
        .size:           4
        .value_kind:     by_value
      - .offset:         20
        .size:           4
        .value_kind:     by_value
      - .offset:         24
        .size:           8
        .value_kind:     by_value
      - .address_space:  global
        .offset:         32
        .size:           8
        .value_kind:     global_buffer
      - .address_space:  global
        .offset:         40
        .size:           8
        .value_kind:     global_buffer
      - .offset:         48
        .size:           4
        .value_kind:     hidden_block_count_x
      - .offset:         52
        .size:           4
        .value_kind:     hidden_block_count_y
      - .offset:         56
        .size:           4
        .value_kind:     hidden_block_count_z
      - .offset:         60
        .size:           2
        .value_kind:     hidden_group_size_x
      - .offset:         62
        .size:           2
        .value_kind:     hidden_group_size_y
      - .offset:         64
        .size:           2
        .value_kind:     hidden_group_size_z
      - .offset:         66
        .size:           2
        .value_kind:     hidden_remainder_x
      - .offset:         68
        .size:           2
        .value_kind:     hidden_remainder_y
      - .offset:         70
        .size:           2
        .value_kind:     hidden_remainder_z
      - .offset:         88
        .size:           8
        .value_kind:     hidden_global_offset_x
      - .offset:         96
        .size:           8
        .value_kind:     hidden_global_offset_y
      - .offset:         104
        .size:           8
        .value_kind:     hidden_global_offset_z
      - .offset:         112
        .size:           2
        .value_kind:     hidden_grid_dims
    .group_segment_fixed_size: 0
    .kernarg_segment_align: 8
    .kernarg_segment_size: 304
    .language:       OpenCL C
    .language_version:
      - 2
      - 0
    .max_flat_workgroup_size: 512
    .name:           _ZN9rocsolver6v33100L24stedc_mergeRotate_kernelIdEEviiPT_iilS3_Pi
    .private_segment_fixed_size: 0
    .sgpr_count:     43
    .sgpr_spill_count: 0
    .symbol:         _ZN9rocsolver6v33100L24stedc_mergeRotate_kernelIdEEviiPT_iilS3_Pi.kd
    .uniform_work_group_size: 1
    .uses_dynamic_stack: false
    .vgpr_count:     168
    .vgpr_spill_count: 0
    .wavefront_size: 32
    .workgroup_processor_mode: 1
  - .args:
      - .offset:         0
        .size:           4
        .value_kind:     by_value
      - .offset:         4
        .size:           4
        .value_kind:     by_value
      - .address_space:  global
        .offset:         8
        .size:           8
        .value_kind:     global_buffer
      - .offset:         16
        .size:           8
        .value_kind:     by_value
      - .address_space:  global
        .offset:         24
        .size:           8
        .value_kind:     global_buffer
      - .address_space:  global
        .offset:         32
        .size:           8
        .value_kind:     global_buffer
      - .offset:         40
        .size:           4
        .value_kind:     hidden_block_count_x
      - .offset:         44
        .size:           4
        .value_kind:     hidden_block_count_y
      - .offset:         48
        .size:           4
        .value_kind:     hidden_block_count_z
      - .offset:         52
        .size:           2
        .value_kind:     hidden_group_size_x
      - .offset:         54
        .size:           2
        .value_kind:     hidden_group_size_y
      - .offset:         56
        .size:           2
        .value_kind:     hidden_group_size_z
      - .offset:         58
        .size:           2
        .value_kind:     hidden_remainder_x
      - .offset:         60
        .size:           2
        .value_kind:     hidden_remainder_y
      - .offset:         62
        .size:           2
        .value_kind:     hidden_remainder_z
      - .offset:         80
        .size:           8
        .value_kind:     hidden_global_offset_x
      - .offset:         88
        .size:           8
        .value_kind:     hidden_global_offset_y
      - .offset:         96
        .size:           8
        .value_kind:     hidden_global_offset_z
      - .offset:         104
        .size:           2
        .value_kind:     hidden_grid_dims
    .group_segment_fixed_size: 4096
    .kernarg_segment_align: 8
    .kernarg_segment_size: 296
    .language:       OpenCL C
    .language_version:
      - 2
      - 0
    .max_flat_workgroup_size: 512
    .name:           _ZN9rocsolver6v33100L31stedc_mergeValues_SortDZ_kernelIdEEviiPT_lS3_Pi
    .private_segment_fixed_size: 0
    .sgpr_count:     54
    .sgpr_spill_count: 0
    .symbol:         _ZN9rocsolver6v33100L31stedc_mergeValues_SortDZ_kernelIdEEviiPT_lS3_Pi.kd
    .uniform_work_group_size: 1
    .uses_dynamic_stack: false
    .vgpr_count:     50
    .vgpr_spill_count: 0
    .wavefront_size: 32
    .workgroup_processor_mode: 1
  - .args:
      - .offset:         0
        .size:           4
        .value_kind:     by_value
      - .offset:         4
        .size:           4
        .value_kind:     by_value
      - .address_space:  global
        .offset:         8
        .size:           8
        .value_kind:     global_buffer
      - .offset:         16
        .size:           8
        .value_kind:     by_value
      - .address_space:  global
        .offset:         24
        .size:           8
        .value_kind:     global_buffer
      - .address_space:  global
        .offset:         32
        .size:           8
        .value_kind:     global_buffer
      - .address_space:  global
        .offset:         40
        .size:           8
        .value_kind:     global_buffer
      - .offset:         48
        .size:           4
        .value_kind:     hidden_block_count_x
      - .offset:         52
        .size:           4
        .value_kind:     hidden_block_count_y
      - .offset:         56
        .size:           4
        .value_kind:     hidden_block_count_z
      - .offset:         60
        .size:           2
        .value_kind:     hidden_group_size_x
      - .offset:         62
        .size:           2
        .value_kind:     hidden_group_size_y
      - .offset:         64
        .size:           2
        .value_kind:     hidden_group_size_z
      - .offset:         66
        .size:           2
        .value_kind:     hidden_remainder_x
      - .offset:         68
        .size:           2
        .value_kind:     hidden_remainder_y
      - .offset:         70
        .size:           2
        .value_kind:     hidden_remainder_z
      - .offset:         88
        .size:           8
        .value_kind:     hidden_global_offset_x
      - .offset:         96
        .size:           8
        .value_kind:     hidden_global_offset_y
      - .offset:         104
        .size:           8
        .value_kind:     hidden_global_offset_z
      - .offset:         112
        .size:           2
        .value_kind:     hidden_grid_dims
    .group_segment_fixed_size: 0
    .kernarg_segment_align: 8
    .kernarg_segment_size: 304
    .language:       OpenCL C
    .language_version:
      - 2
      - 0
    .max_flat_workgroup_size: 512
    .name:           _ZN9rocsolver6v33100L30stedc_mergeValues_copyD_kernelIdEEviiPT_lS3_S3_Pi
    .private_segment_fixed_size: 0
    .sgpr_count:     24
    .sgpr_spill_count: 0
    .symbol:         _ZN9rocsolver6v33100L30stedc_mergeValues_copyD_kernelIdEEviiPT_lS3_S3_Pi.kd
    .uniform_work_group_size: 1
    .uses_dynamic_stack: false
    .vgpr_count:     5
    .vgpr_spill_count: 0
    .wavefront_size: 32
    .workgroup_processor_mode: 1
  - .args:
      - .offset:         0
        .size:           4
        .value_kind:     by_value
      - .address_space:  global
        .offset:         8
        .size:           8
        .value_kind:     global_buffer
      - .offset:         16
        .size:           4
        .value_kind:     by_value
      - .offset:         20
        .size:           4
        .value_kind:     by_value
      - .offset:         24
        .size:           8
        .value_kind:     by_value
      - .address_space:  global
        .offset:         32
        .size:           8
        .value_kind:     global_buffer
      - .offset:         40
        .size:           4
        .value_kind:     by_value
      - .offset:         44
        .size:           4
        .value_kind:     by_value
      - .offset:         48
        .size:           8
        .value_kind:     by_value
      - .offset:         56
        .size:           4
        .value_kind:     hidden_block_count_x
      - .offset:         60
        .size:           4
        .value_kind:     hidden_block_count_y
      - .offset:         64
        .size:           4
        .value_kind:     hidden_block_count_z
      - .offset:         68
        .size:           2
        .value_kind:     hidden_group_size_x
      - .offset:         70
        .size:           2
        .value_kind:     hidden_group_size_y
      - .offset:         72
        .size:           2
        .value_kind:     hidden_group_size_z
      - .offset:         74
        .size:           2
        .value_kind:     hidden_remainder_x
      - .offset:         76
        .size:           2
        .value_kind:     hidden_remainder_y
      - .offset:         78
        .size:           2
        .value_kind:     hidden_remainder_z
      - .offset:         96
        .size:           8
        .value_kind:     hidden_global_offset_x
      - .offset:         104
        .size:           8
        .value_kind:     hidden_global_offset_y
      - .offset:         112
        .size:           8
        .value_kind:     hidden_global_offset_z
      - .offset:         120
        .size:           2
        .value_kind:     hidden_grid_dims
    .group_segment_fixed_size: 0
    .kernarg_segment_align: 8
    .kernarg_segment_size: 312
    .language:       OpenCL C
    .language_version:
      - 2
      - 0
    .max_flat_workgroup_size: 512
    .name:           _ZN9rocsolver6v33100L11stedc_copyCIdPdS2_EEviT0_iilT1_iil
    .private_segment_fixed_size: 0
    .sgpr_count:     42
    .sgpr_spill_count: 0
    .symbol:         _ZN9rocsolver6v33100L11stedc_copyCIdPdS2_EEviT0_iilT1_iil.kd
    .uniform_work_group_size: 1
    .uses_dynamic_stack: false
    .vgpr_count:     66
    .vgpr_spill_count: 0
    .wavefront_size: 32
    .workgroup_processor_mode: 1
  - .args:
      - .offset:         0
        .size:           4
        .value_kind:     by_value
      - .address_space:  global
        .offset:         8
        .size:           8
        .value_kind:     global_buffer
      - .offset:         16
        .size:           4
        .value_kind:     by_value
      - .offset:         20
        .size:           4
        .value_kind:     by_value
      - .offset:         24
        .size:           8
        .value_kind:     by_value
      - .address_space:  global
        .offset:         32
        .size:           8
        .value_kind:     global_buffer
      - .offset:         40
        .size:           4
        .value_kind:     by_value
      - .offset:         44
        .size:           4
        .value_kind:     by_value
      - .offset:         48
        .size:           8
        .value_kind:     by_value
      - .address_space:  global
        .offset:         56
        .size:           8
        .value_kind:     global_buffer
      - .offset:         64
        .size:           4
        .value_kind:     hidden_block_count_x
      - .offset:         68
        .size:           4
        .value_kind:     hidden_block_count_y
      - .offset:         72
        .size:           4
        .value_kind:     hidden_block_count_z
      - .offset:         76
        .size:           2
        .value_kind:     hidden_group_size_x
      - .offset:         78
        .size:           2
        .value_kind:     hidden_group_size_y
      - .offset:         80
        .size:           2
        .value_kind:     hidden_group_size_z
      - .offset:         82
        .size:           2
        .value_kind:     hidden_remainder_x
      - .offset:         84
        .size:           2
        .value_kind:     hidden_remainder_y
      - .offset:         86
        .size:           2
        .value_kind:     hidden_remainder_z
      - .offset:         104
        .size:           8
        .value_kind:     hidden_global_offset_x
      - .offset:         112
        .size:           8
        .value_kind:     hidden_global_offset_y
      - .offset:         120
        .size:           8
        .value_kind:     hidden_global_offset_z
      - .offset:         128
        .size:           2
        .value_kind:     hidden_grid_dims
    .group_segment_fixed_size: 0
    .kernarg_segment_align: 8
    .kernarg_segment_size: 320
    .language:       OpenCL C
    .language_version:
      - 2
      - 0
    .max_flat_workgroup_size: 512
    .name:           _ZN9rocsolver6v33100L16stedc_reshuffleCIdPdS2_EEviT0_iilT1_iilPi
    .private_segment_fixed_size: 0
    .sgpr_count:     42
    .sgpr_spill_count: 0
    .symbol:         _ZN9rocsolver6v33100L16stedc_reshuffleCIdPdS2_EEviT0_iilT1_iilPi.kd
    .uniform_work_group_size: 1
    .uses_dynamic_stack: false
    .vgpr_count:     66
    .vgpr_spill_count: 0
    .wavefront_size: 32
    .workgroup_processor_mode: 1
  - .args:
      - .offset:         0
        .size:           4
        .value_kind:     by_value
      - .offset:         4
        .size:           4
        .value_kind:     by_value
      - .address_space:  global
        .offset:         8
        .size:           8
        .value_kind:     global_buffer
      - .offset:         16
        .size:           8
        .value_kind:     by_value
      - .address_space:  global
        .offset:         24
        .size:           8
        .value_kind:     global_buffer
      - .offset:         32
        .size:           8
        .value_kind:     by_value
      - .address_space:  global
        .offset:         40
        .size:           8
        .value_kind:     global_buffer
      - .address_space:  global
        .offset:         48
        .size:           8
        .value_kind:     global_buffer
      - .address_space:  global
        .offset:         56
        .size:           8
        .value_kind:     global_buffer
      - .offset:         64
        .size:           8
        .value_kind:     by_value
      - .offset:         72
        .size:           8
        .value_kind:     by_value
      - .offset:         80
        .size:           8
        .value_kind:     by_value
      - .offset:         88
        .size:           4
        .value_kind:     hidden_block_count_x
      - .offset:         92
        .size:           4
        .value_kind:     hidden_block_count_y
      - .offset:         96
        .size:           4
        .value_kind:     hidden_block_count_z
      - .offset:         100
        .size:           2
        .value_kind:     hidden_group_size_x
      - .offset:         102
        .size:           2
        .value_kind:     hidden_group_size_y
      - .offset:         104
        .size:           2
        .value_kind:     hidden_group_size_z
      - .offset:         106
        .size:           2
        .value_kind:     hidden_remainder_x
      - .offset:         108
        .size:           2
        .value_kind:     hidden_remainder_y
      - .offset:         110
        .size:           2
        .value_kind:     hidden_remainder_z
      - .offset:         128
        .size:           8
        .value_kind:     hidden_global_offset_x
      - .offset:         136
        .size:           8
        .value_kind:     hidden_global_offset_y
      - .offset:         144
        .size:           8
        .value_kind:     hidden_global_offset_z
      - .offset:         152
        .size:           2
        .value_kind:     hidden_grid_dims
    .group_segment_fixed_size: 0
    .kernarg_segment_align: 8
    .kernarg_segment_size: 344
    .language:       OpenCL C
    .language_version:
      - 2
      - 0
    .max_flat_workgroup_size: 4
    .name:           _ZN9rocsolver6v33100L30stedc_mergeValues_Solve_kernelIdEEviiPT_lS3_lS3_S3_PiS2_S2_S2_
    .private_segment_fixed_size: 0
    .sgpr_count:     30
    .sgpr_spill_count: 0
    .symbol:         _ZN9rocsolver6v33100L30stedc_mergeValues_Solve_kernelIdEEviiPT_lS3_lS3_S3_PiS2_S2_S2_.kd
    .uniform_work_group_size: 1
    .uses_dynamic_stack: false
    .vgpr_count:     76
    .vgpr_spill_count: 0
    .wavefront_size: 32
    .workgroup_processor_mode: 1
  - .args:
      - .offset:         0
        .size:           4
        .value_kind:     by_value
      - .offset:         4
        .size:           4
        .value_kind:     by_value
      - .address_space:  global
        .offset:         8
        .size:           8
        .value_kind:     global_buffer
      - .offset:         16
        .size:           8
        .value_kind:     by_value
      - .address_space:  global
        .offset:         24
        .size:           8
        .value_kind:     global_buffer
      - .offset:         32
        .size:           8
        .value_kind:     by_value
      - .address_space:  global
        .offset:         40
        .size:           8
        .value_kind:     global_buffer
      - .address_space:  global
        .offset:         48
        .size:           8
        .value_kind:     global_buffer
      - .address_space:  global
        .offset:         56
        .size:           8
        .value_kind:     global_buffer
      - .offset:         64
        .size:           8
        .value_kind:     by_value
      - .offset:         72
        .size:           8
        .value_kind:     by_value
      - .offset:         80
        .size:           8
        .value_kind:     by_value
      - .offset:         88
        .size:           4
        .value_kind:     hidden_block_count_x
      - .offset:         92
        .size:           4
        .value_kind:     hidden_block_count_y
      - .offset:         96
        .size:           4
        .value_kind:     hidden_block_count_z
      - .offset:         100
        .size:           2
        .value_kind:     hidden_group_size_x
      - .offset:         102
        .size:           2
        .value_kind:     hidden_group_size_y
      - .offset:         104
        .size:           2
        .value_kind:     hidden_group_size_z
      - .offset:         106
        .size:           2
        .value_kind:     hidden_remainder_x
      - .offset:         108
        .size:           2
        .value_kind:     hidden_remainder_y
      - .offset:         110
        .size:           2
        .value_kind:     hidden_remainder_z
      - .offset:         128
        .size:           8
        .value_kind:     hidden_global_offset_x
      - .offset:         136
        .size:           8
        .value_kind:     hidden_global_offset_y
      - .offset:         144
        .size:           8
        .value_kind:     hidden_global_offset_z
      - .offset:         152
        .size:           2
        .value_kind:     hidden_grid_dims
    .group_segment_fixed_size: 4096
    .kernarg_segment_align: 8
    .kernarg_segment_size: 344
    .language:       OpenCL C
    .language_version:
      - 2
      - 0
    .max_flat_workgroup_size: 512
    .name:           _ZN9rocsolver6v33100L32stedc_mergeValues_Rescale_kernelIdEEviiPT_lS3_lS3_S3_PiS2_S2_S2_
    .private_segment_fixed_size: 0
    .sgpr_count:     30
    .sgpr_spill_count: 0
    .symbol:         _ZN9rocsolver6v33100L32stedc_mergeValues_Rescale_kernelIdEEviiPT_lS3_lS3_S3_PiS2_S2_S2_.kd
    .uniform_work_group_size: 1
    .uses_dynamic_stack: false
    .vgpr_count:     17
    .vgpr_spill_count: 0
    .wavefront_size: 32
    .workgroup_processor_mode: 1
  - .args:
      - .offset:         0
        .size:           4
        .value_kind:     by_value
      - .offset:         4
        .size:           4
        .value_kind:     by_value
      - .address_space:  global
        .offset:         8
        .size:           8
        .value_kind:     global_buffer
      - .offset:         16
        .size:           4
        .value_kind:     by_value
      - .offset:         20
        .size:           4
        .value_kind:     by_value
      - .offset:         24
        .size:           8
        .value_kind:     by_value
      - .address_space:  global
        .offset:         32
        .size:           8
        .value_kind:     global_buffer
      - .address_space:  global
        .offset:         40
        .size:           8
        .value_kind:     global_buffer
      - .address_space:  global
        .offset:         48
        .size:           8
        .value_kind:     global_buffer
      - .offset:         56
        .size:           4
        .value_kind:     hidden_block_count_x
      - .offset:         60
        .size:           4
        .value_kind:     hidden_block_count_y
      - .offset:         64
        .size:           4
        .value_kind:     hidden_block_count_z
      - .offset:         68
        .size:           2
        .value_kind:     hidden_group_size_x
      - .offset:         70
        .size:           2
        .value_kind:     hidden_group_size_y
      - .offset:         72
        .size:           2
        .value_kind:     hidden_group_size_z
      - .offset:         74
        .size:           2
        .value_kind:     hidden_remainder_x
      - .offset:         76
        .size:           2
        .value_kind:     hidden_remainder_y
      - .offset:         78
        .size:           2
        .value_kind:     hidden_remainder_z
      - .offset:         96
        .size:           8
        .value_kind:     hidden_global_offset_x
      - .offset:         104
        .size:           8
        .value_kind:     hidden_global_offset_y
      - .offset:         112
        .size:           8
        .value_kind:     hidden_global_offset_z
      - .offset:         120
        .size:           2
        .value_kind:     hidden_grid_dims
    .group_segment_fixed_size: 4096
    .kernarg_segment_align: 8
    .kernarg_segment_size: 312
    .language:       OpenCL C
    .language_version:
      - 2
      - 0
    .max_flat_workgroup_size: 512
    .name:           _ZN9rocsolver6v33100L25stedc_mergeVectors_kernelILb1EdEEviiPT0_iilS3_S3_Pi
    .private_segment_fixed_size: 0
    .sgpr_count:     28
    .sgpr_spill_count: 0
    .symbol:         _ZN9rocsolver6v33100L25stedc_mergeVectors_kernelILb1EdEEviiPT0_iilS3_S3_Pi.kd
    .uniform_work_group_size: 1
    .uses_dynamic_stack: false
    .vgpr_count:     22
    .vgpr_spill_count: 0
    .wavefront_size: 32
    .workgroup_processor_mode: 1
  - .args:
      - .offset:         0
        .size:           4
        .value_kind:     by_value
      - .offset:         4
        .size:           4
        .value_kind:     by_value
      - .address_space:  global
        .offset:         8
        .size:           8
        .value_kind:     global_buffer
      - .offset:         16
        .size:           8
        .value_kind:     by_value
      - .address_space:  global
        .offset:         24
        .size:           8
        .value_kind:     global_buffer
      - .offset:         32
        .size:           4
        .value_kind:     by_value
      - .offset:         36
        .size:           4
        .value_kind:     by_value
      - .offset:         40
        .size:           8
        .value_kind:     by_value
      - .address_space:  global
        .offset:         48
        .size:           8
        .value_kind:     global_buffer
      - .address_space:  global
        .offset:         56
        .size:           8
        .value_kind:     global_buffer
      - .address_space:  global
        .offset:         64
        .size:           8
        .value_kind:     global_buffer
      - .offset:         72
        .size:           4
        .value_kind:     hidden_block_count_x
      - .offset:         76
        .size:           4
        .value_kind:     hidden_block_count_y
      - .offset:         80
        .size:           4
        .value_kind:     hidden_block_count_z
      - .offset:         84
        .size:           2
        .value_kind:     hidden_group_size_x
      - .offset:         86
        .size:           2
        .value_kind:     hidden_group_size_y
      - .offset:         88
        .size:           2
        .value_kind:     hidden_group_size_z
      - .offset:         90
        .size:           2
        .value_kind:     hidden_remainder_x
      - .offset:         92
        .size:           2
        .value_kind:     hidden_remainder_y
      - .offset:         94
        .size:           2
        .value_kind:     hidden_remainder_z
      - .offset:         112
        .size:           8
        .value_kind:     hidden_global_offset_x
      - .offset:         120
        .size:           8
        .value_kind:     hidden_global_offset_y
      - .offset:         128
        .size:           8
        .value_kind:     hidden_global_offset_z
      - .offset:         136
        .size:           2
        .value_kind:     hidden_grid_dims
    .group_segment_fixed_size: 0
    .kernarg_segment_align: 8
    .kernarg_segment_size: 328
    .language:       OpenCL C
    .language_version:
      - 2
      - 0
    .max_flat_workgroup_size: 512
    .name:           _ZN9rocsolver6v33100L24stedc_mergeUpdate_kernelIdEEviiPT_lS3_iilS3_S3_Pi
    .private_segment_fixed_size: 0
    .sgpr_count:     30
    .sgpr_spill_count: 0
    .symbol:         _ZN9rocsolver6v33100L24stedc_mergeUpdate_kernelIdEEviiPT_lS3_iilS3_S3_Pi.kd
    .uniform_work_group_size: 1
    .uses_dynamic_stack: false
    .vgpr_count:     5
    .vgpr_spill_count: 0
    .wavefront_size: 32
    .workgroup_processor_mode: 1
  - .args:
      - .offset:         0
        .size:           4
        .value_kind:     by_value
      - .offset:         4
        .size:           4
        .value_kind:     by_value
      - .offset:         8
        .size:           4
        .value_kind:     by_value
      - .address_space:  global
        .offset:         16
        .size:           8
        .value_kind:     global_buffer
      - .offset:         24
        .size:           4
        .value_kind:     by_value
      - .offset:         28
        .size:           4
        .value_kind:     by_value
      - .offset:         32
        .size:           8
        .value_kind:     by_value
      - .address_space:  global
        .offset:         40
        .size:           8
        .value_kind:     global_buffer
      - .offset:         48
        .size:           1
        .value_kind:     by_value
      - .offset:         52
        .size:           4
        .value_kind:     by_value
      - .offset:         56
        .size:           4
        .value_kind:     by_value
      - .offset:         64
        .size:           4
        .value_kind:     hidden_block_count_x
      - .offset:         68
        .size:           4
        .value_kind:     hidden_block_count_y
      - .offset:         72
        .size:           4
        .value_kind:     hidden_block_count_z
      - .offset:         76
        .size:           2
        .value_kind:     hidden_group_size_x
      - .offset:         78
        .size:           2
        .value_kind:     hidden_group_size_y
      - .offset:         80
        .size:           2
        .value_kind:     hidden_group_size_z
      - .offset:         82
        .size:           2
        .value_kind:     hidden_remainder_x
      - .offset:         84
        .size:           2
        .value_kind:     hidden_remainder_y
      - .offset:         86
        .size:           2
        .value_kind:     hidden_remainder_z
      - .offset:         104
        .size:           8
        .value_kind:     hidden_global_offset_x
      - .offset:         112
        .size:           8
        .value_kind:     hidden_global_offset_y
      - .offset:         120
        .size:           8
        .value_kind:     hidden_global_offset_z
      - .offset:         128
        .size:           2
        .value_kind:     hidden_grid_dims
    .group_segment_fixed_size: 0
    .kernarg_segment_align: 8
    .kernarg_segment_size: 320
    .language:       OpenCL C
    .language_version:
      - 2
      - 0
    .max_flat_workgroup_size: 1024
    .name:           _ZN9rocsolver6v33100L8copy_matIdPdNS0_7no_maskEEEvNS0_17copymat_directionEiiT0_iilPT_T1_13rocblas_fill_17rocblas_diagonal_
    .private_segment_fixed_size: 0
    .sgpr_count:     18
    .sgpr_spill_count: 0
    .symbol:         _ZN9rocsolver6v33100L8copy_matIdPdNS0_7no_maskEEEvNS0_17copymat_directionEiiT0_iilPT_T1_13rocblas_fill_17rocblas_diagonal_.kd
    .uniform_work_group_size: 1
    .uses_dynamic_stack: false
    .vgpr_count:     6
    .vgpr_spill_count: 0
    .wavefront_size: 32
    .workgroup_processor_mode: 1
  - .args:
      - .offset:         0
        .size:           4
        .value_kind:     by_value
      - .address_space:  global
        .offset:         8
        .size:           8
        .value_kind:     global_buffer
      - .offset:         16
        .size:           8
        .value_kind:     by_value
      - .address_space:  global
        .offset:         24
        .size:           8
        .value_kind:     global_buffer
      - .offset:         32
        .size:           8
        .value_kind:     by_value
      - .offset:         40
        .size:           4
        .value_kind:     hidden_block_count_x
      - .offset:         44
        .size:           4
        .value_kind:     hidden_block_count_y
      - .offset:         48
        .size:           4
        .value_kind:     hidden_block_count_z
      - .offset:         52
        .size:           2
        .value_kind:     hidden_group_size_x
      - .offset:         54
        .size:           2
        .value_kind:     hidden_group_size_y
      - .offset:         56
        .size:           2
        .value_kind:     hidden_group_size_z
      - .offset:         58
        .size:           2
        .value_kind:     hidden_remainder_x
      - .offset:         60
        .size:           2
        .value_kind:     hidden_remainder_y
      - .offset:         62
        .size:           2
        .value_kind:     hidden_remainder_z
      - .offset:         80
        .size:           8
        .value_kind:     hidden_global_offset_x
      - .offset:         88
        .size:           8
        .value_kind:     hidden_global_offset_y
      - .offset:         96
        .size:           8
        .value_kind:     hidden_global_offset_z
      - .offset:         104
        .size:           2
        .value_kind:     hidden_grid_dims
    .group_segment_fixed_size: 0
    .kernarg_segment_align: 8
    .kernarg_segment_size: 296
    .language:       OpenCL C
    .language_version:
      - 2
      - 0
    .max_flat_workgroup_size: 512
    .name:           _ZN9rocsolver6v33100L11stedc_copyDIdEEviPT_lS3_l
    .private_segment_fixed_size: 0
    .sgpr_count:     42
    .sgpr_spill_count: 0
    .symbol:         _ZN9rocsolver6v33100L11stedc_copyDIdEEviPT_lS3_l.kd
    .uniform_work_group_size: 1
    .uses_dynamic_stack: false
    .vgpr_count:     66
    .vgpr_spill_count: 0
    .wavefront_size: 32
    .workgroup_processor_mode: 1
  - .args:
      - .offset:         0
        .size:           4
        .value_kind:     by_value
      - .address_space:  global
        .offset:         8
        .size:           8
        .value_kind:     global_buffer
      - .offset:         16
        .size:           8
        .value_kind:     by_value
      - .address_space:  global
        .offset:         24
        .size:           8
        .value_kind:     global_buffer
      - .offset:         32
        .size:           8
        .value_kind:     by_value
      - .address_space:  global
        .offset:         40
        .size:           8
        .value_kind:     global_buffer
      - .offset:         48
        .size:           4
        .value_kind:     by_value
      - .offset:         52
        .size:           4
        .value_kind:     by_value
      - .offset:         56
        .size:           8
        .value_kind:     by_value
      - .address_space:  global
        .offset:         64
        .size:           8
        .value_kind:     global_buffer
      - .offset:         72
        .size:           4
        .value_kind:     by_value
      - .offset:         76
        .size:           4
        .value_kind:     by_value
      - .offset:         80
        .size:           8
        .value_kind:     by_value
      - .offset:         88
        .size:           4
        .value_kind:     hidden_block_count_x
      - .offset:         92
        .size:           4
        .value_kind:     hidden_block_count_y
      - .offset:         96
        .size:           4
        .value_kind:     hidden_block_count_z
      - .offset:         100
        .size:           2
        .value_kind:     hidden_group_size_x
      - .offset:         102
        .size:           2
        .value_kind:     hidden_group_size_y
      - .offset:         104
        .size:           2
        .value_kind:     hidden_group_size_z
      - .offset:         106
        .size:           2
        .value_kind:     hidden_remainder_x
      - .offset:         108
        .size:           2
        .value_kind:     hidden_remainder_y
      - .offset:         110
        .size:           2
        .value_kind:     hidden_remainder_z
      - .offset:         128
        .size:           8
        .value_kind:     hidden_global_offset_x
      - .offset:         136
        .size:           8
        .value_kind:     hidden_global_offset_y
      - .offset:         144
        .size:           8
        .value_kind:     hidden_global_offset_z
      - .offset:         152
        .size:           2
        .value_kind:     hidden_grid_dims
    .group_segment_fixed_size: 2048
    .kernarg_segment_align: 8
    .kernarg_segment_size: 344
    .language:       OpenCL C
    .language_version:
      - 2
      - 0
    .max_flat_workgroup_size: 512
    .name:           _ZN9rocsolver6v33100L10stedc_sortIddPdS2_EEviPT0_lS4_lT1_iilT2_iil
    .private_segment_fixed_size: 0
    .sgpr_count:     58
    .sgpr_spill_count: 0
    .symbol:         _ZN9rocsolver6v33100L10stedc_sortIddPdS2_EEviPT0_lS4_lT1_iilT2_iil.kd
    .uniform_work_group_size: 1
    .uses_dynamic_stack: false
    .vgpr_count:     67
    .vgpr_spill_count: 0
    .wavefront_size: 32
    .workgroup_processor_mode: 1
  - .args:
      - .address_space:  global
        .offset:         0
        .size:           8
        .value_kind:     global_buffer
      - .offset:         8
        .size:           8
        .value_kind:     by_value
      - .offset:         16
        .size:           4
        .value_kind:     by_value
      - .offset:         20
        .size:           4
        .value_kind:     by_value
      - .offset:         24
        .size:           4
        .value_kind:     hidden_block_count_x
      - .offset:         28
        .size:           4
        .value_kind:     hidden_block_count_y
      - .offset:         32
        .size:           4
        .value_kind:     hidden_block_count_z
      - .offset:         36
        .size:           2
        .value_kind:     hidden_group_size_x
      - .offset:         38
        .size:           2
        .value_kind:     hidden_group_size_y
      - .offset:         40
        .size:           2
        .value_kind:     hidden_group_size_z
      - .offset:         42
        .size:           2
        .value_kind:     hidden_remainder_x
      - .offset:         44
        .size:           2
        .value_kind:     hidden_remainder_y
      - .offset:         46
        .size:           2
        .value_kind:     hidden_remainder_z
      - .offset:         64
        .size:           8
        .value_kind:     hidden_global_offset_x
      - .offset:         72
        .size:           8
        .value_kind:     hidden_global_offset_y
      - .offset:         80
        .size:           8
        .value_kind:     hidden_global_offset_z
      - .offset:         88
        .size:           2
        .value_kind:     hidden_grid_dims
    .group_segment_fixed_size: 0
    .kernarg_segment_align: 8
    .kernarg_segment_size: 280
    .language:       OpenCL C
    .language_version:
      - 2
      - 0
    .max_flat_workgroup_size: 1024
    .name:           _ZN9rocsolver6v33100L16reset_batch_infoI19rocblas_complex_numIfEiiPS3_EEvT2_lT0_T1_
    .private_segment_fixed_size: 0
    .sgpr_count:     12
    .sgpr_spill_count: 0
    .symbol:         _ZN9rocsolver6v33100L16reset_batch_infoI19rocblas_complex_numIfEiiPS3_EEvT2_lT0_T1_.kd
    .uniform_work_group_size: 1
    .uses_dynamic_stack: false
    .vgpr_count:     4
    .vgpr_spill_count: 0
    .wavefront_size: 32
    .workgroup_processor_mode: 1
  - .args:
      - .offset:         0
        .size:           4
        .value_kind:     by_value
      - .offset:         4
        .size:           4
        .value_kind:     by_value
      - .address_space:  global
        .offset:         8
        .size:           8
        .value_kind:     global_buffer
      - .offset:         16
        .size:           4
        .value_kind:     by_value
      - .offset:         20
        .size:           4
        .value_kind:     by_value
      - .offset:         24
        .size:           8
        .value_kind:     by_value
      - .offset:         32
        .size:           4
        .value_kind:     hidden_block_count_x
      - .offset:         36
        .size:           4
        .value_kind:     hidden_block_count_y
      - .offset:         40
        .size:           4
        .value_kind:     hidden_block_count_z
      - .offset:         44
        .size:           2
        .value_kind:     hidden_group_size_x
      - .offset:         46
        .size:           2
        .value_kind:     hidden_group_size_y
      - .offset:         48
        .size:           2
        .value_kind:     hidden_group_size_z
      - .offset:         50
        .size:           2
        .value_kind:     hidden_remainder_x
      - .offset:         52
        .size:           2
        .value_kind:     hidden_remainder_y
      - .offset:         54
        .size:           2
        .value_kind:     hidden_remainder_z
      - .offset:         72
        .size:           8
        .value_kind:     hidden_global_offset_x
      - .offset:         80
        .size:           8
        .value_kind:     hidden_global_offset_y
      - .offset:         88
        .size:           8
        .value_kind:     hidden_global_offset_z
      - .offset:         96
        .size:           2
        .value_kind:     hidden_grid_dims
    .group_segment_fixed_size: 0
    .kernarg_segment_align: 8
    .kernarg_segment_size: 288
    .language:       OpenCL C
    .language_version:
      - 2
      - 0
    .max_flat_workgroup_size: 1024
    .name:           _ZN9rocsolver6v33100L10init_identI19rocblas_complex_numIfEPS3_EEviiT0_iil
    .private_segment_fixed_size: 0
    .sgpr_count:     10
    .sgpr_spill_count: 0
    .symbol:         _ZN9rocsolver6v33100L10init_identI19rocblas_complex_numIfEPS3_EEviiT0_iil.kd
    .uniform_work_group_size: 1
    .uses_dynamic_stack: false
    .vgpr_count:     7
    .vgpr_spill_count: 0
    .wavefront_size: 32
    .workgroup_processor_mode: 1
  - .args:
      - .offset:         0
        .size:           4
        .value_kind:     by_value
      - .offset:         4
        .size:           4
        .value_kind:     by_value
      - .offset:         8
        .size:           4
        .value_kind:     by_value
      - .offset:         12
        .size:           4
        .value_kind:     by_value
      - .offset:         16
        .size:           4
        .value_kind:     by_value
      - .address_space:  global
        .offset:         24
        .size:           8
        .value_kind:     global_buffer
      - .offset:         32
        .size:           8
        .value_kind:     by_value
      - .address_space:  global
        .offset:         40
        .size:           8
        .value_kind:     global_buffer
      - .offset:         48
        .size:           8
        .value_kind:     by_value
      - .address_space:  global
        .offset:         56
        .size:           8
        .value_kind:     global_buffer
      - .offset:         64
        .size:           8
        .value_kind:     by_value
      - .offset:         72
        .size:           4
        .value_kind:     by_value
      - .offset:         80
        .size:           8
        .value_kind:     by_value
      - .offset:         88
        .size:           4
        .value_kind:     by_value
      - .offset:         96
        .size:           4
        .value_kind:     hidden_block_count_x
      - .offset:         100
        .size:           4
        .value_kind:     hidden_block_count_y
      - .offset:         104
        .size:           4
        .value_kind:     hidden_block_count_z
      - .offset:         108
        .size:           2
        .value_kind:     hidden_group_size_x
      - .offset:         110
        .size:           2
        .value_kind:     hidden_group_size_y
      - .offset:         112
        .size:           2
        .value_kind:     hidden_group_size_z
      - .offset:         114
        .size:           2
        .value_kind:     hidden_remainder_x
      - .offset:         116
        .size:           2
        .value_kind:     hidden_remainder_y
      - .offset:         118
        .size:           2
        .value_kind:     hidden_remainder_z
      - .offset:         136
        .size:           8
        .value_kind:     hidden_global_offset_x
      - .offset:         144
        .size:           8
        .value_kind:     hidden_global_offset_y
      - .offset:         152
        .size:           8
        .value_kind:     hidden_global_offset_z
      - .offset:         160
        .size:           2
        .value_kind:     hidden_grid_dims
    .group_segment_fixed_size: 0
    .kernarg_segment_align: 8
    .kernarg_segment_size: 352
    .language:       OpenCL C
    .language_version:
      - 2
      - 0
    .max_flat_workgroup_size: 64
    .name:           _ZN9rocsolver6v33100L11lasr_kernelI19rocblas_complex_numIfEfPS3_iEEv13rocblas_side_14rocblas_pivot_15rocblas_direct_T2_S8_PT0_lSA_lT1_lS8_lS8_
    .private_segment_fixed_size: 0
    .sgpr_count:     92
    .sgpr_spill_count: 0
    .symbol:         _ZN9rocsolver6v33100L11lasr_kernelI19rocblas_complex_numIfEfPS3_iEEv13rocblas_side_14rocblas_pivot_15rocblas_direct_T2_S8_PT0_lSA_lT1_lS8_lS8_.kd
    .uniform_work_group_size: 1
    .uses_dynamic_stack: false
    .vgpr_count:     45
    .vgpr_spill_count: 0
    .wavefront_size: 32
    .workgroup_processor_mode: 1
  - .args:
      - .offset:         0
        .size:           4
        .value_kind:     by_value
      - .address_space:  global
        .offset:         8
        .size:           8
        .value_kind:     global_buffer
      - .offset:         16
        .size:           4
        .value_kind:     by_value
      - .address_space:  global
        .offset:         24
        .size:           8
        .value_kind:     global_buffer
      - .offset:         32
        .size:           4
        .value_kind:     by_value
      - .offset:         40
        .size:           4
        .value_kind:     hidden_block_count_x
      - .offset:         44
        .size:           4
        .value_kind:     hidden_block_count_y
      - .offset:         48
        .size:           4
        .value_kind:     hidden_block_count_z
      - .offset:         52
        .size:           2
        .value_kind:     hidden_group_size_x
      - .offset:         54
        .size:           2
        .value_kind:     hidden_group_size_y
      - .offset:         56
        .size:           2
        .value_kind:     hidden_group_size_z
      - .offset:         58
        .size:           2
        .value_kind:     hidden_remainder_x
      - .offset:         60
        .size:           2
        .value_kind:     hidden_remainder_y
      - .offset:         62
        .size:           2
        .value_kind:     hidden_remainder_z
      - .offset:         80
        .size:           8
        .value_kind:     hidden_global_offset_x
      - .offset:         88
        .size:           8
        .value_kind:     hidden_global_offset_y
      - .offset:         96
        .size:           8
        .value_kind:     hidden_global_offset_z
      - .offset:         104
        .size:           2
        .value_kind:     hidden_grid_dims
    .group_segment_fixed_size: 0
    .kernarg_segment_align: 8
    .kernarg_segment_size: 296
    .language:       OpenCL C
    .language_version:
      - 2
      - 0
    .max_flat_workgroup_size: 1024
    .name:           _ZN9rocsolver6v33100L11swap_kernelI19rocblas_complex_numIfEiEEvT0_PT_S4_S6_S4_
    .private_segment_fixed_size: 0
    .sgpr_count:     18
    .sgpr_spill_count: 0
    .symbol:         _ZN9rocsolver6v33100L11swap_kernelI19rocblas_complex_numIfEiEEvT0_PT_S4_S6_S4_.kd
    .uniform_work_group_size: 1
    .uses_dynamic_stack: false
    .vgpr_count:     11
    .vgpr_spill_count: 0
    .wavefront_size: 32
    .workgroup_processor_mode: 1
  - .args:
      - .offset:         0
        .size:           4
        .value_kind:     by_value
      - .address_space:  global
        .offset:         8
        .size:           8
        .value_kind:     global_buffer
      - .offset:         16
        .size:           8
        .value_kind:     by_value
      - .address_space:  global
        .offset:         24
        .size:           8
        .value_kind:     global_buffer
      - .offset:         32
        .size:           8
        .value_kind:     by_value
      - .address_space:  global
        .offset:         40
        .size:           8
        .value_kind:     global_buffer
      - .offset:         48
        .size:           4
        .value_kind:     by_value
      - .offset:         52
        .size:           4
        .value_kind:     by_value
      - .offset:         56
        .size:           8
        .value_kind:     by_value
      - .address_space:  global
        .offset:         64
        .size:           8
        .value_kind:     global_buffer
      - .address_space:  global
        .offset:         72
        .size:           8
        .value_kind:     global_buffer
      - .offset:         80
        .size:           4
        .value_kind:     by_value
      - .offset:         84
        .size:           4
        .value_kind:     by_value
      - .offset:         88
        .size:           4
        .value_kind:     by_value
      - .offset:         92
        .size:           4
        .value_kind:     by_value
      - .offset:         96
        .size:           4
        .value_kind:     hidden_block_count_x
      - .offset:         100
        .size:           4
        .value_kind:     hidden_block_count_y
      - .offset:         104
        .size:           4
        .value_kind:     hidden_block_count_z
      - .offset:         108
        .size:           2
        .value_kind:     hidden_group_size_x
      - .offset:         110
        .size:           2
        .value_kind:     hidden_group_size_y
      - .offset:         112
        .size:           2
        .value_kind:     hidden_group_size_z
      - .offset:         114
        .size:           2
        .value_kind:     hidden_remainder_x
      - .offset:         116
        .size:           2
        .value_kind:     hidden_remainder_y
      - .offset:         118
        .size:           2
        .value_kind:     hidden_remainder_z
      - .offset:         136
        .size:           8
        .value_kind:     hidden_global_offset_x
      - .offset:         144
        .size:           8
        .value_kind:     hidden_global_offset_y
      - .offset:         152
        .size:           8
        .value_kind:     hidden_global_offset_z
      - .offset:         160
        .size:           2
        .value_kind:     hidden_grid_dims
    .group_segment_fixed_size: 36
    .kernarg_segment_align: 8
    .kernarg_segment_size: 352
    .language:       OpenCL C
    .language_version:
      - 2
      - 0
    .max_flat_workgroup_size: 1024
    .name:           _ZN9rocsolver6v33100L12steqr_kernelI19rocblas_complex_numIfEfPS3_EEviPT0_lS6_lT1_iilPiS6_iS5_S5_S5_
    .private_segment_fixed_size: 0
    .sgpr_count:     89
    .sgpr_spill_count: 0
    .symbol:         _ZN9rocsolver6v33100L12steqr_kernelI19rocblas_complex_numIfEfPS3_EEviPT0_lS6_lT1_iilPiS6_iS5_S5_S5_.kd
    .uniform_work_group_size: 1
    .uses_dynamic_stack: false
    .vgpr_count:     66
    .vgpr_spill_count: 0
    .wavefront_size: 32
    .workgroup_processor_mode: 1
  - .args:
      - .offset:         0
        .size:           4
        .value_kind:     by_value
      - .offset:         4
        .size:           4
        .value_kind:     by_value
      - .offset:         8
        .size:           4
        .value_kind:     by_value
      - .address_space:  global
        .offset:         16
        .size:           8
        .value_kind:     global_buffer
      - .offset:         24
        .size:           4
        .value_kind:     by_value
      - .offset:         28
        .size:           4
        .value_kind:     by_value
      - .offset:         32
        .size:           8
        .value_kind:     by_value
      - .address_space:  global
        .offset:         40
        .size:           8
        .value_kind:     global_buffer
      - .offset:         48
        .size:           4
        .value_kind:     by_value
      - .offset:         52
        .size:           4
        .value_kind:     by_value
      - .offset:         56
        .size:           4
        .value_kind:     hidden_block_count_x
      - .offset:         60
        .size:           4
        .value_kind:     hidden_block_count_y
      - .offset:         64
        .size:           4
        .value_kind:     hidden_block_count_z
      - .offset:         68
        .size:           2
        .value_kind:     hidden_group_size_x
      - .offset:         70
        .size:           2
        .value_kind:     hidden_group_size_y
      - .offset:         72
        .size:           2
        .value_kind:     hidden_group_size_z
      - .offset:         74
        .size:           2
        .value_kind:     hidden_remainder_x
      - .offset:         76
        .size:           2
        .value_kind:     hidden_remainder_y
      - .offset:         78
        .size:           2
        .value_kind:     hidden_remainder_z
      - .offset:         96
        .size:           8
        .value_kind:     hidden_global_offset_x
      - .offset:         104
        .size:           8
        .value_kind:     hidden_global_offset_y
      - .offset:         112
        .size:           8
        .value_kind:     hidden_global_offset_z
      - .offset:         120
        .size:           2
        .value_kind:     hidden_grid_dims
    .group_segment_fixed_size: 0
    .kernarg_segment_align: 8
    .kernarg_segment_size: 312
    .language:       OpenCL C
    .language_version:
      - 2
      - 0
    .max_flat_workgroup_size: 1024
    .name:           _ZN9rocsolver6v33100L8copy_matI19rocblas_complex_numIfEfLb0EPS3_TnNSt9enable_ifIX18rocblas_is_complexIT_EEiE4typeELi0EEEvNS0_17copymat_directionEiiT2_iilPT0_13rocblas_fill_17rocblas_diagonal_
    .private_segment_fixed_size: 0
    .sgpr_count:     20
    .sgpr_spill_count: 0
    .symbol:         _ZN9rocsolver6v33100L8copy_matI19rocblas_complex_numIfEfLb0EPS3_TnNSt9enable_ifIX18rocblas_is_complexIT_EEiE4typeELi0EEEvNS0_17copymat_directionEiiT2_iilPT0_13rocblas_fill_17rocblas_diagonal_.kd
    .uniform_work_group_size: 1
    .uses_dynamic_stack: false
    .vgpr_count:     7
    .vgpr_spill_count: 0
    .wavefront_size: 32
    .workgroup_processor_mode: 1
  - .args:
      - .offset:         0
        .size:           4
        .value_kind:     by_value
      - .offset:         4
        .size:           4
        .value_kind:     by_value
      - .address_space:  global
        .offset:         8
        .size:           8
        .value_kind:     global_buffer
      - .offset:         16
        .size:           4
        .value_kind:     by_value
      - .offset:         20
        .size:           4
        .value_kind:     by_value
      - .offset:         24
        .size:           8
        .value_kind:     by_value
      - .offset:         32
        .size:           4
        .value_kind:     by_value
      - .offset:         40
        .size:           4
        .value_kind:     hidden_block_count_x
      - .offset:         44
        .size:           4
        .value_kind:     hidden_block_count_y
      - .offset:         48
        .size:           4
        .value_kind:     hidden_block_count_z
      - .offset:         52
        .size:           2
        .value_kind:     hidden_group_size_x
      - .offset:         54
        .size:           2
        .value_kind:     hidden_group_size_y
      - .offset:         56
        .size:           2
        .value_kind:     hidden_group_size_z
      - .offset:         58
        .size:           2
        .value_kind:     hidden_remainder_x
      - .offset:         60
        .size:           2
        .value_kind:     hidden_remainder_y
      - .offset:         62
        .size:           2
        .value_kind:     hidden_remainder_z
      - .offset:         80
        .size:           8
        .value_kind:     hidden_global_offset_x
      - .offset:         88
        .size:           8
        .value_kind:     hidden_global_offset_y
      - .offset:         96
        .size:           8
        .value_kind:     hidden_global_offset_z
      - .offset:         104
        .size:           2
        .value_kind:     hidden_grid_dims
    .group_segment_fixed_size: 0
    .kernarg_segment_align: 8
    .kernarg_segment_size: 296
    .language:       OpenCL C
    .language_version:
      - 2
      - 0
    .max_flat_workgroup_size: 1024
    .name:           _ZN9rocsolver6v33100L8set_zeroI19rocblas_complex_numIfEPS3_EEviiT0_iil13rocblas_fill_
    .private_segment_fixed_size: 0
    .sgpr_count:     10
    .sgpr_spill_count: 0
    .symbol:         _ZN9rocsolver6v33100L8set_zeroI19rocblas_complex_numIfEPS3_EEviiT0_iil13rocblas_fill_.kd
    .uniform_work_group_size: 1
    .uses_dynamic_stack: false
    .vgpr_count:     4
    .vgpr_spill_count: 0
    .wavefront_size: 32
    .workgroup_processor_mode: 1
  - .args:
      - .offset:         0
        .size:           4
        .value_kind:     by_value
      - .offset:         4
        .size:           4
        .value_kind:     by_value
      - .offset:         8
        .size:           4
        .value_kind:     by_value
      - .address_space:  global
        .offset:         16
        .size:           8
        .value_kind:     global_buffer
      - .offset:         24
        .size:           4
        .value_kind:     by_value
      - .offset:         28
        .size:           4
        .value_kind:     by_value
      - .offset:         32
        .size:           8
        .value_kind:     by_value
      - .address_space:  global
        .offset:         40
        .size:           8
        .value_kind:     global_buffer
      - .offset:         48
        .size:           4
        .value_kind:     by_value
      - .offset:         52
        .size:           4
        .value_kind:     by_value
      - .offset:         56
        .size:           4
        .value_kind:     hidden_block_count_x
      - .offset:         60
        .size:           4
        .value_kind:     hidden_block_count_y
      - .offset:         64
        .size:           4
        .value_kind:     hidden_block_count_z
      - .offset:         68
        .size:           2
        .value_kind:     hidden_group_size_x
      - .offset:         70
        .size:           2
        .value_kind:     hidden_group_size_y
      - .offset:         72
        .size:           2
        .value_kind:     hidden_group_size_z
      - .offset:         74
        .size:           2
        .value_kind:     hidden_remainder_x
      - .offset:         76
        .size:           2
        .value_kind:     hidden_remainder_y
      - .offset:         78
        .size:           2
        .value_kind:     hidden_remainder_z
      - .offset:         96
        .size:           8
        .value_kind:     hidden_global_offset_x
      - .offset:         104
        .size:           8
        .value_kind:     hidden_global_offset_y
      - .offset:         112
        .size:           8
        .value_kind:     hidden_global_offset_z
      - .offset:         120
        .size:           2
        .value_kind:     hidden_grid_dims
    .group_segment_fixed_size: 0
    .kernarg_segment_align: 8
    .kernarg_segment_size: 312
    .language:       OpenCL C
    .language_version:
      - 2
      - 0
    .max_flat_workgroup_size: 1024
    .name:           _ZN9rocsolver6v33100L8copy_matI19rocblas_complex_numIfEfLb1EPS3_TnNSt9enable_ifIX18rocblas_is_complexIT_EEiE4typeELi0EEEvNS0_17copymat_directionEiiT2_iilPT0_13rocblas_fill_17rocblas_diagonal_
    .private_segment_fixed_size: 0
    .sgpr_count:     20
    .sgpr_spill_count: 0
    .symbol:         _ZN9rocsolver6v33100L8copy_matI19rocblas_complex_numIfEfLb1EPS3_TnNSt9enable_ifIX18rocblas_is_complexIT_EEiE4typeELi0EEEvNS0_17copymat_directionEiiT2_iilPT0_13rocblas_fill_17rocblas_diagonal_.kd
    .uniform_work_group_size: 1
    .uses_dynamic_stack: false
    .vgpr_count:     7
    .vgpr_spill_count: 0
    .wavefront_size: 32
    .workgroup_processor_mode: 1
  - .args:
      - .offset:         0
        .size:           4
        .value_kind:     by_value
      - .address_space:  global
        .offset:         8
        .size:           8
        .value_kind:     global_buffer
      - .offset:         16
        .size:           4
        .value_kind:     by_value
      - .offset:         20
        .size:           4
        .value_kind:     by_value
      - .offset:         24
        .size:           8
        .value_kind:     by_value
      - .address_space:  global
        .offset:         32
        .size:           8
        .value_kind:     global_buffer
      - .offset:         40
        .size:           4
        .value_kind:     by_value
      - .offset:         44
        .size:           4
        .value_kind:     by_value
      - .offset:         48
        .size:           8
        .value_kind:     by_value
      - .offset:         56
        .size:           4
        .value_kind:     hidden_block_count_x
      - .offset:         60
        .size:           4
        .value_kind:     hidden_block_count_y
      - .offset:         64
        .size:           4
        .value_kind:     hidden_block_count_z
      - .offset:         68
        .size:           2
        .value_kind:     hidden_group_size_x
      - .offset:         70
        .size:           2
        .value_kind:     hidden_group_size_y
      - .offset:         72
        .size:           2
        .value_kind:     hidden_group_size_z
      - .offset:         74
        .size:           2
        .value_kind:     hidden_remainder_x
      - .offset:         76
        .size:           2
        .value_kind:     hidden_remainder_y
      - .offset:         78
        .size:           2
        .value_kind:     hidden_remainder_z
      - .offset:         96
        .size:           8
        .value_kind:     hidden_global_offset_x
      - .offset:         104
        .size:           8
        .value_kind:     hidden_global_offset_y
      - .offset:         112
        .size:           8
        .value_kind:     hidden_global_offset_z
      - .offset:         120
        .size:           2
        .value_kind:     hidden_grid_dims
    .group_segment_fixed_size: 0
    .kernarg_segment_align: 8
    .kernarg_segment_size: 312
    .language:       OpenCL C
    .language_version:
      - 2
      - 0
    .max_flat_workgroup_size: 512
    .name:           _ZN9rocsolver6v33100L11stedc_copyCI19rocblas_complex_numIfEPS3_S4_EEviT0_iilT1_iil
    .private_segment_fixed_size: 0
    .sgpr_count:     42
    .sgpr_spill_count: 0
    .symbol:         _ZN9rocsolver6v33100L11stedc_copyCI19rocblas_complex_numIfEPS3_S4_EEviT0_iilT1_iil.kd
    .uniform_work_group_size: 1
    .uses_dynamic_stack: false
    .vgpr_count:     66
    .vgpr_spill_count: 0
    .wavefront_size: 32
    .workgroup_processor_mode: 1
  - .args:
      - .offset:         0
        .size:           4
        .value_kind:     by_value
      - .address_space:  global
        .offset:         8
        .size:           8
        .value_kind:     global_buffer
      - .offset:         16
        .size:           8
        .value_kind:     by_value
      - .address_space:  global
        .offset:         24
        .size:           8
        .value_kind:     global_buffer
      - .offset:         32
        .size:           8
        .value_kind:     by_value
      - .address_space:  global
        .offset:         40
        .size:           8
        .value_kind:     global_buffer
      - .offset:         48
        .size:           4
        .value_kind:     by_value
      - .offset:         52
        .size:           4
        .value_kind:     by_value
      - .offset:         56
        .size:           8
        .value_kind:     by_value
      - .address_space:  global
        .offset:         64
        .size:           8
        .value_kind:     global_buffer
      - .offset:         72
        .size:           4
        .value_kind:     by_value
      - .offset:         76
        .size:           4
        .value_kind:     by_value
      - .offset:         80
        .size:           8
        .value_kind:     by_value
      - .offset:         88
        .size:           4
        .value_kind:     hidden_block_count_x
      - .offset:         92
        .size:           4
        .value_kind:     hidden_block_count_y
      - .offset:         96
        .size:           4
        .value_kind:     hidden_block_count_z
      - .offset:         100
        .size:           2
        .value_kind:     hidden_group_size_x
      - .offset:         102
        .size:           2
        .value_kind:     hidden_group_size_y
      - .offset:         104
        .size:           2
        .value_kind:     hidden_group_size_z
      - .offset:         106
        .size:           2
        .value_kind:     hidden_remainder_x
      - .offset:         108
        .size:           2
        .value_kind:     hidden_remainder_y
      - .offset:         110
        .size:           2
        .value_kind:     hidden_remainder_z
      - .offset:         128
        .size:           8
        .value_kind:     hidden_global_offset_x
      - .offset:         136
        .size:           8
        .value_kind:     hidden_global_offset_y
      - .offset:         144
        .size:           8
        .value_kind:     hidden_global_offset_z
      - .offset:         152
        .size:           2
        .value_kind:     hidden_grid_dims
    .group_segment_fixed_size: 2048
    .kernarg_segment_align: 8
    .kernarg_segment_size: 344
    .language:       OpenCL C
    .language_version:
      - 2
      - 0
    .max_flat_workgroup_size: 512
    .name:           _ZN9rocsolver6v33100L10stedc_sortI19rocblas_complex_numIfEfPS3_S4_EEviPT0_lS6_lT1_iilT2_iil
    .private_segment_fixed_size: 0
    .sgpr_count:     57
    .sgpr_spill_count: 0
    .symbol:         _ZN9rocsolver6v33100L10stedc_sortI19rocblas_complex_numIfEfPS3_S4_EEviPT0_lS6_lT1_iilT2_iil.kd
    .uniform_work_group_size: 1
    .uses_dynamic_stack: false
    .vgpr_count:     66
    .vgpr_spill_count: 0
    .wavefront_size: 32
    .workgroup_processor_mode: 1
  - .args:
      - .address_space:  global
        .offset:         0
        .size:           8
        .value_kind:     global_buffer
      - .offset:         8
        .size:           8
        .value_kind:     by_value
      - .offset:         16
        .size:           4
        .value_kind:     by_value
      - .offset:         20
        .size:           4
        .value_kind:     by_value
      - .offset:         24
        .size:           4
        .value_kind:     hidden_block_count_x
      - .offset:         28
        .size:           4
        .value_kind:     hidden_block_count_y
      - .offset:         32
        .size:           4
        .value_kind:     hidden_block_count_z
      - .offset:         36
        .size:           2
        .value_kind:     hidden_group_size_x
      - .offset:         38
        .size:           2
        .value_kind:     hidden_group_size_y
      - .offset:         40
        .size:           2
        .value_kind:     hidden_group_size_z
      - .offset:         42
        .size:           2
        .value_kind:     hidden_remainder_x
      - .offset:         44
        .size:           2
        .value_kind:     hidden_remainder_y
      - .offset:         46
        .size:           2
        .value_kind:     hidden_remainder_z
      - .offset:         64
        .size:           8
        .value_kind:     hidden_global_offset_x
      - .offset:         72
        .size:           8
        .value_kind:     hidden_global_offset_y
      - .offset:         80
        .size:           8
        .value_kind:     hidden_global_offset_z
      - .offset:         88
        .size:           2
        .value_kind:     hidden_grid_dims
    .group_segment_fixed_size: 0
    .kernarg_segment_align: 8
    .kernarg_segment_size: 280
    .language:       OpenCL C
    .language_version:
      - 2
      - 0
    .max_flat_workgroup_size: 1024
    .name:           _ZN9rocsolver6v33100L16reset_batch_infoI19rocblas_complex_numIdEiiPS3_EEvT2_lT0_T1_
    .private_segment_fixed_size: 0
    .sgpr_count:     8
    .sgpr_spill_count: 0
    .symbol:         _ZN9rocsolver6v33100L16reset_batch_infoI19rocblas_complex_numIdEiiPS3_EEvT2_lT0_T1_.kd
    .uniform_work_group_size: 1
    .uses_dynamic_stack: false
    .vgpr_count:     6
    .vgpr_spill_count: 0
    .wavefront_size: 32
    .workgroup_processor_mode: 1
  - .args:
      - .offset:         0
        .size:           4
        .value_kind:     by_value
      - .offset:         4
        .size:           4
        .value_kind:     by_value
      - .address_space:  global
        .offset:         8
        .size:           8
        .value_kind:     global_buffer
      - .offset:         16
        .size:           4
        .value_kind:     by_value
      - .offset:         20
        .size:           4
        .value_kind:     by_value
      - .offset:         24
        .size:           8
        .value_kind:     by_value
      - .offset:         32
        .size:           4
        .value_kind:     hidden_block_count_x
      - .offset:         36
        .size:           4
        .value_kind:     hidden_block_count_y
      - .offset:         40
        .size:           4
        .value_kind:     hidden_block_count_z
      - .offset:         44
        .size:           2
        .value_kind:     hidden_group_size_x
      - .offset:         46
        .size:           2
        .value_kind:     hidden_group_size_y
      - .offset:         48
        .size:           2
        .value_kind:     hidden_group_size_z
      - .offset:         50
        .size:           2
        .value_kind:     hidden_remainder_x
      - .offset:         52
        .size:           2
        .value_kind:     hidden_remainder_y
      - .offset:         54
        .size:           2
        .value_kind:     hidden_remainder_z
      - .offset:         72
        .size:           8
        .value_kind:     hidden_global_offset_x
      - .offset:         80
        .size:           8
        .value_kind:     hidden_global_offset_y
      - .offset:         88
        .size:           8
        .value_kind:     hidden_global_offset_z
      - .offset:         96
        .size:           2
        .value_kind:     hidden_grid_dims
    .group_segment_fixed_size: 0
    .kernarg_segment_align: 8
    .kernarg_segment_size: 288
    .language:       OpenCL C
    .language_version:
      - 2
      - 0
    .max_flat_workgroup_size: 1024
    .name:           _ZN9rocsolver6v33100L10init_identI19rocblas_complex_numIdEPS3_EEviiT0_iil
    .private_segment_fixed_size: 0
    .sgpr_count:     10
    .sgpr_spill_count: 0
    .symbol:         _ZN9rocsolver6v33100L10init_identI19rocblas_complex_numIdEPS3_EEviiT0_iil.kd
    .uniform_work_group_size: 1
    .uses_dynamic_stack: false
    .vgpr_count:     6
    .vgpr_spill_count: 0
    .wavefront_size: 32
    .workgroup_processor_mode: 1
  - .args:
      - .offset:         0
        .size:           4
        .value_kind:     by_value
      - .offset:         4
        .size:           4
        .value_kind:     by_value
      - .offset:         8
        .size:           4
        .value_kind:     by_value
      - .offset:         12
        .size:           4
        .value_kind:     by_value
      - .offset:         16
        .size:           4
        .value_kind:     by_value
      - .address_space:  global
        .offset:         24
        .size:           8
        .value_kind:     global_buffer
      - .offset:         32
        .size:           8
        .value_kind:     by_value
      - .address_space:  global
        .offset:         40
        .size:           8
        .value_kind:     global_buffer
      - .offset:         48
        .size:           8
        .value_kind:     by_value
      - .address_space:  global
        .offset:         56
        .size:           8
        .value_kind:     global_buffer
      - .offset:         64
        .size:           8
        .value_kind:     by_value
      - .offset:         72
        .size:           4
        .value_kind:     by_value
      - .offset:         80
        .size:           8
        .value_kind:     by_value
      - .offset:         88
        .size:           4
        .value_kind:     by_value
      - .offset:         96
        .size:           4
        .value_kind:     hidden_block_count_x
      - .offset:         100
        .size:           4
        .value_kind:     hidden_block_count_y
      - .offset:         104
        .size:           4
        .value_kind:     hidden_block_count_z
      - .offset:         108
        .size:           2
        .value_kind:     hidden_group_size_x
      - .offset:         110
        .size:           2
        .value_kind:     hidden_group_size_y
      - .offset:         112
        .size:           2
        .value_kind:     hidden_group_size_z
      - .offset:         114
        .size:           2
        .value_kind:     hidden_remainder_x
      - .offset:         116
        .size:           2
        .value_kind:     hidden_remainder_y
      - .offset:         118
        .size:           2
        .value_kind:     hidden_remainder_z
      - .offset:         136
        .size:           8
        .value_kind:     hidden_global_offset_x
      - .offset:         144
        .size:           8
        .value_kind:     hidden_global_offset_y
      - .offset:         152
        .size:           8
        .value_kind:     hidden_global_offset_z
      - .offset:         160
        .size:           2
        .value_kind:     hidden_grid_dims
    .group_segment_fixed_size: 0
    .kernarg_segment_align: 8
    .kernarg_segment_size: 352
    .language:       OpenCL C
    .language_version:
      - 2
      - 0
    .max_flat_workgroup_size: 64
    .name:           _ZN9rocsolver6v33100L11lasr_kernelI19rocblas_complex_numIdEdPS3_iEEv13rocblas_side_14rocblas_pivot_15rocblas_direct_T2_S8_PT0_lSA_lT1_lS8_lS8_
    .private_segment_fixed_size: 0
    .sgpr_count:     92
    .sgpr_spill_count: 0
    .symbol:         _ZN9rocsolver6v33100L11lasr_kernelI19rocblas_complex_numIdEdPS3_iEEv13rocblas_side_14rocblas_pivot_15rocblas_direct_T2_S8_PT0_lSA_lT1_lS8_lS8_.kd
    .uniform_work_group_size: 1
    .uses_dynamic_stack: false
    .vgpr_count:     55
    .vgpr_spill_count: 0
    .wavefront_size: 32
    .workgroup_processor_mode: 1
  - .args:
      - .offset:         0
        .size:           4
        .value_kind:     by_value
      - .address_space:  global
        .offset:         8
        .size:           8
        .value_kind:     global_buffer
      - .offset:         16
        .size:           4
        .value_kind:     by_value
      - .address_space:  global
        .offset:         24
        .size:           8
        .value_kind:     global_buffer
      - .offset:         32
        .size:           4
        .value_kind:     by_value
      - .offset:         40
        .size:           4
        .value_kind:     hidden_block_count_x
      - .offset:         44
        .size:           4
        .value_kind:     hidden_block_count_y
      - .offset:         48
        .size:           4
        .value_kind:     hidden_block_count_z
      - .offset:         52
        .size:           2
        .value_kind:     hidden_group_size_x
      - .offset:         54
        .size:           2
        .value_kind:     hidden_group_size_y
      - .offset:         56
        .size:           2
        .value_kind:     hidden_group_size_z
      - .offset:         58
        .size:           2
        .value_kind:     hidden_remainder_x
      - .offset:         60
        .size:           2
        .value_kind:     hidden_remainder_y
      - .offset:         62
        .size:           2
        .value_kind:     hidden_remainder_z
      - .offset:         80
        .size:           8
        .value_kind:     hidden_global_offset_x
      - .offset:         88
        .size:           8
        .value_kind:     hidden_global_offset_y
      - .offset:         96
        .size:           8
        .value_kind:     hidden_global_offset_z
      - .offset:         104
        .size:           2
        .value_kind:     hidden_grid_dims
    .group_segment_fixed_size: 32768
    .kernarg_segment_align: 8
    .kernarg_segment_size: 296
    .language:       OpenCL C
    .language_version:
      - 2
      - 0
    .max_flat_workgroup_size: 1024
    .name:           _ZN9rocsolver6v33100L11swap_kernelI19rocblas_complex_numIdEiEEvT0_PT_S4_S6_S4_
    .private_segment_fixed_size: 0
    .sgpr_count:     18
    .sgpr_spill_count: 0
    .symbol:         _ZN9rocsolver6v33100L11swap_kernelI19rocblas_complex_numIdEiEEvT0_PT_S4_S6_S4_.kd
    .uniform_work_group_size: 1
    .uses_dynamic_stack: false
    .vgpr_count:     16
    .vgpr_spill_count: 0
    .wavefront_size: 32
    .workgroup_processor_mode: 1
  - .args:
      - .offset:         0
        .size:           4
        .value_kind:     by_value
      - .address_space:  global
        .offset:         8
        .size:           8
        .value_kind:     global_buffer
      - .offset:         16
        .size:           8
        .value_kind:     by_value
      - .address_space:  global
        .offset:         24
        .size:           8
        .value_kind:     global_buffer
      - .offset:         32
        .size:           8
        .value_kind:     by_value
      - .address_space:  global
        .offset:         40
        .size:           8
        .value_kind:     global_buffer
      - .offset:         48
        .size:           4
        .value_kind:     by_value
      - .offset:         52
        .size:           4
        .value_kind:     by_value
      - .offset:         56
        .size:           8
        .value_kind:     by_value
      - .address_space:  global
        .offset:         64
        .size:           8
        .value_kind:     global_buffer
      - .address_space:  global
        .offset:         72
        .size:           8
        .value_kind:     global_buffer
      - .offset:         80
        .size:           4
        .value_kind:     by_value
      - .offset:         88
        .size:           8
        .value_kind:     by_value
      - .offset:         96
        .size:           8
        .value_kind:     by_value
      - .offset:         104
        .size:           8
        .value_kind:     by_value
      - .offset:         112
        .size:           4
        .value_kind:     hidden_block_count_x
      - .offset:         116
        .size:           4
        .value_kind:     hidden_block_count_y
      - .offset:         120
        .size:           4
        .value_kind:     hidden_block_count_z
      - .offset:         124
        .size:           2
        .value_kind:     hidden_group_size_x
      - .offset:         126
        .size:           2
        .value_kind:     hidden_group_size_y
      - .offset:         128
        .size:           2
        .value_kind:     hidden_group_size_z
      - .offset:         130
        .size:           2
        .value_kind:     hidden_remainder_x
      - .offset:         132
        .size:           2
        .value_kind:     hidden_remainder_y
      - .offset:         134
        .size:           2
        .value_kind:     hidden_remainder_z
      - .offset:         152
        .size:           8
        .value_kind:     hidden_global_offset_x
      - .offset:         160
        .size:           8
        .value_kind:     hidden_global_offset_y
      - .offset:         168
        .size:           8
        .value_kind:     hidden_global_offset_z
      - .offset:         176
        .size:           2
        .value_kind:     hidden_grid_dims
    .group_segment_fixed_size: 16432
    .kernarg_segment_align: 8
    .kernarg_segment_size: 368
    .language:       OpenCL C
    .language_version:
      - 2
      - 0
    .max_flat_workgroup_size: 1024
    .name:           _ZN9rocsolver6v33100L12steqr_kernelI19rocblas_complex_numIdEdPS3_EEviPT0_lS6_lT1_iilPiS6_iS5_S5_S5_
    .private_segment_fixed_size: 0
    .sgpr_count:     94
    .sgpr_spill_count: 0
    .symbol:         _ZN9rocsolver6v33100L12steqr_kernelI19rocblas_complex_numIdEdPS3_EEviPT0_lS6_lT1_iilPiS6_iS5_S5_S5_.kd
    .uniform_work_group_size: 1
    .uses_dynamic_stack: false
    .vgpr_count:     71
    .vgpr_spill_count: 0
    .wavefront_size: 32
    .workgroup_processor_mode: 1
  - .args:
      - .offset:         0
        .size:           4
        .value_kind:     by_value
      - .offset:         4
        .size:           4
        .value_kind:     by_value
      - .offset:         8
        .size:           4
        .value_kind:     by_value
      - .address_space:  global
        .offset:         16
        .size:           8
        .value_kind:     global_buffer
      - .offset:         24
        .size:           4
        .value_kind:     by_value
      - .offset:         28
        .size:           4
        .value_kind:     by_value
      - .offset:         32
        .size:           8
        .value_kind:     by_value
      - .address_space:  global
        .offset:         40
        .size:           8
        .value_kind:     global_buffer
      - .offset:         48
        .size:           4
        .value_kind:     by_value
      - .offset:         52
        .size:           4
        .value_kind:     by_value
      - .offset:         56
        .size:           4
        .value_kind:     hidden_block_count_x
      - .offset:         60
        .size:           4
        .value_kind:     hidden_block_count_y
      - .offset:         64
        .size:           4
        .value_kind:     hidden_block_count_z
      - .offset:         68
        .size:           2
        .value_kind:     hidden_group_size_x
      - .offset:         70
        .size:           2
        .value_kind:     hidden_group_size_y
      - .offset:         72
        .size:           2
        .value_kind:     hidden_group_size_z
      - .offset:         74
        .size:           2
        .value_kind:     hidden_remainder_x
      - .offset:         76
        .size:           2
        .value_kind:     hidden_remainder_y
      - .offset:         78
        .size:           2
        .value_kind:     hidden_remainder_z
      - .offset:         96
        .size:           8
        .value_kind:     hidden_global_offset_x
      - .offset:         104
        .size:           8
        .value_kind:     hidden_global_offset_y
      - .offset:         112
        .size:           8
        .value_kind:     hidden_global_offset_z
      - .offset:         120
        .size:           2
        .value_kind:     hidden_grid_dims
    .group_segment_fixed_size: 0
    .kernarg_segment_align: 8
    .kernarg_segment_size: 312
    .language:       OpenCL C
    .language_version:
      - 2
      - 0
    .max_flat_workgroup_size: 1024
    .name:           _ZN9rocsolver6v33100L8copy_matI19rocblas_complex_numIdEdLb0EPS3_TnNSt9enable_ifIX18rocblas_is_complexIT_EEiE4typeELi0EEEvNS0_17copymat_directionEiiT2_iilPT0_13rocblas_fill_17rocblas_diagonal_
    .private_segment_fixed_size: 0
    .sgpr_count:     20
    .sgpr_spill_count: 0
    .symbol:         _ZN9rocsolver6v33100L8copy_matI19rocblas_complex_numIdEdLb0EPS3_TnNSt9enable_ifIX18rocblas_is_complexIT_EEiE4typeELi0EEEvNS0_17copymat_directionEiiT2_iilPT0_13rocblas_fill_17rocblas_diagonal_.kd
    .uniform_work_group_size: 1
    .uses_dynamic_stack: false
    .vgpr_count:     7
    .vgpr_spill_count: 0
    .wavefront_size: 32
    .workgroup_processor_mode: 1
  - .args:
      - .offset:         0
        .size:           4
        .value_kind:     by_value
      - .offset:         4
        .size:           4
        .value_kind:     by_value
      - .address_space:  global
        .offset:         8
        .size:           8
        .value_kind:     global_buffer
      - .offset:         16
        .size:           4
        .value_kind:     by_value
      - .offset:         20
        .size:           4
        .value_kind:     by_value
      - .offset:         24
        .size:           8
        .value_kind:     by_value
      - .offset:         32
        .size:           4
        .value_kind:     by_value
      - .offset:         40
        .size:           4
        .value_kind:     hidden_block_count_x
      - .offset:         44
        .size:           4
        .value_kind:     hidden_block_count_y
      - .offset:         48
        .size:           4
        .value_kind:     hidden_block_count_z
      - .offset:         52
        .size:           2
        .value_kind:     hidden_group_size_x
      - .offset:         54
        .size:           2
        .value_kind:     hidden_group_size_y
      - .offset:         56
        .size:           2
        .value_kind:     hidden_group_size_z
      - .offset:         58
        .size:           2
        .value_kind:     hidden_remainder_x
      - .offset:         60
        .size:           2
        .value_kind:     hidden_remainder_y
      - .offset:         62
        .size:           2
        .value_kind:     hidden_remainder_z
      - .offset:         80
        .size:           8
        .value_kind:     hidden_global_offset_x
      - .offset:         88
        .size:           8
        .value_kind:     hidden_global_offset_y
      - .offset:         96
        .size:           8
        .value_kind:     hidden_global_offset_z
      - .offset:         104
        .size:           2
        .value_kind:     hidden_grid_dims
    .group_segment_fixed_size: 0
    .kernarg_segment_align: 8
    .kernarg_segment_size: 296
    .language:       OpenCL C
    .language_version:
      - 2
      - 0
    .max_flat_workgroup_size: 1024
    .name:           _ZN9rocsolver6v33100L8set_zeroI19rocblas_complex_numIdEPS3_EEviiT0_iil13rocblas_fill_
    .private_segment_fixed_size: 0
    .sgpr_count:     10
    .sgpr_spill_count: 0
    .symbol:         _ZN9rocsolver6v33100L8set_zeroI19rocblas_complex_numIdEPS3_EEviiT0_iil13rocblas_fill_.kd
    .uniform_work_group_size: 1
    .uses_dynamic_stack: false
    .vgpr_count:     7
    .vgpr_spill_count: 0
    .wavefront_size: 32
    .workgroup_processor_mode: 1
  - .args:
      - .offset:         0
        .size:           4
        .value_kind:     by_value
      - .offset:         4
        .size:           4
        .value_kind:     by_value
      - .offset:         8
        .size:           4
        .value_kind:     by_value
      - .address_space:  global
        .offset:         16
        .size:           8
        .value_kind:     global_buffer
      - .offset:         24
        .size:           4
        .value_kind:     by_value
      - .offset:         28
        .size:           4
        .value_kind:     by_value
      - .offset:         32
        .size:           8
        .value_kind:     by_value
      - .address_space:  global
        .offset:         40
        .size:           8
        .value_kind:     global_buffer
      - .offset:         48
        .size:           4
        .value_kind:     by_value
      - .offset:         52
        .size:           4
        .value_kind:     by_value
      - .offset:         56
        .size:           4
        .value_kind:     hidden_block_count_x
      - .offset:         60
        .size:           4
        .value_kind:     hidden_block_count_y
      - .offset:         64
        .size:           4
        .value_kind:     hidden_block_count_z
      - .offset:         68
        .size:           2
        .value_kind:     hidden_group_size_x
      - .offset:         70
        .size:           2
        .value_kind:     hidden_group_size_y
      - .offset:         72
        .size:           2
        .value_kind:     hidden_group_size_z
      - .offset:         74
        .size:           2
        .value_kind:     hidden_remainder_x
      - .offset:         76
        .size:           2
        .value_kind:     hidden_remainder_y
      - .offset:         78
        .size:           2
        .value_kind:     hidden_remainder_z
      - .offset:         96
        .size:           8
        .value_kind:     hidden_global_offset_x
      - .offset:         104
        .size:           8
        .value_kind:     hidden_global_offset_y
      - .offset:         112
        .size:           8
        .value_kind:     hidden_global_offset_z
      - .offset:         120
        .size:           2
        .value_kind:     hidden_grid_dims
    .group_segment_fixed_size: 0
    .kernarg_segment_align: 8
    .kernarg_segment_size: 312
    .language:       OpenCL C
    .language_version:
      - 2
      - 0
    .max_flat_workgroup_size: 1024
    .name:           _ZN9rocsolver6v33100L8copy_matI19rocblas_complex_numIdEdLb1EPS3_TnNSt9enable_ifIX18rocblas_is_complexIT_EEiE4typeELi0EEEvNS0_17copymat_directionEiiT2_iilPT0_13rocblas_fill_17rocblas_diagonal_
    .private_segment_fixed_size: 0
    .sgpr_count:     20
    .sgpr_spill_count: 0
    .symbol:         _ZN9rocsolver6v33100L8copy_matI19rocblas_complex_numIdEdLb1EPS3_TnNSt9enable_ifIX18rocblas_is_complexIT_EEiE4typeELi0EEEvNS0_17copymat_directionEiiT2_iilPT0_13rocblas_fill_17rocblas_diagonal_.kd
    .uniform_work_group_size: 1
    .uses_dynamic_stack: false
    .vgpr_count:     8
    .vgpr_spill_count: 0
    .wavefront_size: 32
    .workgroup_processor_mode: 1
  - .args:
      - .offset:         0
        .size:           4
        .value_kind:     by_value
      - .address_space:  global
        .offset:         8
        .size:           8
        .value_kind:     global_buffer
      - .offset:         16
        .size:           4
        .value_kind:     by_value
      - .offset:         20
        .size:           4
        .value_kind:     by_value
      - .offset:         24
        .size:           8
        .value_kind:     by_value
      - .address_space:  global
        .offset:         32
        .size:           8
        .value_kind:     global_buffer
      - .offset:         40
        .size:           4
        .value_kind:     by_value
      - .offset:         44
        .size:           4
        .value_kind:     by_value
      - .offset:         48
        .size:           8
        .value_kind:     by_value
      - .offset:         56
        .size:           4
        .value_kind:     hidden_block_count_x
      - .offset:         60
        .size:           4
        .value_kind:     hidden_block_count_y
      - .offset:         64
        .size:           4
        .value_kind:     hidden_block_count_z
      - .offset:         68
        .size:           2
        .value_kind:     hidden_group_size_x
      - .offset:         70
        .size:           2
        .value_kind:     hidden_group_size_y
      - .offset:         72
        .size:           2
        .value_kind:     hidden_group_size_z
      - .offset:         74
        .size:           2
        .value_kind:     hidden_remainder_x
      - .offset:         76
        .size:           2
        .value_kind:     hidden_remainder_y
      - .offset:         78
        .size:           2
        .value_kind:     hidden_remainder_z
      - .offset:         96
        .size:           8
        .value_kind:     hidden_global_offset_x
      - .offset:         104
        .size:           8
        .value_kind:     hidden_global_offset_y
      - .offset:         112
        .size:           8
        .value_kind:     hidden_global_offset_z
      - .offset:         120
        .size:           2
        .value_kind:     hidden_grid_dims
    .group_segment_fixed_size: 0
    .kernarg_segment_align: 8
    .kernarg_segment_size: 312
    .language:       OpenCL C
    .language_version:
      - 2
      - 0
    .max_flat_workgroup_size: 512
    .name:           _ZN9rocsolver6v33100L11stedc_copyCI19rocblas_complex_numIdEPS3_S4_EEviT0_iilT1_iil
    .private_segment_fixed_size: 272
    .sgpr_count:     57
    .sgpr_spill_count: 0
    .symbol:         _ZN9rocsolver6v33100L11stedc_copyCI19rocblas_complex_numIdEPS3_S4_EEviT0_iilT1_iil.kd
    .uniform_work_group_size: 1
    .uses_dynamic_stack: false
    .vgpr_count:     38
    .vgpr_spill_count: 0
    .wavefront_size: 32
    .workgroup_processor_mode: 1
  - .args:
      - .offset:         0
        .size:           4
        .value_kind:     by_value
      - .address_space:  global
        .offset:         8
        .size:           8
        .value_kind:     global_buffer
      - .offset:         16
        .size:           8
        .value_kind:     by_value
      - .address_space:  global
        .offset:         24
        .size:           8
        .value_kind:     global_buffer
      - .offset:         32
        .size:           8
        .value_kind:     by_value
      - .address_space:  global
        .offset:         40
        .size:           8
        .value_kind:     global_buffer
      - .offset:         48
        .size:           4
        .value_kind:     by_value
      - .offset:         52
        .size:           4
        .value_kind:     by_value
      - .offset:         56
        .size:           8
        .value_kind:     by_value
      - .address_space:  global
        .offset:         64
        .size:           8
        .value_kind:     global_buffer
      - .offset:         72
        .size:           4
        .value_kind:     by_value
      - .offset:         76
        .size:           4
        .value_kind:     by_value
      - .offset:         80
        .size:           8
        .value_kind:     by_value
      - .offset:         88
        .size:           4
        .value_kind:     hidden_block_count_x
      - .offset:         92
        .size:           4
        .value_kind:     hidden_block_count_y
      - .offset:         96
        .size:           4
        .value_kind:     hidden_block_count_z
      - .offset:         100
        .size:           2
        .value_kind:     hidden_group_size_x
      - .offset:         102
        .size:           2
        .value_kind:     hidden_group_size_y
      - .offset:         104
        .size:           2
        .value_kind:     hidden_group_size_z
      - .offset:         106
        .size:           2
        .value_kind:     hidden_remainder_x
      - .offset:         108
        .size:           2
        .value_kind:     hidden_remainder_y
      - .offset:         110
        .size:           2
        .value_kind:     hidden_remainder_z
      - .offset:         128
        .size:           8
        .value_kind:     hidden_global_offset_x
      - .offset:         136
        .size:           8
        .value_kind:     hidden_global_offset_y
      - .offset:         144
        .size:           8
        .value_kind:     hidden_global_offset_z
      - .offset:         152
        .size:           2
        .value_kind:     hidden_grid_dims
    .group_segment_fixed_size: 26624
    .kernarg_segment_align: 8
    .kernarg_segment_size: 344
    .language:       OpenCL C
    .language_version:
      - 2
      - 0
    .max_flat_workgroup_size: 512
    .name:           _ZN9rocsolver6v33100L10stedc_sortI19rocblas_complex_numIdEdPS3_S4_EEviPT0_lS6_lT1_iilT2_iil
    .private_segment_fixed_size: 96
    .sgpr_count:     60
    .sgpr_spill_count: 0
    .symbol:         _ZN9rocsolver6v33100L10stedc_sortI19rocblas_complex_numIdEdPS3_S4_EEviPT0_lS6_lT1_iilT2_iil.kd
    .uniform_work_group_size: 1
    .uses_dynamic_stack: false
    .vgpr_count:     71
    .vgpr_spill_count: 0
    .wavefront_size: 32
    .workgroup_processor_mode: 1
amdhsa.target:   amdgcn-amd-amdhsa--gfx1201
amdhsa.version:
  - 1
  - 2
...

	.end_amdgpu_metadata
